;; amdgpu-corpus repo=ggml-org/llama.cpp kind=compiled arch=gfx1250 opt=O3
	.amdgcn_target "amdgcn-amd-amdhsa--gfx1250"
	.amdhsa_code_object_version 6
	.section	.text._ZL9rope_neoxILb1ELb0EffEvPKT1_PT2_iiiiiiiiiiPKifff14rope_corr_dimsfPKfPKli,"axG",@progbits,_ZL9rope_neoxILb1ELb0EffEvPKT1_PT2_iiiiiiiiiiPKifff14rope_corr_dimsfPKfPKli,comdat
	.globl	_ZL9rope_neoxILb1ELb0EffEvPKT1_PT2_iiiiiiiiiiPKifff14rope_corr_dimsfPKfPKli ; -- Begin function _ZL9rope_neoxILb1ELb0EffEvPKT1_PT2_iiiiiiiiiiPKifff14rope_corr_dimsfPKfPKli
	.p2align	8
	.type	_ZL9rope_neoxILb1ELb0EffEvPKT1_PT2_iiiiiiiiiiPKifff14rope_corr_dimsfPKfPKli,@function
_ZL9rope_neoxILb1ELb0EffEvPKT1_PT2_iiiiiiiiiiPKifff14rope_corr_dimsfPKfPKli: ; @_ZL9rope_neoxILb1ELb0EffEvPKT1_PT2_iiiiiiiiiiPKifff14rope_corr_dimsfPKfPKli
; %bb.0:
	s_clause 0x1
	s_load_u16 s3, s[0:1], 0x7e
	s_load_b256 s[4:11], s[0:1], 0x10
	s_bfe_u32 s2, ttmp6, 0x40010
	s_bfe_u32 s13, ttmp6, 0x40004
	s_add_co_i32 s2, s2, 1
	v_bfe_u32 v1, v0, 10, 10
	s_mul_i32 s12, ttmp7, s2
	s_getreg_b32 s2, hwreg(HW_REG_IB_STS2, 6, 4)
	s_add_co_i32 s13, s13, s12
	s_cmp_eq_u32 s2, 0
	s_cselect_b32 s12, ttmp7, s13
	s_wait_kmcnt 0x0
	s_mul_i32 s12, s12, s3
	s_mov_b32 s3, exec_lo
	v_add_lshl_u32 v3, s12, v1, 1
	s_delay_alu instid0(VALU_DEP_1)
	v_cmpx_gt_i32_e64 s4, v3
	s_cbranch_execz .LBB0_19
; %bb.1:
	s_add_nc_u64 s[12:13], s[0:1], 0x70
	s_bfe_u32 s4, ttmp6, 0x4000c
	s_load_b32 s3, s[12:13], 0xc
	s_add_co_i32 s4, s4, 1
	s_wait_xcnt 0x0
	s_and_b32 s12, ttmp6, 15
	s_mul_i32 s4, ttmp9, s4
	v_and_b32_e32 v0, 0x3ff, v0
	s_add_co_i32 s12, s12, s4
	s_load_b64 s[16:17], s[0:1], 0x30
	s_wait_kmcnt 0x0
	s_and_b32 s3, s3, 0xffff
	s_cmp_eq_u32 s2, 0
	s_mul_i32 s2, s6, s5
	s_cselect_b32 s4, ttmp9, s12
	s_abs_i32 s6, s2
	v_mad_u32 v2, s4, s3, v0
	s_cvt_f32_u32 s12, s6
	s_sub_co_i32 s4, 0, s6
	s_delay_alu instid0(SALU_CYCLE_2) | instskip(NEXT) | instid1(VALU_DEP_1)
	v_rcp_iflag_f32_e32 v1, s12
	v_sub_nc_u32_e32 v0, 0, v2
	s_delay_alu instid0(TRANS32_DEP_1) | instskip(NEXT) | instid1(VALU_DEP_2)
	v_readfirstlane_b32 s3, v1
	v_max_i32_e32 v0, v2, v0
	s_mul_f32 s3, s3, 0x4f7ffffe
	s_delay_alu instid0(SALU_CYCLE_3) | instskip(NEXT) | instid1(SALU_CYCLE_3)
	s_cvt_u32_f32 s3, s3
	s_mul_i32 s4, s4, s3
	s_delay_alu instid0(SALU_CYCLE_1) | instskip(NEXT) | instid1(SALU_CYCLE_1)
	s_mul_hi_u32 s4, s3, s4
	s_add_co_i32 s3, s3, s4
	s_delay_alu instid0(SALU_CYCLE_1) | instskip(SKIP_1) | instid1(VALU_DEP_1)
	v_mul_hi_u32 v1, v0, s3
	s_cvt_f32_u32 s3, s5
	v_mul_lo_u32 v4, v1, s6
	s_delay_alu instid0(VALU_DEP_1) | instskip(NEXT) | instid1(VALU_DEP_1)
	v_dual_sub_nc_u32 v0, v0, v4 :: v_dual_add_nc_u32 v4, 1, v1
	v_cmp_le_u32_e32 vcc_lo, s6, v0
	s_delay_alu instid0(VALU_DEP_2) | instskip(SKIP_1) | instid1(VALU_DEP_1)
	v_cndmask_b32_e32 v1, v1, v4, vcc_lo
	v_subrev_nc_u32_e32 v5, s6, v0
	v_dual_cndmask_b32 v0, v0, v5, vcc_lo :: v_dual_bitop2_b32 v4, s2, v2 bitop3:0x14
	s_delay_alu instid0(VALU_DEP_3) | instskip(NEXT) | instid1(VALU_DEP_2)
	v_add_nc_u32_e32 v5, 1, v1
	v_cmp_le_u32_e32 vcc_lo, s6, v0
	s_delay_alu instid0(VALU_DEP_2) | instskip(SKIP_1) | instid1(VALU_DEP_1)
	v_dual_ashrrev_i32 v4, 31, v4 :: v_dual_cndmask_b32 v0, v1, v5, vcc_lo
	v_rcp_iflag_f32_e32 v1, s3
	v_xor_b32_e32 v0, v0, v4
	s_delay_alu instid0(TRANS32_DEP_1) | instskip(NEXT) | instid1(VALU_DEP_2)
	v_readfirstlane_b32 s3, v1
	v_sub_nc_u32_e32 v0, v0, v4
	s_delay_alu instid0(VALU_DEP_1) | instskip(SKIP_2) | instid1(SALU_CYCLE_2)
	v_mul_lo_u32 v1, s2, v0
	s_mul_f32 s2, s3, 0x4f7ffffe
	s_sub_co_i32 s3, 0, s5
	s_cvt_u32_f32 s2, s2
	s_delay_alu instid0(SALU_CYCLE_3) | instskip(NEXT) | instid1(VALU_DEP_1)
	s_mul_i32 s3, s3, s2
	v_sub_nc_u32_e32 v2, v2, v1
	s_mul_hi_u32 s3, s2, s3
	s_delay_alu instid0(SALU_CYCLE_1)
	s_add_co_i32 s2, s2, s3
	s_delay_alu instid0(VALU_DEP_1) | instid1(SALU_CYCLE_1)
	v_mul_hi_u32 v1, v2, s2
	s_load_b32 s2, s[0:1], 0x68
	s_delay_alu instid0(VALU_DEP_1) | instskip(SKIP_2) | instid1(VALU_DEP_1)
	v_mul_lo_u32 v4, v1, s5
	s_wait_kmcnt 0x0
	s_cmp_eq_u32 s2, 0
	v_sub_nc_u32_e32 v4, v2, v4
	s_delay_alu instid0(VALU_DEP_1) | instskip(SKIP_1) | instid1(VALU_DEP_2)
	v_subrev_nc_u32_e32 v6, s5, v4
	v_cmp_le_u32_e32 vcc_lo, s5, v4
	v_dual_cndmask_b32 v4, v4, v6 :: v_dual_add_nc_u32 v5, 1, v1
	s_delay_alu instid0(VALU_DEP_1) | instskip(NEXT) | instid1(VALU_DEP_2)
	v_cndmask_b32_e32 v1, v1, v5, vcc_lo
	v_cmp_le_u32_e32 vcc_lo, s5, v4
	s_delay_alu instid0(VALU_DEP_2) | instskip(NEXT) | instid1(VALU_DEP_1)
	v_add_nc_u32_e32 v5, 1, v1
	v_cndmask_b32_e32 v4, v1, v5, vcc_lo
	s_cbranch_scc1 .LBB0_3
; %bb.2:
	s_load_b64 s[12:13], s[0:1], 0x60
	v_mov_b32_e32 v5, 0
	s_wait_kmcnt 0x0
	s_delay_alu instid0(VALU_DEP_1)
	v_lshl_add_u64 v[6:7], v[4:5], 3, s[12:13]
	global_load_b32 v1, v[6:7], off
	s_wait_loadcnt 0x0
	v_mul_lo_u32 v5, s2, v1
	s_branch .LBB0_4
.LBB0_3:
	v_mul_lo_u32 v1, v0, s16
	s_delay_alu instid0(VALU_DEP_1)
	v_mad_u32 v5, v4, s11, v1
.LBB0_4:
	v_mul_lo_u32 v6, v4, s5
	v_ashrrev_i32_e32 v1, 1, v3
	s_load_b128 s[12:15], s[0:1], 0x0
	s_mov_b32 s2, exec_lo
	s_delay_alu instid0(VALU_DEP_2) | instskip(NEXT) | instid1(VALU_DEP_2)
	v_sub_nc_u32_e32 v2, v2, v6
	v_mad_u32 v0, v0, s9, v1
	s_delay_alu instid0(VALU_DEP_2) | instskip(NEXT) | instid1(VALU_DEP_2)
	v_mul_lo_u32 v6, v2, s10
	v_mad_u32 v0, v4, s8, v0
	s_delay_alu instid0(VALU_DEP_1) | instskip(NEXT) | instid1(VALU_DEP_3)
	v_mad_u32 v2, v2, s7, v0
	v_add3_u32 v0, v6, v1, v5
	v_cmpx_le_i32_e64 s17, v3
	s_xor_b32 s2, exec_lo, s2
	s_cbranch_execz .LBB0_6
; %bb.5:
	s_delay_alu instid0(VALU_DEP_2)
	v_dual_add_nc_u32 v2, v2, v1 :: v_dual_add_nc_u32 v0, v0, v1
                                        ; implicit-def: $vgpr4
	s_wait_kmcnt 0x0
	global_load_b32 v3, v2, s[12:13] scale_offset
	s_wait_loadcnt 0x0
	global_store_b32 v0, v3, s[14:15] scale_offset
	global_load_b32 v1, v2, s[12:13] offset:4 scale_offset
                                        ; implicit-def: $vgpr2
                                        ; implicit-def: $vgpr3
	s_wait_loadcnt 0x0
	global_store_b32 v0, v1, s[14:15] offset:4 scale_offset
                                        ; implicit-def: $vgpr0
                                        ; implicit-def: $vgpr1
.LBB0_6:
	s_wait_xcnt 0x0
	s_and_not1_saveexec_b32 s2, s2
	s_cbranch_execz .LBB0_19
; %bb.7:
	s_load_b64 s[6:7], s[0:1], 0x50
	v_cvt_f32_i32_e32 v3, v3
	s_mov_b32 s4, 0x3e76c4e1
	s_clause 0x1
	s_load_b64 s[2:3], s[0:1], 0x38
	s_load_b128 s[8:11], s[0:1], 0x40
	v_mul_f32_e32 v3, 0.5, v3
	s_wait_kmcnt 0x0
	s_cmp_neq_f32 s7, 1.0
	global_load_b32 v22, v4, s[2:3] scale_offset
	s_cselect_b32 vcc_lo, -1, 0
	v_cndmask_b32_e32 v5, 1.0, v3, vcc_lo
	s_delay_alu instid0(VALU_DEP_1) | instskip(SKIP_1) | instid1(VALU_DEP_1)
	v_cmp_neq_f32_e32 vcc_lo, 0, v5
	v_cndmask_b32_e64 v3, 1.0, s7, vcc_lo
	v_frexp_mant_f32_e64 v6, |v3|
	v_cmp_lt_f32_e64 s7, |v3|, 1.0
	v_cmp_class_f32_e64 s0, v3, 0x204
	s_delay_alu instid0(VALU_DEP_3) | instskip(SKIP_1) | instid1(VALU_DEP_1)
	v_cmp_gt_f32_e32 vcc_lo, 0x3f2aaaab, v6
	v_cndmask_b32_e64 v7, 1.0, 2.0, vcc_lo
	v_mul_f32_e32 v6, v6, v7
	s_delay_alu instid0(VALU_DEP_1) | instskip(SKIP_1) | instid1(VALU_DEP_2)
	v_dual_add_f32 v9, 1.0, v6 :: v_dual_add_f32 v7, -1.0, v6
	v_cmp_neq_f32_e64 s5, v5, |v5|
	v_rcp_f32_e32 v12, v9
	v_add_f32_e32 v10, -1.0, v9
	s_xor_b32 s5, s5, s7
	s_delay_alu instid0(TRANS32_DEP_1) | instid1(VALU_DEP_1)
	v_dual_mul_f32 v13, v7, v12 :: v_dual_sub_f32 v6, v6, v10
	s_delay_alu instid0(VALU_DEP_1) | instskip(NEXT) | instid1(VALU_DEP_1)
	v_mul_f32_e32 v8, v9, v13
	v_fma_f32 v10, v13, v9, -v8
	s_delay_alu instid0(VALU_DEP_1) | instskip(NEXT) | instid1(VALU_DEP_1)
	v_fmac_f32_e32 v10, v13, v6
	v_add_f32_e32 v6, v8, v10
	s_delay_alu instid0(VALU_DEP_1) | instskip(NEXT) | instid1(VALU_DEP_1)
	v_dual_sub_f32 v9, v7, v6 :: v_dual_mov_b32 v11, v6
	v_pk_add_f32 v[6:7], v[6:7], v[8:9] neg_lo:[0,1] neg_hi:[0,1]
	s_delay_alu instid0(VALU_DEP_1) | instskip(NEXT) | instid1(VALU_DEP_1)
	v_pk_add_f32 v[6:7], v[6:7], v[10:11] neg_lo:[0,1] neg_hi:[0,1]
	v_add_f32_e32 v6, v6, v7
	s_delay_alu instid0(VALU_DEP_1) | instskip(NEXT) | instid1(VALU_DEP_1)
	v_add_f32_e32 v6, v9, v6
	v_mul_f32_e32 v7, v12, v6
	s_delay_alu instid0(VALU_DEP_1) | instskip(NEXT) | instid1(VALU_DEP_1)
	v_add_f32_e32 v6, v13, v7
	v_sub_f32_e32 v8, v6, v13
	s_delay_alu instid0(VALU_DEP_1) | instskip(NEXT) | instid1(VALU_DEP_1)
	v_sub_f32_e32 v18, v7, v8
	v_add_f32_e32 v8, v18, v18
	v_mul_f32_e32 v9, v6, v6
	s_delay_alu instid0(VALU_DEP_1) | instskip(NEXT) | instid1(VALU_DEP_1)
	v_fma_f32 v7, v6, v6, -v9
	v_fmac_f32_e32 v7, v6, v8
	s_delay_alu instid0(VALU_DEP_1) | instskip(NEXT) | instid1(VALU_DEP_1)
	v_add_f32_e32 v8, v9, v7
	v_dual_fmaak_f32 v10, s4, v8, 0x3e91f4c4 :: v_dual_sub_f32 v9, v8, v9
	v_cmp_eq_f32_e64 s4, 0, v3
	s_delay_alu instid0(VALU_DEP_2) | instskip(SKIP_1) | instid1(VALU_DEP_2)
	v_fmaak_f32 v12, v8, v10, 0x3ecccdef
	v_cvt_f64_f32_e64 v[10:11], |v3|
	v_dual_sub_f32 v16, v7, v9 :: v_dual_mul_f32 v13, v8, v12
	s_delay_alu instid0(VALU_DEP_1) | instskip(NEXT) | instid1(VALU_DEP_1)
	v_fma_f32 v7, v8, v12, -v13
	v_fmac_f32_e32 v7, v16, v12
	s_wait_xcnt 0x0
	s_delay_alu instid0(VALU_DEP_1) | instskip(NEXT) | instid1(VALU_DEP_1)
	v_add_f32_e32 v4, v13, v7
	v_sub_f32_e32 v9, v4, v13
	v_add_f32_e32 v13, 0x3f2aaaaa, v4
	s_delay_alu instid0(VALU_DEP_2) | instskip(NEXT) | instid1(VALU_DEP_2)
	v_sub_f32_e32 v7, v7, v9
	v_add_f32_e32 v9, 0xbf2aaaaa, v13
	v_frexp_exp_i32_f64_e32 v17, v[10:11]
	s_delay_alu instid0(VALU_DEP_3) | instskip(NEXT) | instid1(VALU_DEP_3)
	v_add_f32_e32 v7, 0x31739010, v7
	v_sub_f32_e32 v9, v4, v9
	s_delay_alu instid0(VALU_DEP_1) | instskip(NEXT) | instid1(VALU_DEP_1)
	v_pk_mul_f32 v[10:11], v[6:7], v[8:9]
	v_fma_f32 v12, v8, v6, -v10
	s_delay_alu instid0(VALU_DEP_1) | instskip(NEXT) | instid1(VALU_DEP_1)
	v_fmac_f32_e32 v12, v8, v18
	v_fmac_f32_e32 v12, v16, v6
	v_pk_add_f32 v[14:15], v[6:7], v[8:9]
	s_delay_alu instid0(VALU_DEP_1) | instskip(SKIP_1) | instid1(VALU_DEP_2)
	v_mov_b32_e32 v11, v15
	v_subrev_co_ci_u32_e64 v7, null, 0, v17, vcc_lo
	v_pk_add_f32 v[8:9], v[10:11], v[12:13]
	s_delay_alu instid0(VALU_DEP_1) | instskip(NEXT) | instid1(VALU_DEP_1)
	v_mov_b32_e32 v4, v9
	v_pk_mul_f32 v[16:17], v[8:9], v[4:5]
	v_sub_f32_e32 v11, v13, v9
	v_cvt_f32_i32_e32 v4, v7
	s_delay_alu instid0(VALU_DEP_3) | instskip(NEXT) | instid1(VALU_DEP_2)
	v_dual_sub_f32 v7, v8, v10 :: v_dual_fma_f32 v10, v8, v9, -v16
	v_dual_add_f32 v11, v15, v11 :: v_dual_mul_f32 v14, 0x3f317218, v4
	s_delay_alu instid0(VALU_DEP_2) | instskip(NEXT) | instid1(VALU_DEP_2)
	v_sub_f32_e32 v7, v12, v7
	v_fmac_f32_e32 v10, v8, v11
	s_delay_alu instid0(VALU_DEP_3) | instskip(NEXT) | instid1(VALU_DEP_2)
	v_fma_f32 v8, 0x3f317218, v4, -v14
	v_fmac_f32_e32 v10, v7, v9
	v_ldexp_f32 v9, v6, 1
	s_delay_alu instid0(VALU_DEP_2) | instskip(NEXT) | instid1(VALU_DEP_2)
	v_add_f32_e32 v15, v16, v10
	v_dual_fmamk_f32 v8, v4, 0xb102e308, v8 :: v_dual_mov_b32 v17, v9
	v_ldexp_f32 v4, v18, 1
	s_delay_alu instid0(VALU_DEP_3) | instskip(NEXT) | instid1(VALU_DEP_3)
	v_mov_b32_e32 v11, v15
	v_pk_add_f32 v[6:7], v[14:15], v[8:9]
	s_delay_alu instid0(VALU_DEP_1) | instskip(SKIP_1) | instid1(VALU_DEP_1)
	v_dual_mov_b32 v13, v7 :: v_dual_mov_b32 v9, v6
	v_dual_mov_b32 v12, v15 :: v_dual_mov_b32 v20, v7
	v_pk_add_f32 v[12:13], v[12:13], v[16:17] neg_lo:[0,1] neg_hi:[0,1]
	s_delay_alu instid0(VALU_DEP_1) | instskip(NEXT) | instid1(VALU_DEP_1)
	v_pk_add_f32 v[10:11], v[10:11], v[12:13] neg_lo:[0,1] neg_hi:[0,1]
	v_add_f32_e32 v4, v4, v10
	s_delay_alu instid0(VALU_DEP_1) | instskip(NEXT) | instid1(VALU_DEP_1)
	v_add_f32_e32 v15, v4, v11
	v_pk_add_f32 v[10:11], v[6:7], v[14:15]
	v_pk_add_f32 v[12:13], v[6:7], v[14:15] neg_lo:[0,1] neg_hi:[0,1]
	s_delay_alu instid0(VALU_DEP_2) | instskip(NEXT) | instid1(VALU_DEP_1)
	v_mov_b32_e32 v13, v11
	v_pk_add_f32 v[16:17], v[8:9], v[12:13]
	v_pk_add_f32 v[8:9], v[8:9], v[12:13] neg_lo:[0,1] neg_hi:[0,1]
	s_delay_alu instid0(VALU_DEP_2) | instskip(NEXT) | instid1(VALU_DEP_1)
	v_dual_mov_b32 v4, v17 :: v_dual_mov_b32 v9, v17
	v_pk_add_f32 v[18:19], v[4:5], v[6:7] neg_lo:[0,1] neg_hi:[0,1]
	v_dual_mov_b32 v16, v11 :: v_dual_mov_b32 v7, v6
	s_delay_alu instid0(VALU_DEP_2) | instskip(SKIP_1) | instid1(VALU_DEP_2)
	v_dual_mov_b32 v6, v15 :: v_dual_mov_b32 v21, v18
	v_mov_b32_e32 v15, v18
	v_pk_add_f32 v[12:13], v[16:17], v[20:21] neg_lo:[0,1] neg_hi:[0,1]
	s_delay_alu instid0(VALU_DEP_2) | instskip(SKIP_1) | instid1(VALU_DEP_3)
	v_pk_add_f32 v[10:11], v[10:11], v[14:15] neg_lo:[0,1] neg_hi:[0,1]
	v_mov_b32_e32 v10, v8
	v_pk_add_f32 v[6:7], v[6:7], v[12:13] neg_lo:[0,1] neg_hi:[0,1]
	s_delay_alu instid0(VALU_DEP_1) | instskip(NEXT) | instid1(VALU_DEP_1)
	v_pk_add_f32 v[10:11], v[10:11], v[6:7]
	v_mov_b32_e32 v12, v11
	s_delay_alu instid0(VALU_DEP_1) | instskip(NEXT) | instid1(VALU_DEP_1)
	v_pk_add_f32 v[12:13], v[10:11], v[12:13]
	v_pk_add_f32 v[14:15], v[4:5], v[12:13]
	s_delay_alu instid0(VALU_DEP_1) | instskip(NEXT) | instid1(VALU_DEP_1)
	v_dual_mov_b32 v7, v12 :: v_dual_mov_b32 v11, v14
	v_pk_add_f32 v[16:17], v[10:11], v[8:9] neg_lo:[0,1] neg_hi:[0,1]
	s_delay_alu instid0(VALU_DEP_1) | instskip(NEXT) | instid1(VALU_DEP_2)
	v_sub_f32_e32 v4, v10, v16
	v_pk_add_f32 v[6:7], v[6:7], v[16:17] neg_lo:[0,1] neg_hi:[0,1]
	s_delay_alu instid0(VALU_DEP_2) | instskip(NEXT) | instid1(VALU_DEP_1)
	v_sub_f32_e32 v4, v8, v4
	v_add_f32_e32 v4, v6, v4
	s_delay_alu instid0(VALU_DEP_1) | instskip(NEXT) | instid1(VALU_DEP_1)
	v_add_f32_e32 v4, v4, v7
	v_add_f32_e32 v6, v14, v4
	s_delay_alu instid0(VALU_DEP_1) | instskip(NEXT) | instid1(VALU_DEP_1)
	v_sub_f32_e32 v7, v6, v14
	v_dual_sub_f32 v4, v4, v7 :: v_dual_mul_f32 v8, v5, v6
	s_delay_alu instid0(VALU_DEP_1) | instskip(SKIP_1) | instid1(VALU_DEP_2)
	v_fma_f32 v6, v5, v6, -v8
	v_cmp_class_f32_e64 vcc_lo, v8, 0x204
	v_fmac_f32_e32 v6, v5, v4
	s_delay_alu instid0(VALU_DEP_1) | instskip(NEXT) | instid1(VALU_DEP_1)
	v_add_f32_e32 v4, v8, v6
	v_cndmask_b32_e32 v7, v4, v8, vcc_lo
	s_delay_alu instid0(VALU_DEP_1) | instskip(SKIP_1) | instid1(VALU_DEP_1)
	v_cmp_eq_f32_e32 vcc_lo, 0x42b17218, v7
	v_cndmask_b32_e64 v9, 0, 0x37000000, vcc_lo
	v_sub_f32_e32 v10, v7, v9
	s_delay_alu instid0(VALU_DEP_1) | instskip(NEXT) | instid1(VALU_DEP_1)
	v_mul_f32_e32 v11, 0x3fb8aa3b, v10
	v_fma_f32 v12, 0x3fb8aa3b, v10, -v11
	v_rndne_f32_e32 v13, v11
	s_delay_alu instid0(VALU_DEP_1) | instskip(SKIP_3) | instid1(VALU_DEP_4)
	v_dual_fmamk_f32 v12, v10, 0x32a5705f, v12 :: v_dual_sub_f32 v11, v11, v13
	v_sub_f32_e32 v4, v4, v8
	v_cmp_neq_f32_e64 vcc_lo, 0x7f800000, |v7|
	v_trunc_f32_e32 v7, v5
	v_add_f32_e32 v11, v11, v12
	s_delay_alu instid0(VALU_DEP_4) | instskip(NEXT) | instid1(VALU_DEP_2)
	v_sub_f32_e32 v4, v6, v4
	v_exp_f32_e32 v8, v11
	v_nop
	v_cvt_i32_f32_e32 v11, v13
	s_delay_alu instid0(VALU_DEP_3)
	v_cndmask_b32_e32 v4, 0, v4, vcc_lo
	v_cmp_ngt_f32_e32 vcc_lo, 0xc2ce8ed0, v10
	s_delay_alu instid0(TRANS32_DEP_1) | instid1(VALU_DEP_3)
	v_ldexp_f32 v6, v8, v11
	s_delay_alu instid0(VALU_DEP_1) | instskip(NEXT) | instid1(VALU_DEP_1)
	v_dual_mul_f32 v8, 0.5, v5 :: v_dual_cndmask_b32 v6, 0, v6, vcc_lo
	v_trunc_f32_e32 v11, v8
	v_cmp_nlt_f32_e32 vcc_lo, 0x42b17218, v10
	s_delay_alu instid0(VALU_DEP_2) | instskip(NEXT) | instid1(VALU_DEP_4)
	v_cmp_neq_f32_e64 s2, v11, v8
	v_cndmask_b32_e32 v6, 0x7f800000, v6, vcc_lo
	v_cmp_eq_f32_e32 vcc_lo, v7, v5
	s_delay_alu instid0(VALU_DEP_2) | instskip(SKIP_1) | instid1(SALU_CYCLE_1)
	v_cmp_class_f32_e64 s3, v6, 0x204
	s_and_b32 s2, vcc_lo, s2
	v_dual_add_f32 v4, v9, v4 :: v_dual_cndmask_b32 v9, 0, v3, s2
	s_delay_alu instid0(VALU_DEP_1) | instskip(NEXT) | instid1(VALU_DEP_1)
	v_dual_cndmask_b32 v7, 1.0, v3, s2 :: v_dual_fma_f32 v4, v6, v4, v6
	v_cndmask_b32_e64 v4, v4, v6, s3
	v_cndmask_b32_e64 v6, 0x7f800000, 0, s5
	v_cmp_gt_f32_e64 s3, 0, v5
	s_delay_alu instid0(VALU_DEP_3) | instskip(SKIP_1) | instid1(SALU_CYCLE_1)
	v_bfi_b32 v4, 0x7fffffff, v4, v7
	s_xor_b32 s3, s3, s4
	v_cndmask_b32_e64 v7, 0x7f800000, 0, s3
	s_delay_alu instid0(VALU_DEP_2) | instskip(SKIP_1) | instid1(VALU_DEP_3)
	v_cndmask_b32_e32 v8, 0x7fc00000, v4, vcc_lo
	v_cmp_neq_f32_e64 vcc_lo, |v3|, 1.0
	v_bfi_b32 v7, 0x7fffffff, v7, v9
	v_cndmask_b32_e32 v6, 1.0, v6, vcc_lo
	v_cmp_gt_f32_e32 vcc_lo, 0, v3
	v_cndmask_b32_e32 v4, v4, v8, vcc_lo
	v_cmp_class_f32_e64 vcc_lo, v5, 0x204
	s_wait_loadcnt 0x0
	v_cvt_f32_i32_e32 v5, v22
	s_delay_alu instid0(VALU_DEP_3) | instskip(SKIP_2) | instid1(VALU_DEP_1)
	v_cndmask_b32_e32 v4, v4, v6, vcc_lo
	s_or_b32 vcc_lo, s4, s0
	s_cmp_eq_f32 s9, 0
	v_cndmask_b32_e32 v4, v4, v7, vcc_lo
	v_cmp_o_f32_e32 vcc_lo, v3, v3
	s_delay_alu instid0(VALU_DEP_2) | instskip(NEXT) | instid1(VALU_DEP_1)
	v_cndmask_b32_e32 v3, 0x7fc00000, v4, vcc_lo
	v_mul_f32_e32 v4, v3, v5
	s_delay_alu instid0(VALU_DEP_1)
	v_mul_f32_e32 v5, s8, v4
	s_cbranch_scc1 .LBB0_9
; %bb.8:
	v_cvt_f32_i32_e32 v1, v1
	s_sub_f32 s0, s6, s11
	v_div_scale_f32 v6, null, s8, s8, 1.0
	s_delay_alu instid0(SALU_CYCLE_2) | instskip(SKIP_4) | instid1(VALU_DEP_3)
	s_max_num_f32 s1, s0, 0x3a83126f
	v_subrev_f32_e32 v1, s11, v1
	v_rcp_f32_e32 v8, v6
	v_nop
	v_xor_b32_e32 v6, 0x80000000, v6
	v_div_scale_f32 v3, null, s1, s1, v1
	s_delay_alu instid0(TRANS32_DEP_1) | instid1(VALU_DEP_2)
	v_fma_f32 v10, v6, v8, 1.0
	s_delay_alu instid0(VALU_DEP_2) | instskip(SKIP_1) | instid1(TRANS32_DEP_1)
	v_rcp_f32_e32 v7, v3
	v_nop
	v_fma_f32 v9, -v3, v7, 1.0
	s_delay_alu instid0(VALU_DEP_1) | instskip(SKIP_2) | instid1(VALU_DEP_2)
	v_fmac_f32_e32 v7, v9, v7
	v_div_scale_f32 v11, vcc_lo, v1, s1, v1
	v_div_scale_f32 v9, s0, 1.0, s8, 1.0
	v_dual_fmac_f32 v8, v10, v8 :: v_dual_mul_f32 v10, v11, v7
	s_delay_alu instid0(VALU_DEP_1) | instskip(NEXT) | instid1(VALU_DEP_1)
	v_dual_mul_f32 v12, v9, v8 :: v_dual_fma_f32 v13, -v3, v10, v11
	v_dual_fma_f32 v14, v6, v12, v9 :: v_dual_fmac_f32 v10, v13, v7
	s_delay_alu instid0(VALU_DEP_1) | instskip(NEXT) | instid1(VALU_DEP_1)
	v_dual_fmac_f32 v12, v14, v8 :: v_dual_fma_f32 v3, -v3, v10, v11
	v_fmac_f32_e32 v9, v6, v12
	s_delay_alu instid0(VALU_DEP_2) | instskip(SKIP_1) | instid1(VALU_DEP_2)
	v_div_fmas_f32 v3, v3, v7, v10
	s_mov_b32 vcc_lo, s0
	v_div_fmas_f32 v6, v9, v8, v12
	s_delay_alu instid0(VALU_DEP_2) | instskip(NEXT) | instid1(VALU_DEP_2)
	v_div_fixup_f32 v1, v3, s1, v1 clamp
	v_div_fixup_f32 v6, v6, s8, 1.0
	s_delay_alu instid0(VALU_DEP_1) | instskip(SKIP_2) | instid1(SALU_CYCLE_1)
	v_readfirstlane_b32 s0, v6
	s_cmp_lt_f32 s0, 0x800000
	s_cselect_b32 s0, 0x4f800000, 1.0
	v_mul_f32_e32 v6, s0, v6
	s_cselect_b32 s0, 0x41b17218, 0
	s_delay_alu instid0(VALU_DEP_1) | instskip(SKIP_1) | instid1(TRANS32_DEP_1)
	v_log_f32_e32 v6, v6
	v_nop
	v_and_b32_e32 v3, 0x7fffffff, v6
	s_delay_alu instid0(VALU_DEP_1) | instskip(SKIP_2) | instid1(VALU_DEP_1)
	v_cmp_gt_f32_e32 vcc_lo, 0x7f800000, v3
	v_sub_f32_e32 v1, 1.0, v1
	v_mul_f32_e32 v7, 0x3f317217, v6
	v_xor_b32_e32 v7, 0x80000000, v7
	s_delay_alu instid0(VALU_DEP_1) | instskip(NEXT) | instid1(VALU_DEP_1)
	v_fmac_f32_e32 v7, 0x3f317217, v6
	v_fmamk_f32 v7, v6, 0x3377d1cf, v7
	s_delay_alu instid0(VALU_DEP_1) | instskip(NEXT) | instid1(VALU_DEP_1)
	v_fmac_f32_e32 v7, 0x3f317217, v6
	v_dual_cndmask_b32 v3, v6, v7 :: v_dual_mul_f32 v6, s9, v1
	v_fma_f32 v7, -s9, v1, 1.0
	s_delay_alu instid0(VALU_DEP_2) | instskip(NEXT) | instid1(VALU_DEP_2)
	v_dual_mov_b32 v1, 1.0 :: v_dual_subrev_f32 v3, s0, v3
	v_pk_mul_f32 v[4:5], v[6:7], v[4:5]
	s_delay_alu instid0(VALU_DEP_2) | instskip(NEXT) | instid1(VALU_DEP_2)
	v_fmamk_f32 v1, v3, 0x3dcccccd, v1
	v_add_f32_e32 v5, v4, v5
	s_delay_alu instid0(VALU_DEP_2)
	v_mul_f32_e32 v6, s10, v1
	s_branch .LBB0_10
.LBB0_9:
	v_mov_b32_e32 v6, s10
.LBB0_10:
	s_delay_alu instid0(VALU_DEP_2) | instskip(SKIP_1) | instid1(VALU_DEP_2)
	v_and_b32_e32 v1, 0x7fffffff, v5
	v_cmp_ngt_f32_e64 s2, 0x48000000, |v5|
                                        ; implicit-def: $vgpr7
                                        ; implicit-def: $vgpr4
	v_lshrrev_b32_e32 v3, 23, v1
	s_and_saveexec_b32 s0, s2
	s_delay_alu instid0(SALU_CYCLE_1)
	s_xor_b32 s3, exec_lo, s0
	s_cbranch_execz .LBB0_12
; %bb.11:
	s_mov_b32 s0, 0x7fffff
	v_mov_b32_e32 v9, 0
	v_and_or_b32 v8, v1, s0, 0x800000
	s_mov_b64 s[0:1], 0xfe5163ab
	s_delay_alu instid0(VALU_DEP_1) | instid1(SALU_CYCLE_1)
	v_mul_u64_e32 v[10:11], s[0:1], v[8:9]
	s_delay_alu instid0(VALU_DEP_1) | instskip(SKIP_2) | instid1(VALU_DEP_3)
	v_dual_mov_b32 v12, v11 :: v_dual_mov_b32 v13, v9
	v_dual_mov_b32 v15, v9 :: v_dual_mov_b32 v17, v9
	;; [unrolled: 1-line block ×3, first 2 shown]
	v_mad_nc_u64_u32 v[12:13], 0x3c439041, v8, v[12:13]
	s_delay_alu instid0(VALU_DEP_1) | instskip(NEXT) | instid1(VALU_DEP_1)
	v_dual_mov_b32 v23, v9 :: v_dual_mov_b32 v14, v13
	v_mad_nc_u64_u32 v[14:15], 0xdb629599, v8, v[14:15]
	s_delay_alu instid0(VALU_DEP_1) | instskip(NEXT) | instid1(VALU_DEP_1)
	v_mov_b32_e32 v16, v15
	v_mad_nc_u64_u32 v[16:17], 0xf534ddc0, v8, v[16:17]
	s_delay_alu instid0(VALU_DEP_1) | instskip(NEXT) | instid1(VALU_DEP_1)
	v_mov_b32_e32 v18, v17
	;; [unrolled: 3-line block ×3, first 2 shown]
	v_mad_nc_u64_u32 v[20:21], 0x4e441529, v8, v[20:21]
	v_add_nc_u32_e32 v4, 0xffffff88, v3
	s_delay_alu instid0(VALU_DEP_1) | instskip(SKIP_1) | instid1(VALU_DEP_4)
	v_cmp_lt_u32_e32 vcc_lo, 63, v4
	v_cndmask_b32_e64 v7, 0, 0xffffffc0, vcc_lo
	v_dual_cndmask_b32 v11, v20, v16 :: v_dual_mov_b32 v22, v21
	s_delay_alu instid0(VALU_DEP_2) | instskip(NEXT) | instid1(VALU_DEP_2)
	v_dual_cndmask_b32 v13, v18, v14 :: v_dual_add_nc_u32 v4, v7, v4
	v_mad_nc_u64_u32 v[8:9], 0xa2f9836e, v8, v[22:23]
	s_delay_alu instid0(VALU_DEP_2) | instskip(NEXT) | instid1(VALU_DEP_1)
	v_cmp_lt_u32_e64 s0, 31, v4
	v_cndmask_b32_e64 v7, 0, 0xffffffe0, s0
	s_delay_alu instid0(VALU_DEP_3) | instskip(NEXT) | instid1(VALU_DEP_2)
	v_dual_cndmask_b32 v8, v8, v18 :: v_dual_cndmask_b32 v9, v9, v20
	v_add_nc_u32_e32 v4, v7, v4
	s_delay_alu instid0(VALU_DEP_1) | instskip(NEXT) | instid1(VALU_DEP_1)
	v_cmp_lt_u32_e64 s1, 31, v4
	v_cndmask_b32_e64 v7, 0, 0xffffffe0, s1
	s_delay_alu instid0(VALU_DEP_1) | instskip(SKIP_2) | instid1(VALU_DEP_3)
	v_add_nc_u32_e32 v4, v7, v4
	v_cndmask_b32_e32 v7, v16, v12, vcc_lo
	v_dual_cndmask_b32 v12, v8, v11, s0 :: v_dual_cndmask_b32 v8, v9, v8, s0
	v_dual_cndmask_b32 v9, v11, v13, s0 :: v_dual_sub_nc_u32 v11, 32, v4
	s_delay_alu instid0(VALU_DEP_2) | instskip(NEXT) | instid1(VALU_DEP_2)
	v_dual_cndmask_b32 v13, v13, v7, s0 :: v_dual_cndmask_b32 v8, v8, v12, s1
	v_cndmask_b32_e64 v12, v12, v9, s1
	s_delay_alu instid0(VALU_DEP_2) | instskip(NEXT) | instid1(VALU_DEP_2)
	v_cndmask_b32_e64 v9, v9, v13, s1
	v_alignbit_b32 v15, v8, v12, v11
	v_cndmask_b32_e32 v10, v14, v10, vcc_lo
	v_cmp_eq_u32_e32 vcc_lo, 0, v4
	s_delay_alu instid0(VALU_DEP_4) | instskip(NEXT) | instid1(VALU_DEP_4)
	v_alignbit_b32 v14, v12, v9, v11
	v_cndmask_b32_e32 v4, v15, v8, vcc_lo
	s_delay_alu instid0(VALU_DEP_2) | instskip(NEXT) | instid1(VALU_DEP_2)
	v_dual_cndmask_b32 v7, v7, v10, s0 :: v_dual_cndmask_b32 v8, v14, v12, vcc_lo
	v_bfe_u32 v10, v4, 29, 1
	s_delay_alu instid0(VALU_DEP_2) | instskip(NEXT) | instid1(VALU_DEP_3)
	v_cndmask_b32_e64 v7, v13, v7, s1
	v_alignbit_b32 v12, v4, v8, 30
	s_delay_alu instid0(VALU_DEP_3) | instskip(NEXT) | instid1(VALU_DEP_3)
	v_sub_nc_u32_e32 v13, 0, v10
	v_alignbit_b32 v11, v9, v7, v11
	s_delay_alu instid0(VALU_DEP_2) | instskip(NEXT) | instid1(VALU_DEP_2)
	v_xor_b32_e32 v12, v12, v13
	v_cndmask_b32_e32 v9, v11, v9, vcc_lo
	s_delay_alu instid0(VALU_DEP_2) | instskip(NEXT) | instid1(VALU_DEP_2)
	v_clz_i32_u32_e32 v11, v12
	v_alignbit_b32 v8, v8, v9, 30
	v_alignbit_b32 v7, v9, v7, 30
	s_delay_alu instid0(VALU_DEP_3) | instskip(NEXT) | instid1(VALU_DEP_3)
	v_min_u32_e32 v11, 32, v11
	v_xor_b32_e32 v8, v8, v13
	s_delay_alu instid0(VALU_DEP_3) | instskip(NEXT) | instid1(VALU_DEP_3)
	v_dual_lshrrev_b32 v13, 29, v4 :: v_dual_bitop2_b32 v7, v7, v13 bitop3:0x14
	v_dual_sub_nc_u32 v9, 31, v11 :: v_dual_lshlrev_b32 v14, 23, v11
	s_delay_alu instid0(VALU_DEP_1) | instskip(NEXT) | instid1(VALU_DEP_3)
	v_alignbit_b32 v12, v12, v8, v9
	v_alignbit_b32 v7, v8, v7, v9
	s_delay_alu instid0(VALU_DEP_4) | instskip(NEXT) | instid1(VALU_DEP_2)
	v_lshlrev_b32_e32 v8, 31, v13
	v_alignbit_b32 v9, v12, v7, 9
	s_delay_alu instid0(VALU_DEP_2) | instskip(SKIP_2) | instid1(VALU_DEP_4)
	v_or_b32_e32 v13, 0.5, v8
	v_lshrrev_b32_e32 v12, 9, v12
	v_or_b32_e32 v8, 0x33000000, v8
	v_clz_i32_u32_e32 v15, v9
	s_delay_alu instid0(VALU_DEP_4) | instskip(NEXT) | instid1(VALU_DEP_2)
	v_sub_nc_u32_e32 v13, v13, v14
	v_min_u32_e32 v14, 32, v15
	s_delay_alu instid0(VALU_DEP_2) | instskip(NEXT) | instid1(VALU_DEP_2)
	v_or_b32_e32 v12, v12, v13
	v_not_b32_e32 v13, v14
	v_add_lshl_u32 v11, v14, v11, 23
	s_delay_alu instid0(VALU_DEP_2) | instskip(NEXT) | instid1(VALU_DEP_2)
	v_alignbit_b32 v7, v9, v7, v13
	v_sub_nc_u32_e32 v8, v8, v11
	s_delay_alu instid0(VALU_DEP_2) | instskip(SKIP_1) | instid1(VALU_DEP_2)
	v_lshrrev_b32_e32 v7, 9, v7
	v_mul_f32_e32 v15, 0x3fc90fda, v12
	v_or_b32_e32 v7, v8, v7
	s_delay_alu instid0(VALU_DEP_2) | instskip(NEXT) | instid1(VALU_DEP_1)
	v_fma_f32 v9, 0x3fc90fda, v12, -v15
	v_fmamk_f32 v9, v12, 0x33a22168, v9
	s_delay_alu instid0(VALU_DEP_1) | instskip(NEXT) | instid1(VALU_DEP_1)
	v_fmac_f32_e32 v9, 0x3fc90fda, v7
	v_dual_add_f32 v4, v15, v9 :: v_dual_lshrrev_b32 v7, 30, v4
	s_delay_alu instid0(VALU_DEP_1)
	v_add_nc_u32_e32 v7, v10, v7
	s_or_saveexec_b32 s0, s3
	v_mul_f32_e64 v10, 0x3f22f983, |v5|
	s_xor_b32 exec_lo, exec_lo, s0
	s_branch .LBB0_13
.LBB0_12:
	s_or_saveexec_b32 s0, s3
	v_mul_f32_e64 v10, 0x3f22f983, |v5|
	s_xor_b32 exec_lo, exec_lo, s0
.LBB0_13:
	s_delay_alu instid0(VALU_DEP_1) | instskip(NEXT) | instid1(VALU_DEP_1)
	v_rndne_f32_e32 v7, v10
	v_fma_f32 v4, 0xbfc90fda, v7, |v5|
	s_delay_alu instid0(VALU_DEP_1) | instskip(NEXT) | instid1(VALU_DEP_1)
	v_fmamk_f32 v4, v7, 0xb3a22168, v4
	v_fmamk_f32 v4, v7, 0xa7c234c4, v4
	v_cvt_i32_f32_e32 v7, v7
; %bb.14:
	s_or_b32 exec_lo, exec_lo, s0
                                        ; implicit-def: $vgpr9
                                        ; implicit-def: $vgpr8
	s_and_saveexec_b32 s0, s2
	s_delay_alu instid0(SALU_CYCLE_1)
	s_xor_b32 s2, exec_lo, s0
	s_cbranch_execz .LBB0_16
; %bb.15:
	s_mov_b32 s0, 0x7fffff
	v_mov_b32_e32 v9, 0
	v_and_or_b32 v8, v1, s0, 0x800000
	s_mov_b64 s[0:1], 0xfe5163ab
	v_add_nc_u32_e32 v3, 0xffffff88, v3
	s_delay_alu instid0(VALU_DEP_2) | instskip(NEXT) | instid1(VALU_DEP_2)
	v_mul_u64_e32 v[10:11], s[0:1], v[8:9]
	v_cmp_lt_u32_e32 vcc_lo, 63, v3
	s_delay_alu instid0(VALU_DEP_2) | instskip(SKIP_2) | instid1(VALU_DEP_3)
	v_dual_mov_b32 v12, v11 :: v_dual_mov_b32 v13, v9
	v_dual_mov_b32 v15, v9 :: v_dual_mov_b32 v17, v9
	;; [unrolled: 1-line block ×3, first 2 shown]
	v_mad_nc_u64_u32 v[12:13], 0x3c439041, v8, v[12:13]
	v_cndmask_b32_e64 v11, 0, 0xffffffc0, vcc_lo
	s_delay_alu instid0(VALU_DEP_1) | instskip(NEXT) | instid1(VALU_DEP_3)
	v_dual_mov_b32 v23, v9 :: v_dual_add_nc_u32 v3, v11, v3
	v_mov_b32_e32 v14, v13
	s_delay_alu instid0(VALU_DEP_2) | instskip(NEXT) | instid1(VALU_DEP_2)
	v_cmp_lt_u32_e64 s0, 31, v3
	v_mad_nc_u64_u32 v[14:15], 0xdb629599, v8, v[14:15]
	s_delay_alu instid0(VALU_DEP_2) | instskip(NEXT) | instid1(VALU_DEP_1)
	v_cndmask_b32_e64 v11, 0, 0xffffffe0, s0
	v_add_nc_u32_e32 v3, v11, v3
	s_delay_alu instid0(VALU_DEP_3) | instskip(NEXT) | instid1(VALU_DEP_2)
	v_mov_b32_e32 v16, v15
	v_cmp_lt_u32_e64 s1, 31, v3
	v_cndmask_b32_e32 v10, v14, v10, vcc_lo
	s_delay_alu instid0(VALU_DEP_3) | instskip(NEXT) | instid1(VALU_DEP_3)
	v_mad_nc_u64_u32 v[16:17], 0xf534ddc0, v8, v[16:17]
	v_cndmask_b32_e64 v11, 0, 0xffffffe0, s1
	s_delay_alu instid0(VALU_DEP_1) | instskip(NEXT) | instid1(VALU_DEP_3)
	v_dual_add_nc_u32 v3, v11, v3 :: v_dual_cndmask_b32 v11, v16, v12, vcc_lo
	v_mov_b32_e32 v18, v17
	s_delay_alu instid0(VALU_DEP_1) | instskip(NEXT) | instid1(VALU_DEP_1)
	v_mad_nc_u64_u32 v[18:19], 0xfc2757d1, v8, v[18:19]
	v_dual_mov_b32 v20, v19 :: v_dual_cndmask_b32 v15, v18, v14
	s_delay_alu instid0(VALU_DEP_1) | instskip(NEXT) | instid1(VALU_DEP_1)
	v_mad_nc_u64_u32 v[20:21], 0x4e441529, v8, v[20:21]
	v_dual_mov_b32 v22, v21 :: v_dual_cndmask_b32 v13, v20, v16
	s_delay_alu instid0(VALU_DEP_1) | instskip(NEXT) | instid1(VALU_DEP_1)
	v_mad_nc_u64_u32 v[8:9], 0xa2f9836e, v8, v[22:23]
	v_dual_cndmask_b32 v8, v8, v18 :: v_dual_cndmask_b32 v9, v9, v20
	v_cmp_eq_u32_e32 vcc_lo, 0, v3
	s_delay_alu instid0(VALU_DEP_2) | instskip(SKIP_2) | instid1(VALU_DEP_3)
	v_dual_cndmask_b32 v12, v8, v13, s0 :: v_dual_cndmask_b32 v8, v9, v8, s0
	v_cndmask_b32_e64 v9, v13, v15, s0
	v_sub_nc_u32_e32 v13, 32, v3
	v_dual_cndmask_b32 v15, v15, v11, s0 :: v_dual_cndmask_b32 v8, v8, v12, s1
	s_delay_alu instid0(VALU_DEP_3) | instskip(NEXT) | instid1(VALU_DEP_1)
	v_cndmask_b32_e64 v12, v12, v9, s1
	v_alignbit_b32 v16, v8, v12, v13
	s_delay_alu instid0(VALU_DEP_1) | instskip(NEXT) | instid1(VALU_DEP_1)
	v_dual_cndmask_b32 v9, v9, v15, s1 :: v_dual_cndmask_b32 v3, v16, v8, vcc_lo
	v_alignbit_b32 v14, v12, v9, v13
	v_cndmask_b32_e64 v8, v11, v10, s0
	s_delay_alu instid0(VALU_DEP_3) | instskip(NEXT) | instid1(VALU_DEP_3)
	v_bfe_u32 v11, v3, 29, 1
	v_cndmask_b32_e32 v10, v14, v12, vcc_lo
	s_delay_alu instid0(VALU_DEP_2) | instskip(NEXT) | instid1(VALU_DEP_2)
	v_dual_cndmask_b32 v8, v15, v8, s1 :: v_dual_sub_nc_u32 v14, 0, v11
	v_alignbit_b32 v12, v3, v10, 30
	s_delay_alu instid0(VALU_DEP_2) | instskip(NEXT) | instid1(VALU_DEP_1)
	v_alignbit_b32 v13, v9, v8, v13
	v_dual_cndmask_b32 v9, v13, v9, vcc_lo :: v_dual_bitop2_b32 v12, v12, v14 bitop3:0x14
	s_delay_alu instid0(VALU_DEP_1) | instskip(NEXT) | instid1(VALU_DEP_2)
	v_clz_i32_u32_e32 v13, v12
	v_alignbit_b32 v10, v10, v9, 30
	v_alignbit_b32 v8, v9, v8, 30
	s_delay_alu instid0(VALU_DEP_3) | instskip(NEXT) | instid1(VALU_DEP_3)
	v_min_u32_e32 v13, 32, v13
	v_xor_b32_e32 v9, v10, v14
	s_delay_alu instid0(VALU_DEP_3) | instskip(NEXT) | instid1(VALU_DEP_3)
	v_dual_lshrrev_b32 v14, 29, v3 :: v_dual_bitop2_b32 v8, v8, v14 bitop3:0x14
	v_dual_lshrrev_b32 v3, 30, v3 :: v_dual_sub_nc_u32 v10, 31, v13
	v_lshlrev_b32_e32 v15, 23, v13
	s_delay_alu instid0(VALU_DEP_2) | instskip(NEXT) | instid1(VALU_DEP_4)
	v_alignbit_b32 v12, v12, v9, v10
	v_alignbit_b32 v8, v9, v8, v10
	v_lshlrev_b32_e32 v9, 31, v14
	s_delay_alu instid0(VALU_DEP_2) | instskip(NEXT) | instid1(VALU_DEP_2)
	v_alignbit_b32 v10, v12, v8, 9
	v_dual_lshrrev_b32 v12, 9, v12 :: v_dual_bitop2_b32 v14, 0.5, v9 bitop3:0x54
	v_or_b32_e32 v9, 0x33000000, v9
	s_delay_alu instid0(VALU_DEP_3) | instskip(NEXT) | instid1(VALU_DEP_3)
	v_clz_i32_u32_e32 v16, v10
	v_sub_nc_u32_e32 v14, v14, v15
	s_delay_alu instid0(VALU_DEP_2) | instskip(NEXT) | instid1(VALU_DEP_1)
	v_min_u32_e32 v15, 32, v16
	v_add_lshl_u32 v13, v15, v13, 23
	s_delay_alu instid0(VALU_DEP_1) | instskip(SKIP_1) | instid1(VALU_DEP_1)
	v_dual_sub_nc_u32 v9, v9, v13 :: v_dual_bitop2_b32 v12, v12, v14 bitop3:0x54
	v_not_b32_e32 v14, v15
	v_alignbit_b32 v8, v10, v8, v14
	s_delay_alu instid0(VALU_DEP_1) | instskip(NEXT) | instid1(VALU_DEP_4)
	v_lshrrev_b32_e32 v8, 9, v8
	v_mul_f32_e32 v16, 0x3fc90fda, v12
	s_delay_alu instid0(VALU_DEP_2) | instskip(NEXT) | instid1(VALU_DEP_2)
	v_or_b32_e32 v8, v9, v8
	v_fma_f32 v10, 0x3fc90fda, v12, -v16
	s_delay_alu instid0(VALU_DEP_1) | instskip(NEXT) | instid1(VALU_DEP_1)
	v_dual_fmamk_f32 v10, v12, 0x33a22168, v10 :: v_dual_add_nc_u32 v9, v11, v3
	v_fmac_f32_e32 v10, 0x3fc90fda, v8
	s_delay_alu instid0(VALU_DEP_1)
	v_add_f32_e32 v8, v16, v10
                                        ; implicit-def: $vgpr10
	s_and_not1_saveexec_b32 s0, s2
	s_cbranch_execnz .LBB0_17
	s_branch .LBB0_18
.LBB0_16:
	s_and_not1_saveexec_b32 s0, s2
.LBB0_17:
	v_rndne_f32_e32 v3, v10
	s_delay_alu instid0(VALU_DEP_1) | instskip(SKIP_1) | instid1(VALU_DEP_2)
	v_fma_f32 v8, 0xbfc90fda, v3, |v5|
	v_cvt_i32_f32_e32 v9, v3
	v_fmamk_f32 v8, v3, 0xb3a22168, v8
	s_delay_alu instid0(VALU_DEP_1)
	v_fmamk_f32 v8, v3, 0xa7c234c4, v8
.LBB0_18:
	s_or_b32 exec_lo, exec_lo, s0
	v_ashrrev_i32_e32 v3, 31, v2
	s_lshr_b32 s0, s17, 31
	s_mov_b32 s2, 0xb94c1982
	s_add_co_i32 s0, s17, s0
	s_mov_b32 s3, 0x37d75334
	s_ashr_i32 s0, s0, 1
	v_lshl_add_u64 v[10:11], v[2:3], 2, s[12:13]
	s_ashr_i32 s1, s0, 31
	v_mul_f32_e32 v3, v8, v8
	s_lshl_b64 s[0:1], s[0:1], 2
	s_delay_alu instid0(VALU_DEP_2) | instid1(SALU_CYCLE_1)
	v_add_nc_u64_e32 v[10:11], s[0:1], v[10:11]
	s_clause 0x1
	global_load_b32 v12, v[10:11], off
	global_load_b32 v13, v2, s[12:13] scale_offset
	s_wait_xcnt 0x0
	v_dual_mul_f32 v2, v4, v4 :: v_dual_bitop2_b32 v10, 1, v7 bitop3:0x40
	v_fmaak_f32 v15, s2, v3, 0x3c0881c4
	v_lshlrev_b32_e32 v7, 30, v7
	v_fmaak_f32 v16, s3, v3, 0xbab64f3b
	s_delay_alu instid0(VALU_DEP_4) | instskip(SKIP_2) | instid1(VALU_DEP_1)
	v_fmaak_f32 v14, s3, v2, 0xbab64f3b
	v_cmp_eq_u32_e32 vcc_lo, 0, v10
	v_fmaak_f32 v15, v3, v15, 0xbe2aaa9d
	v_dual_fmaak_f32 v14, v2, v14, 0x3d2aabf7 :: v_dual_mul_f32 v15, v3, v15
	s_delay_alu instid0(VALU_DEP_1) | instskip(NEXT) | instid1(VALU_DEP_1)
	v_dual_fmaak_f32 v11, s2, v2, 0x3c0881c4 :: v_dual_fmac_f32 v8, v8, v15
	v_fmaak_f32 v11, v2, v11, 0xbe2aaa9d
	v_dual_lshlrev_b32 v9, 30, v9 :: v_dual_bitop2_b32 v17, 1, v9 bitop3:0x40
	s_delay_alu instid0(VALU_DEP_2) | instskip(SKIP_1) | instid1(VALU_DEP_3)
	v_dual_fmaak_f32 v16, v3, v16, 0x3d2aabf7 :: v_dual_mul_f32 v11, v2, v11
	v_xor_b32_e32 v1, v1, v5
	v_and_b32_e32 v9, 0x80000000, v9
	s_delay_alu instid0(VALU_DEP_3) | instskip(NEXT) | instid1(VALU_DEP_4)
	v_fmaak_f32 v16, v3, v16, 0xbf000004
	v_fmac_f32_e32 v4, v4, v11
	s_delay_alu instid0(VALU_DEP_2) | instskip(SKIP_1) | instid1(VALU_DEP_1)
	v_fma_f32 v3, v3, v16, 1.0
	v_fmaak_f32 v14, v2, v14, 0xbf000004
	v_fma_f32 v2, v2, v14, 1.0
	s_delay_alu instid0(VALU_DEP_1) | instskip(SKIP_1) | instid1(VALU_DEP_2)
	v_cndmask_b32_e64 v2, -v4, v2, vcc_lo
	v_cmp_eq_u32_e32 vcc_lo, 0, v17
	v_bitop3_b32 v2, v7, v2, 0x80000000 bitop3:0x6c
	v_cndmask_b32_e32 v3, v3, v8, vcc_lo
	v_cmp_class_f32_e64 vcc_lo, v5, 0x1f8
	s_delay_alu instid0(VALU_DEP_2) | instskip(NEXT) | instid1(VALU_DEP_4)
	v_xor3_b32 v1, v1, v9, v3
	v_cndmask_b32_e32 v4, 0x7fc00000, v2, vcc_lo
	s_delay_alu instid0(VALU_DEP_2) | instskip(NEXT) | instid1(VALU_DEP_1)
	v_dual_cndmask_b32 v2, 0x7fc00000, v1 :: v_dual_ashrrev_i32 v1, 31, v0
	v_mul_f32_e32 v5, v6, v2
	s_delay_alu instid0(VALU_DEP_2) | instskip(NEXT) | instid1(VALU_DEP_4)
	v_lshl_add_u64 v[2:3], v[0:1], 2, s[14:15]
	v_mul_f32_e32 v1, v6, v4
	s_delay_alu instid0(VALU_DEP_2) | instskip(SKIP_2) | instid1(VALU_DEP_1)
	v_add_nc_u64_e32 v[2:3], s[0:1], v[2:3]
	s_wait_loadcnt 0x0
	v_dual_mul_f32 v4, v12, v5 :: v_dual_mul_f32 v5, v13, v5
	v_dual_fma_f32 v4, v1, v13, -v4 :: v_dual_fmac_f32 v5, v1, v12
	s_clause 0x1
	global_store_b32 v0, v4, s[14:15] scale_offset
	global_store_b32 v[2:3], v5, off
.LBB0_19:
	s_endpgm
	.section	.rodata,"a",@progbits
	.p2align	6, 0x0
	.amdhsa_kernel _ZL9rope_neoxILb1ELb0EffEvPKT1_PT2_iiiiiiiiiiPKifff14rope_corr_dimsfPKfPKli
		.amdhsa_group_segment_fixed_size 0
		.amdhsa_private_segment_fixed_size 0
		.amdhsa_kernarg_size 368
		.amdhsa_user_sgpr_count 2
		.amdhsa_user_sgpr_dispatch_ptr 0
		.amdhsa_user_sgpr_queue_ptr 0
		.amdhsa_user_sgpr_kernarg_segment_ptr 1
		.amdhsa_user_sgpr_dispatch_id 0
		.amdhsa_user_sgpr_kernarg_preload_length 0
		.amdhsa_user_sgpr_kernarg_preload_offset 0
		.amdhsa_user_sgpr_private_segment_size 0
		.amdhsa_wavefront_size32 1
		.amdhsa_uses_dynamic_stack 0
		.amdhsa_enable_private_segment 0
		.amdhsa_system_sgpr_workgroup_id_x 1
		.amdhsa_system_sgpr_workgroup_id_y 1
		.amdhsa_system_sgpr_workgroup_id_z 0
		.amdhsa_system_sgpr_workgroup_info 0
		.amdhsa_system_vgpr_workitem_id 1
		.amdhsa_next_free_vgpr 24
		.amdhsa_next_free_sgpr 18
		.amdhsa_named_barrier_count 0
		.amdhsa_reserve_vcc 1
		.amdhsa_float_round_mode_32 0
		.amdhsa_float_round_mode_16_64 0
		.amdhsa_float_denorm_mode_32 3
		.amdhsa_float_denorm_mode_16_64 3
		.amdhsa_fp16_overflow 0
		.amdhsa_memory_ordered 1
		.amdhsa_forward_progress 1
		.amdhsa_inst_pref_size 37
		.amdhsa_round_robin_scheduling 0
		.amdhsa_exception_fp_ieee_invalid_op 0
		.amdhsa_exception_fp_denorm_src 0
		.amdhsa_exception_fp_ieee_div_zero 0
		.amdhsa_exception_fp_ieee_overflow 0
		.amdhsa_exception_fp_ieee_underflow 0
		.amdhsa_exception_fp_ieee_inexact 0
		.amdhsa_exception_int_div_zero 0
	.end_amdhsa_kernel
	.section	.text._ZL9rope_neoxILb1ELb0EffEvPKT1_PT2_iiiiiiiiiiPKifff14rope_corr_dimsfPKfPKli,"axG",@progbits,_ZL9rope_neoxILb1ELb0EffEvPKT1_PT2_iiiiiiiiiiPKifff14rope_corr_dimsfPKfPKli,comdat
.Lfunc_end0:
	.size	_ZL9rope_neoxILb1ELb0EffEvPKT1_PT2_iiiiiiiiiiPKifff14rope_corr_dimsfPKfPKli, .Lfunc_end0-_ZL9rope_neoxILb1ELb0EffEvPKT1_PT2_iiiiiiiiiiPKifff14rope_corr_dimsfPKfPKli
                                        ; -- End function
	.set _ZL9rope_neoxILb1ELb0EffEvPKT1_PT2_iiiiiiiiiiPKifff14rope_corr_dimsfPKfPKli.num_vgpr, 24
	.set _ZL9rope_neoxILb1ELb0EffEvPKT1_PT2_iiiiiiiiiiPKifff14rope_corr_dimsfPKfPKli.num_agpr, 0
	.set _ZL9rope_neoxILb1ELb0EffEvPKT1_PT2_iiiiiiiiiiPKifff14rope_corr_dimsfPKfPKli.numbered_sgpr, 18
	.set _ZL9rope_neoxILb1ELb0EffEvPKT1_PT2_iiiiiiiiiiPKifff14rope_corr_dimsfPKfPKli.num_named_barrier, 0
	.set _ZL9rope_neoxILb1ELb0EffEvPKT1_PT2_iiiiiiiiiiPKifff14rope_corr_dimsfPKfPKli.private_seg_size, 0
	.set _ZL9rope_neoxILb1ELb0EffEvPKT1_PT2_iiiiiiiiiiPKifff14rope_corr_dimsfPKfPKli.uses_vcc, 1
	.set _ZL9rope_neoxILb1ELb0EffEvPKT1_PT2_iiiiiiiiiiPKifff14rope_corr_dimsfPKfPKli.uses_flat_scratch, 0
	.set _ZL9rope_neoxILb1ELb0EffEvPKT1_PT2_iiiiiiiiiiPKifff14rope_corr_dimsfPKfPKli.has_dyn_sized_stack, 0
	.set _ZL9rope_neoxILb1ELb0EffEvPKT1_PT2_iiiiiiiiiiPKifff14rope_corr_dimsfPKfPKli.has_recursion, 0
	.set _ZL9rope_neoxILb1ELb0EffEvPKT1_PT2_iiiiiiiiiiPKifff14rope_corr_dimsfPKfPKli.has_indirect_call, 0
	.section	.AMDGPU.csdata,"",@progbits
; Kernel info:
; codeLenInByte = 4680
; TotalNumSgprs: 20
; NumVgprs: 24
; ScratchSize: 0
; MemoryBound: 0
; FloatMode: 240
; IeeeMode: 1
; LDSByteSize: 0 bytes/workgroup (compile time only)
; SGPRBlocks: 0
; VGPRBlocks: 1
; NumSGPRsForWavesPerEU: 20
; NumVGPRsForWavesPerEU: 24
; NamedBarCnt: 0
; Occupancy: 16
; WaveLimiterHint : 0
; COMPUTE_PGM_RSRC2:SCRATCH_EN: 0
; COMPUTE_PGM_RSRC2:USER_SGPR: 2
; COMPUTE_PGM_RSRC2:TRAP_HANDLER: 0
; COMPUTE_PGM_RSRC2:TGID_X_EN: 1
; COMPUTE_PGM_RSRC2:TGID_Y_EN: 1
; COMPUTE_PGM_RSRC2:TGID_Z_EN: 0
; COMPUTE_PGM_RSRC2:TIDIG_COMP_CNT: 1
	.section	.text._ZL9rope_neoxILb1ELb1EffEvPKT1_PT2_iiiiiiiiiiPKifff14rope_corr_dimsfPKfPKli,"axG",@progbits,_ZL9rope_neoxILb1ELb1EffEvPKT1_PT2_iiiiiiiiiiPKifff14rope_corr_dimsfPKfPKli,comdat
	.globl	_ZL9rope_neoxILb1ELb1EffEvPKT1_PT2_iiiiiiiiiiPKifff14rope_corr_dimsfPKfPKli ; -- Begin function _ZL9rope_neoxILb1ELb1EffEvPKT1_PT2_iiiiiiiiiiPKifff14rope_corr_dimsfPKfPKli
	.p2align	8
	.type	_ZL9rope_neoxILb1ELb1EffEvPKT1_PT2_iiiiiiiiiiPKifff14rope_corr_dimsfPKfPKli,@function
_ZL9rope_neoxILb1ELb1EffEvPKT1_PT2_iiiiiiiiiiPKifff14rope_corr_dimsfPKfPKli: ; @_ZL9rope_neoxILb1ELb1EffEvPKT1_PT2_iiiiiiiiiiPKifff14rope_corr_dimsfPKfPKli
; %bb.0:
	s_clause 0x1
	s_load_u16 s3, s[0:1], 0x7e
	s_load_b256 s[4:11], s[0:1], 0x10
	s_bfe_u32 s2, ttmp6, 0x40010
	s_bfe_u32 s13, ttmp6, 0x40004
	s_add_co_i32 s2, s2, 1
	v_bfe_u32 v1, v0, 10, 10
	s_mul_i32 s12, ttmp7, s2
	s_getreg_b32 s2, hwreg(HW_REG_IB_STS2, 6, 4)
	s_add_co_i32 s13, s13, s12
	s_cmp_eq_u32 s2, 0
	s_cselect_b32 s12, ttmp7, s13
	s_wait_kmcnt 0x0
	s_mul_i32 s12, s12, s3
	s_mov_b32 s3, exec_lo
	v_add_lshl_u32 v3, s12, v1, 1
	s_delay_alu instid0(VALU_DEP_1)
	v_cmpx_gt_i32_e64 s4, v3
	s_cbranch_execz .LBB1_19
; %bb.1:
	s_add_nc_u64 s[12:13], s[0:1], 0x70
	s_bfe_u32 s4, ttmp6, 0x4000c
	s_load_b32 s3, s[12:13], 0xc
	s_add_co_i32 s4, s4, 1
	s_wait_xcnt 0x0
	s_and_b32 s12, ttmp6, 15
	s_mul_i32 s4, ttmp9, s4
	v_and_b32_e32 v0, 0x3ff, v0
	s_add_co_i32 s12, s12, s4
	s_clause 0x1
	s_load_b64 s[20:21], s[0:1], 0x30
	s_load_b128 s[16:19], s[0:1], 0x58
	s_wait_kmcnt 0x0
	s_and_b32 s3, s3, 0xffff
	s_cmp_eq_u32 s2, 0
	s_mul_i32 s2, s6, s5
	s_cselect_b32 s4, ttmp9, s12
	s_abs_i32 s6, s2
	v_mad_u32 v2, s4, s3, v0
	s_cvt_f32_u32 s12, s6
	s_sub_co_i32 s4, 0, s6
	s_delay_alu instid0(SALU_CYCLE_2) | instskip(NEXT) | instid1(VALU_DEP_1)
	v_rcp_iflag_f32_e32 v1, s12
	v_sub_nc_u32_e32 v0, 0, v2
	s_delay_alu instid0(TRANS32_DEP_1) | instskip(NEXT) | instid1(VALU_DEP_2)
	v_readfirstlane_b32 s3, v1
	v_max_i32_e32 v0, v2, v0
	s_mul_f32 s3, s3, 0x4f7ffffe
	s_delay_alu instid0(SALU_CYCLE_3) | instskip(NEXT) | instid1(SALU_CYCLE_3)
	s_cvt_u32_f32 s3, s3
	s_mul_i32 s4, s4, s3
	s_delay_alu instid0(SALU_CYCLE_1) | instskip(NEXT) | instid1(SALU_CYCLE_1)
	s_mul_hi_u32 s4, s3, s4
	s_add_co_i32 s3, s3, s4
	s_delay_alu instid0(SALU_CYCLE_1) | instskip(SKIP_1) | instid1(VALU_DEP_1)
	v_mul_hi_u32 v1, v0, s3
	s_cvt_f32_u32 s3, s5
	v_mul_lo_u32 v4, v1, s6
	s_delay_alu instid0(VALU_DEP_1) | instskip(NEXT) | instid1(VALU_DEP_1)
	v_dual_sub_nc_u32 v0, v0, v4 :: v_dual_add_nc_u32 v4, 1, v1
	v_cmp_le_u32_e32 vcc_lo, s6, v0
	s_delay_alu instid0(VALU_DEP_2) | instskip(SKIP_1) | instid1(VALU_DEP_1)
	v_cndmask_b32_e32 v1, v1, v4, vcc_lo
	v_subrev_nc_u32_e32 v5, s6, v0
	v_dual_cndmask_b32 v0, v0, v5, vcc_lo :: v_dual_bitop2_b32 v4, s2, v2 bitop3:0x14
	s_delay_alu instid0(VALU_DEP_3) | instskip(NEXT) | instid1(VALU_DEP_2)
	v_add_nc_u32_e32 v5, 1, v1
	v_cmp_le_u32_e32 vcc_lo, s6, v0
	s_delay_alu instid0(VALU_DEP_2) | instskip(SKIP_1) | instid1(VALU_DEP_1)
	v_dual_ashrrev_i32 v4, 31, v4 :: v_dual_cndmask_b32 v0, v1, v5, vcc_lo
	v_rcp_iflag_f32_e32 v1, s3
	v_xor_b32_e32 v0, v0, v4
	s_delay_alu instid0(TRANS32_DEP_1) | instskip(NEXT) | instid1(VALU_DEP_2)
	v_readfirstlane_b32 s3, v1
	v_sub_nc_u32_e32 v0, v0, v4
	s_delay_alu instid0(VALU_DEP_1) | instskip(SKIP_2) | instid1(SALU_CYCLE_2)
	v_mul_lo_u32 v1, s2, v0
	s_mul_f32 s2, s3, 0x4f7ffffe
	s_sub_co_i32 s3, 0, s5
	s_cvt_u32_f32 s2, s2
	s_delay_alu instid0(SALU_CYCLE_3) | instskip(NEXT) | instid1(VALU_DEP_1)
	s_mul_i32 s3, s3, s2
	v_sub_nc_u32_e32 v2, v2, v1
	s_mul_hi_u32 s3, s2, s3
	s_delay_alu instid0(SALU_CYCLE_1)
	s_add_co_i32 s2, s2, s3
	s_delay_alu instid0(VALU_DEP_1) | instid1(SALU_CYCLE_1)
	v_mul_hi_u32 v1, v2, s2
	s_load_b32 s2, s[0:1], 0x68
	s_delay_alu instid0(VALU_DEP_1) | instskip(SKIP_2) | instid1(VALU_DEP_1)
	v_mul_lo_u32 v4, v1, s5
	s_wait_kmcnt 0x0
	s_cmp_eq_u32 s2, 0
	v_sub_nc_u32_e32 v4, v2, v4
	s_delay_alu instid0(VALU_DEP_1) | instskip(SKIP_1) | instid1(VALU_DEP_2)
	v_subrev_nc_u32_e32 v6, s5, v4
	v_cmp_le_u32_e32 vcc_lo, s5, v4
	v_dual_cndmask_b32 v4, v4, v6 :: v_dual_add_nc_u32 v5, 1, v1
	s_delay_alu instid0(VALU_DEP_1) | instskip(NEXT) | instid1(VALU_DEP_2)
	v_cndmask_b32_e32 v1, v1, v5, vcc_lo
	v_cmp_le_u32_e32 vcc_lo, s5, v4
	s_delay_alu instid0(VALU_DEP_2) | instskip(NEXT) | instid1(VALU_DEP_1)
	v_add_nc_u32_e32 v5, 1, v1
	v_cndmask_b32_e32 v8, v1, v5, vcc_lo
	s_cbranch_scc1 .LBB1_3
; %bb.2:
	v_mov_b32_e32 v9, 0
	s_delay_alu instid0(VALU_DEP_1)
	v_lshl_add_u64 v[4:5], v[8:9], 3, s[18:19]
	global_load_b32 v1, v[4:5], off
	s_wait_loadcnt 0x0
	v_mul_lo_u32 v4, s2, v1
	s_branch .LBB1_4
.LBB1_3:
	v_mul_lo_u32 v1, v0, s20
	s_delay_alu instid0(VALU_DEP_1)
	v_mad_u32 v4, v8, s11, v1
.LBB1_4:
	v_mul_lo_u32 v5, v8, s5
	v_ashrrev_i32_e32 v1, 1, v3
	s_load_b128 s[12:15], s[0:1], 0x0
	s_mov_b32 s2, exec_lo
	s_delay_alu instid0(VALU_DEP_2) | instskip(NEXT) | instid1(VALU_DEP_2)
	v_sub_nc_u32_e32 v2, v2, v5
	v_mad_u32 v0, v0, s9, v1
	s_delay_alu instid0(VALU_DEP_2) | instskip(NEXT) | instid1(VALU_DEP_2)
	v_mul_lo_u32 v5, v2, s10
	v_mad_u32 v0, v8, s8, v0
	s_delay_alu instid0(VALU_DEP_1) | instskip(NEXT) | instid1(VALU_DEP_3)
	v_mad_u32 v2, v2, s7, v0
	v_add3_u32 v0, v5, v1, v4
	v_cmpx_le_i32_e64 s21, v3
	s_xor_b32 s2, exec_lo, s2
	s_cbranch_execz .LBB1_6
; %bb.5:
	s_delay_alu instid0(VALU_DEP_2)
	v_dual_add_nc_u32 v2, v2, v1 :: v_dual_add_nc_u32 v0, v0, v1
                                        ; implicit-def: $vgpr8
	s_wait_kmcnt 0x0
	global_load_b32 v3, v2, s[12:13] scale_offset
	s_wait_loadcnt 0x0
	global_store_b32 v0, v3, s[14:15] scale_offset
	global_load_b32 v1, v2, s[12:13] offset:4 scale_offset
                                        ; implicit-def: $vgpr2
                                        ; implicit-def: $vgpr3
	s_wait_loadcnt 0x0
	global_store_b32 v0, v1, s[14:15] offset:4 scale_offset
                                        ; implicit-def: $vgpr0
                                        ; implicit-def: $vgpr1
.LBB1_6:
	s_wait_xcnt 0x0
	s_and_not1_saveexec_b32 s2, s2
	s_cbranch_execz .LBB1_19
; %bb.7:
	s_clause 0x1
	s_load_b64 s[8:9], s[0:1], 0x50
	s_load_b64 s[2:3], s[0:1], 0x38
	v_cvt_f32_i32_e32 v3, v3
	s_mov_b32 s4, 0x3e76c4e1
	global_load_b32 v22, v1, s[16:17] scale_offset
	v_mul_f32_e32 v3, 0.5, v3
	s_wait_kmcnt 0x0
	s_cmp_neq_f32 s9, 1.0
	global_load_b32 v8, v8, s[2:3] scale_offset
	s_cselect_b32 vcc_lo, -1, 0
	v_cndmask_b32_e32 v9, 1.0, v3, vcc_lo
	s_delay_alu instid0(VALU_DEP_1) | instskip(SKIP_1) | instid1(VALU_DEP_1)
	v_cmp_neq_f32_e32 vcc_lo, 0, v9
	v_cndmask_b32_e64 v3, 1.0, s9, vcc_lo
	v_frexp_mant_f32_e64 v4, |v3|
	v_cmp_lt_f32_e64 s6, |v3|, 1.0
	s_delay_alu instid0(VALU_DEP_2) | instskip(SKIP_1) | instid1(VALU_DEP_1)
	v_cmp_gt_f32_e32 vcc_lo, 0x3f2aaaab, v4
	v_cndmask_b32_e64 v5, 1.0, 2.0, vcc_lo
	v_mul_f32_e32 v4, v4, v5
	s_delay_alu instid0(VALU_DEP_1) | instskip(SKIP_1) | instid1(VALU_DEP_2)
	v_dual_add_f32 v7, 1.0, v4 :: v_dual_add_f32 v5, -1.0, v4
	v_cmp_neq_f32_e64 s5, v9, |v9|
	v_rcp_f32_e32 v12, v7
	v_add_f32_e32 v10, -1.0, v7
	s_xor_b32 s5, s5, s6
	s_delay_alu instid0(TRANS32_DEP_1) | instid1(VALU_DEP_1)
	v_dual_sub_f32 v4, v4, v10 :: v_dual_mul_f32 v13, v5, v12
	s_delay_alu instid0(VALU_DEP_1) | instskip(NEXT) | instid1(VALU_DEP_1)
	v_mul_f32_e32 v6, v7, v13
	v_fma_f32 v10, v13, v7, -v6
	s_delay_alu instid0(VALU_DEP_1) | instskip(NEXT) | instid1(VALU_DEP_1)
	v_fmac_f32_e32 v10, v13, v4
	v_add_f32_e32 v4, v6, v10
	s_delay_alu instid0(VALU_DEP_1) | instskip(NEXT) | instid1(VALU_DEP_1)
	v_dual_sub_f32 v7, v5, v4 :: v_dual_mov_b32 v11, v4
	v_pk_add_f32 v[4:5], v[4:5], v[6:7] neg_lo:[0,1] neg_hi:[0,1]
	s_delay_alu instid0(VALU_DEP_1) | instskip(NEXT) | instid1(VALU_DEP_1)
	v_pk_add_f32 v[4:5], v[4:5], v[10:11] neg_lo:[0,1] neg_hi:[0,1]
	v_add_f32_e32 v4, v4, v5
	s_delay_alu instid0(VALU_DEP_1) | instskip(NEXT) | instid1(VALU_DEP_1)
	v_add_f32_e32 v4, v7, v4
	v_mul_f32_e32 v5, v12, v4
	s_delay_alu instid0(VALU_DEP_1) | instskip(NEXT) | instid1(VALU_DEP_1)
	v_add_f32_e32 v4, v13, v5
	v_dual_sub_f32 v6, v4, v13 :: v_dual_mul_f32 v7, v4, v4
	s_delay_alu instid0(VALU_DEP_1) | instskip(NEXT) | instid1(VALU_DEP_1)
	v_dual_sub_f32 v18, v5, v6 :: v_dual_fma_f32 v5, v4, v4, -v7
	v_add_f32_e32 v6, v18, v18
	s_delay_alu instid0(VALU_DEP_1) | instskip(NEXT) | instid1(VALU_DEP_1)
	v_fmac_f32_e32 v5, v4, v6
	v_add_f32_e32 v6, v7, v5
	s_delay_alu instid0(VALU_DEP_1) | instskip(SKIP_1) | instid1(VALU_DEP_2)
	v_dual_fmaak_f32 v10, s4, v6, 0x3e91f4c4 :: v_dual_sub_f32 v7, v6, v7
	v_cmp_eq_f32_e64 s4, 0, v3
	v_fmaak_f32 v12, v6, v10, 0x3ecccdef
	v_cvt_f64_f32_e64 v[10:11], |v3|
	s_delay_alu instid0(VALU_DEP_2) | instskip(NEXT) | instid1(VALU_DEP_1)
	v_dual_sub_f32 v16, v5, v7 :: v_dual_mul_f32 v13, v6, v12
	v_fma_f32 v5, v6, v12, -v13
	s_delay_alu instid0(VALU_DEP_1) | instskip(NEXT) | instid1(VALU_DEP_1)
	v_fmac_f32_e32 v5, v16, v12
	v_add_f32_e32 v7, v13, v5
	s_delay_alu instid0(VALU_DEP_1) | instskip(NEXT) | instid1(VALU_DEP_1)
	v_dual_sub_f32 v12, v7, v13 :: v_dual_add_f32 v13, 0x3f2aaaaa, v7
	v_dual_sub_f32 v5, v5, v12 :: v_dual_add_f32 v12, 0xbf2aaaaa, v13
	v_frexp_exp_i32_f64_e32 v17, v[10:11]
	s_delay_alu instid0(VALU_DEP_2) | instskip(NEXT) | instid1(VALU_DEP_3)
	v_add_f32_e32 v5, 0x31739010, v5
	v_sub_f32_e32 v7, v7, v12
	s_delay_alu instid0(VALU_DEP_1) | instskip(NEXT) | instid1(VALU_DEP_1)
	v_pk_mul_f32 v[10:11], v[4:5], v[6:7]
	v_fma_f32 v12, v6, v4, -v10
	s_delay_alu instid0(VALU_DEP_1) | instskip(NEXT) | instid1(VALU_DEP_1)
	v_fmac_f32_e32 v12, v6, v18
	v_fmac_f32_e32 v12, v16, v4
	v_pk_add_f32 v[14:15], v[4:5], v[6:7]
	s_delay_alu instid0(VALU_DEP_1) | instskip(SKIP_1) | instid1(VALU_DEP_2)
	v_mov_b32_e32 v11, v15
	v_subrev_co_ci_u32_e64 v5, null, 0, v17, vcc_lo
	v_pk_add_f32 v[6:7], v[10:11], v[12:13]
	s_delay_alu instid0(VALU_DEP_2) | instskip(NEXT) | instid1(VALU_DEP_2)
	v_cvt_f32_i32_e32 v5, v5
	v_dual_mov_b32 v14, v7 :: v_dual_sub_f32 v11, v13, v7
	s_delay_alu instid0(VALU_DEP_3) | instskip(NEXT) | instid1(VALU_DEP_2)
	v_sub_f32_e32 v13, v6, v10
	v_pk_mul_f32 v[16:17], v[6:7], v[14:15]
	s_delay_alu instid0(VALU_DEP_3) | instskip(NEXT) | instid1(VALU_DEP_2)
	v_dual_add_f32 v11, v15, v11 :: v_dual_mul_f32 v14, 0x3f317218, v5
	v_dual_sub_f32 v12, v12, v13 :: v_dual_fma_f32 v10, v6, v7, -v16
	s_delay_alu instid0(VALU_DEP_1) | instskip(NEXT) | instid1(VALU_DEP_3)
	v_fmac_f32_e32 v10, v6, v11
	v_fma_f32 v6, 0x3f317218, v5, -v14
	s_delay_alu instid0(VALU_DEP_2) | instskip(NEXT) | instid1(VALU_DEP_2)
	v_fmac_f32_e32 v10, v12, v7
	v_fmamk_f32 v6, v5, 0xb102e308, v6
	v_ldexp_f32 v7, v4, 1
	s_delay_alu instid0(VALU_DEP_1) | instskip(NEXT) | instid1(VALU_DEP_1)
	v_dual_add_f32 v15, v16, v10 :: v_dual_mov_b32 v17, v7
	v_pk_add_f32 v[4:5], v[14:15], v[6:7]
	v_mov_b32_e32 v12, v15
	v_ldexp_f32 v7, v18, 1
	s_delay_alu instid0(VALU_DEP_3) | instskip(SKIP_1) | instid1(VALU_DEP_2)
	v_dual_mov_b32 v11, v15 :: v_dual_mov_b32 v13, v5
	v_mov_b32_e32 v20, v5
	v_pk_add_f32 v[12:13], v[12:13], v[16:17] neg_lo:[0,1] neg_hi:[0,1]
	s_delay_alu instid0(VALU_DEP_1) | instskip(NEXT) | instid1(VALU_DEP_1)
	v_pk_add_f32 v[10:11], v[10:11], v[12:13] neg_lo:[0,1] neg_hi:[0,1]
	v_add_f32_e32 v7, v7, v10
	s_delay_alu instid0(VALU_DEP_1) | instskip(NEXT) | instid1(VALU_DEP_1)
	v_dual_add_f32 v15, v7, v11 :: v_dual_mov_b32 v7, v4
	v_pk_add_f32 v[10:11], v[4:5], v[14:15]
	v_pk_add_f32 v[12:13], v[4:5], v[14:15] neg_lo:[0,1] neg_hi:[0,1]
	s_delay_alu instid0(VALU_DEP_2) | instskip(NEXT) | instid1(VALU_DEP_1)
	v_mov_b32_e32 v13, v11
	v_pk_add_f32 v[16:17], v[6:7], v[12:13]
	v_pk_add_f32 v[6:7], v[6:7], v[12:13] neg_lo:[0,1] neg_hi:[0,1]
	s_delay_alu instid0(VALU_DEP_2) | instskip(NEXT) | instid1(VALU_DEP_1)
	v_dual_mov_b32 v14, v17 :: v_dual_mov_b32 v7, v17
	v_pk_add_f32 v[18:19], v[14:15], v[4:5] neg_lo:[0,1] neg_hi:[0,1]
	v_dual_mov_b32 v16, v11 :: v_dual_mov_b32 v5, v4
	s_delay_alu instid0(VALU_DEP_2) | instskip(SKIP_1) | instid1(VALU_DEP_2)
	v_dual_mov_b32 v4, v15 :: v_dual_mov_b32 v21, v18
	v_mov_b32_e32 v15, v18
	v_pk_add_f32 v[12:13], v[16:17], v[20:21] neg_lo:[0,1] neg_hi:[0,1]
	s_delay_alu instid0(VALU_DEP_2) | instskip(SKIP_1) | instid1(VALU_DEP_3)
	v_pk_add_f32 v[10:11], v[10:11], v[14:15] neg_lo:[0,1] neg_hi:[0,1]
	v_mov_b32_e32 v10, v6
	v_pk_add_f32 v[4:5], v[4:5], v[12:13] neg_lo:[0,1] neg_hi:[0,1]
	s_delay_alu instid0(VALU_DEP_1) | instskip(NEXT) | instid1(VALU_DEP_1)
	v_pk_add_f32 v[10:11], v[10:11], v[4:5]
	v_mov_b32_e32 v12, v11
	s_delay_alu instid0(VALU_DEP_1) | instskip(NEXT) | instid1(VALU_DEP_1)
	v_pk_add_f32 v[12:13], v[10:11], v[12:13]
	v_pk_add_f32 v[14:15], v[14:15], v[12:13]
	s_delay_alu instid0(VALU_DEP_1) | instskip(NEXT) | instid1(VALU_DEP_1)
	v_dual_mov_b32 v5, v12 :: v_dual_mov_b32 v11, v14
	v_pk_add_f32 v[16:17], v[10:11], v[6:7] neg_lo:[0,1] neg_hi:[0,1]
	s_delay_alu instid0(VALU_DEP_1) | instskip(SKIP_1) | instid1(VALU_DEP_1)
	v_pk_add_f32 v[4:5], v[4:5], v[16:17] neg_lo:[0,1] neg_hi:[0,1]
	v_sub_f32_e32 v7, v10, v16
	v_sub_f32_e32 v6, v6, v7
	s_delay_alu instid0(VALU_DEP_1) | instskip(NEXT) | instid1(VALU_DEP_1)
	v_add_f32_e32 v4, v4, v6
	v_add_f32_e32 v4, v4, v5
	s_delay_alu instid0(VALU_DEP_1) | instskip(NEXT) | instid1(VALU_DEP_1)
	v_add_f32_e32 v5, v14, v4
	v_sub_f32_e32 v6, v5, v14
	s_delay_alu instid0(VALU_DEP_1) | instskip(NEXT) | instid1(VALU_DEP_1)
	v_dual_sub_f32 v4, v4, v6 :: v_dual_mul_f32 v7, v9, v5
	v_fma_f32 v5, v9, v5, -v7
	s_delay_alu instid0(VALU_DEP_1) | instskip(SKIP_1) | instid1(VALU_DEP_2)
	v_fmac_f32_e32 v5, v9, v4
	v_cmp_class_f32_e64 vcc_lo, v7, 0x204
	v_add_f32_e32 v4, v7, v5
	s_delay_alu instid0(VALU_DEP_1) | instskip(NEXT) | instid1(VALU_DEP_1)
	v_dual_cndmask_b32 v6, v4, v7, vcc_lo :: v_dual_sub_f32 v4, v4, v7
	v_cmp_eq_f32_e32 vcc_lo, 0x42b17218, v6
	s_delay_alu instid0(VALU_DEP_2) | instskip(SKIP_2) | instid1(VALU_DEP_2)
	v_sub_f32_e32 v4, v5, v4
	v_cndmask_b32_e64 v10, 0, 0x37000000, vcc_lo
	v_cmp_neq_f32_e64 vcc_lo, 0x7f800000, |v6|
	v_dual_sub_f32 v11, v6, v10 :: v_dual_cndmask_b32 v4, 0, v4
	v_trunc_f32_e32 v6, v9
	s_delay_alu instid0(VALU_DEP_2) | instskip(NEXT) | instid1(VALU_DEP_1)
	v_mul_f32_e32 v12, 0x3fb8aa3b, v11
	v_fma_f32 v13, 0x3fb8aa3b, v11, -v12
	v_rndne_f32_e32 v14, v12
	s_delay_alu instid0(VALU_DEP_1) | instskip(NEXT) | instid1(VALU_DEP_1)
	v_dual_fmamk_f32 v13, v11, 0x32a5705f, v13 :: v_dual_sub_f32 v12, v12, v14
	v_add_f32_e32 v12, v12, v13
	v_cmp_ngt_f32_e32 vcc_lo, 0xc2ce8ed0, v11
	s_delay_alu instid0(VALU_DEP_2)
	v_exp_f32_e32 v7, v12
	v_nop
	v_cvt_i32_f32_e32 v12, v14
	s_delay_alu instid0(TRANS32_DEP_1) | instid1(VALU_DEP_1)
	v_ldexp_f32 v5, v7, v12
	v_mul_f32_e32 v7, 0.5, v9
	s_delay_alu instid0(VALU_DEP_2) | instskip(NEXT) | instid1(VALU_DEP_2)
	v_cndmask_b32_e32 v5, 0, v5, vcc_lo
	v_trunc_f32_e32 v12, v7
	v_cmp_nlt_f32_e32 vcc_lo, 0x42b17218, v11
	s_wait_xcnt 0x0
	s_delay_alu instid0(VALU_DEP_2) | instskip(SKIP_2) | instid1(VALU_DEP_2)
	v_cmp_neq_f32_e64 s2, v12, v7
	v_cndmask_b32_e32 v5, 0x7f800000, v5, vcc_lo
	v_cmp_eq_f32_e32 vcc_lo, v6, v9
	v_cmp_class_f32_e64 s3, v5, 0x204
	s_and_b32 s2, vcc_lo, s2
	s_delay_alu instid0(SALU_CYCLE_1) | instskip(SKIP_2) | instid1(VALU_DEP_3)
	v_dual_cndmask_b32 v6, 1.0, v3, s2 :: v_dual_add_f32 v4, v10, v4
	v_cndmask_b32_e64 v10, 0, v3, s2
	v_cmp_class_f32_e64 s2, v3, 0x204
	v_fma_f32 v4, v5, v4, v5
	s_delay_alu instid0(VALU_DEP_1) | instskip(SKIP_2) | instid1(VALU_DEP_3)
	v_cndmask_b32_e64 v4, v4, v5, s3
	v_cndmask_b32_e64 v5, 0x7f800000, 0, s5
	v_cmp_gt_f32_e64 s3, 0, v9
	v_bfi_b32 v4, 0x7fffffff, v4, v6
	s_xor_b32 s3, s3, s4
	s_delay_alu instid0(SALU_CYCLE_1) | instskip(NEXT) | instid1(VALU_DEP_2)
	v_cndmask_b32_e64 v6, 0x7f800000, 0, s3
	v_cndmask_b32_e32 v7, 0x7fc00000, v4, vcc_lo
	v_cmp_neq_f32_e64 vcc_lo, |v3|, 1.0
	s_delay_alu instid0(VALU_DEP_3) | instskip(SKIP_4) | instid1(VALU_DEP_2)
	v_bfi_b32 v6, 0x7fffffff, v6, v10
	v_cndmask_b32_e32 v5, 1.0, v5, vcc_lo
	v_cmp_gt_f32_e32 vcc_lo, 0, v3
	v_cndmask_b32_e32 v4, v4, v7, vcc_lo
	v_cmp_class_f32_e64 vcc_lo, v9, 0x204
	v_cndmask_b32_e32 v4, v4, v5, vcc_lo
	s_or_b32 vcc_lo, s4, s2
	s_wait_loadcnt 0x0
	v_cvt_f32_i32_e32 v5, v8
	s_load_b128 s[4:7], s[0:1], 0x40
	v_cndmask_b32_e32 v4, v4, v6, vcc_lo
	v_cmp_o_f32_e32 vcc_lo, v3, v3
	s_delay_alu instid0(VALU_DEP_2) | instskip(NEXT) | instid1(VALU_DEP_1)
	v_cndmask_b32_e32 v3, 0x7fc00000, v4, vcc_lo
	v_mul_f32_e32 v3, v3, v5
	s_delay_alu instid0(VALU_DEP_1) | instskip(SKIP_3) | instid1(VALU_DEP_2)
	v_div_scale_f32 v4, null, v22, v22, v3
	v_div_scale_f32 v7, vcc_lo, v3, v22, v3
	s_wait_kmcnt 0x0
	s_cmp_eq_f32 s5, 0
	v_rcp_f32_e32 v5, v4
	v_nop
	s_delay_alu instid0(TRANS32_DEP_1) | instskip(NEXT) | instid1(VALU_DEP_1)
	v_fma_f32 v6, -v4, v5, 1.0
	v_fmac_f32_e32 v5, v6, v5
	s_delay_alu instid0(VALU_DEP_1) | instskip(NEXT) | instid1(VALU_DEP_1)
	v_mul_f32_e32 v6, v7, v5
	v_fma_f32 v8, -v4, v6, v7
	s_delay_alu instid0(VALU_DEP_1) | instskip(NEXT) | instid1(VALU_DEP_1)
	v_fmac_f32_e32 v6, v8, v5
	v_fma_f32 v4, -v4, v6, v7
	s_delay_alu instid0(VALU_DEP_1) | instskip(NEXT) | instid1(VALU_DEP_1)
	v_div_fmas_f32 v4, v4, v5, v6
	v_div_fixup_f32 v4, v4, v22, v3
	s_delay_alu instid0(VALU_DEP_1)
	v_mul_f32_e32 v5, s4, v4
	s_cbranch_scc1 .LBB1_9
; %bb.8:
	v_cvt_f32_i32_e32 v1, v1
	s_sub_f32 s0, s8, s7
	v_div_scale_f32 v6, null, s4, s4, 1.0
	s_delay_alu instid0(SALU_CYCLE_2) | instskip(SKIP_4) | instid1(VALU_DEP_3)
	s_max_num_f32 s1, s0, 0x3a83126f
	v_subrev_f32_e32 v1, s7, v1
	v_rcp_f32_e32 v8, v6
	v_nop
	v_xor_b32_e32 v6, 0x80000000, v6
	v_div_scale_f32 v3, null, s1, s1, v1
	s_delay_alu instid0(TRANS32_DEP_1) | instid1(VALU_DEP_2)
	v_fma_f32 v10, v6, v8, 1.0
	s_delay_alu instid0(VALU_DEP_2) | instskip(SKIP_1) | instid1(TRANS32_DEP_1)
	v_rcp_f32_e32 v7, v3
	v_nop
	v_fma_f32 v9, -v3, v7, 1.0
	s_delay_alu instid0(VALU_DEP_1) | instskip(SKIP_2) | instid1(VALU_DEP_2)
	v_fmac_f32_e32 v7, v9, v7
	v_div_scale_f32 v11, vcc_lo, v1, s1, v1
	v_div_scale_f32 v9, s0, 1.0, s4, 1.0
	v_dual_fmac_f32 v8, v10, v8 :: v_dual_mul_f32 v10, v11, v7
	s_delay_alu instid0(VALU_DEP_1) | instskip(NEXT) | instid1(VALU_DEP_1)
	v_dual_mul_f32 v12, v9, v8 :: v_dual_fma_f32 v13, -v3, v10, v11
	v_dual_fma_f32 v14, v6, v12, v9 :: v_dual_fmac_f32 v10, v13, v7
	s_delay_alu instid0(VALU_DEP_1) | instskip(NEXT) | instid1(VALU_DEP_1)
	v_dual_fmac_f32 v12, v14, v8 :: v_dual_fma_f32 v3, -v3, v10, v11
	v_fmac_f32_e32 v9, v6, v12
	s_delay_alu instid0(VALU_DEP_2) | instskip(SKIP_1) | instid1(VALU_DEP_2)
	v_div_fmas_f32 v3, v3, v7, v10
	s_mov_b32 vcc_lo, s0
	v_div_fmas_f32 v6, v9, v8, v12
	s_delay_alu instid0(VALU_DEP_2) | instskip(NEXT) | instid1(VALU_DEP_2)
	v_div_fixup_f32 v1, v3, s1, v1 clamp
	v_div_fixup_f32 v6, v6, s4, 1.0
	s_delay_alu instid0(VALU_DEP_1) | instskip(SKIP_2) | instid1(SALU_CYCLE_1)
	v_readfirstlane_b32 s0, v6
	s_cmp_lt_f32 s0, 0x800000
	s_cselect_b32 s0, 0x4f800000, 1.0
	v_mul_f32_e32 v6, s0, v6
	s_cselect_b32 s0, 0x41b17218, 0
	s_delay_alu instid0(VALU_DEP_1) | instskip(SKIP_1) | instid1(TRANS32_DEP_1)
	v_log_f32_e32 v6, v6
	v_nop
	v_and_b32_e32 v3, 0x7fffffff, v6
	s_delay_alu instid0(VALU_DEP_1) | instskip(SKIP_2) | instid1(VALU_DEP_1)
	v_cmp_gt_f32_e32 vcc_lo, 0x7f800000, v3
	v_sub_f32_e32 v1, 1.0, v1
	v_mul_f32_e32 v7, 0x3f317217, v6
	v_xor_b32_e32 v7, 0x80000000, v7
	s_delay_alu instid0(VALU_DEP_1) | instskip(NEXT) | instid1(VALU_DEP_1)
	v_fmac_f32_e32 v7, 0x3f317217, v6
	v_fmamk_f32 v7, v6, 0x3377d1cf, v7
	s_delay_alu instid0(VALU_DEP_1) | instskip(NEXT) | instid1(VALU_DEP_1)
	v_fmac_f32_e32 v7, 0x3f317217, v6
	v_dual_cndmask_b32 v3, v6, v7 :: v_dual_mul_f32 v6, s5, v1
	v_fma_f32 v7, -s5, v1, 1.0
	s_delay_alu instid0(VALU_DEP_2) | instskip(NEXT) | instid1(VALU_DEP_2)
	v_dual_mov_b32 v1, 1.0 :: v_dual_subrev_f32 v3, s0, v3
	v_pk_mul_f32 v[4:5], v[6:7], v[4:5]
	s_delay_alu instid0(VALU_DEP_2) | instskip(NEXT) | instid1(VALU_DEP_2)
	v_fmamk_f32 v1, v3, 0x3dcccccd, v1
	v_add_f32_e32 v5, v4, v5
	s_delay_alu instid0(VALU_DEP_2)
	v_mul_f32_e32 v6, s6, v1
	s_branch .LBB1_10
.LBB1_9:
	v_mov_b32_e32 v6, s6
.LBB1_10:
	s_delay_alu instid0(VALU_DEP_2) | instskip(SKIP_1) | instid1(VALU_DEP_2)
	v_and_b32_e32 v1, 0x7fffffff, v5
	v_cmp_ngt_f32_e64 s2, 0x48000000, |v5|
                                        ; implicit-def: $vgpr7
                                        ; implicit-def: $vgpr4
	v_lshrrev_b32_e32 v3, 23, v1
	s_and_saveexec_b32 s0, s2
	s_delay_alu instid0(SALU_CYCLE_1)
	s_xor_b32 s3, exec_lo, s0
	s_cbranch_execz .LBB1_12
; %bb.11:
	s_mov_b32 s0, 0x7fffff
	v_mov_b32_e32 v9, 0
	v_and_or_b32 v8, v1, s0, 0x800000
	s_mov_b64 s[0:1], 0xfe5163ab
	s_delay_alu instid0(VALU_DEP_1) | instid1(SALU_CYCLE_1)
	v_mul_u64_e32 v[10:11], s[0:1], v[8:9]
	s_delay_alu instid0(VALU_DEP_1) | instskip(SKIP_2) | instid1(VALU_DEP_3)
	v_dual_mov_b32 v12, v11 :: v_dual_mov_b32 v13, v9
	v_dual_mov_b32 v15, v9 :: v_dual_mov_b32 v17, v9
	v_dual_mov_b32 v19, v9 :: v_dual_mov_b32 v21, v9
	v_mad_nc_u64_u32 v[12:13], 0x3c439041, v8, v[12:13]
	s_delay_alu instid0(VALU_DEP_1) | instskip(NEXT) | instid1(VALU_DEP_1)
	v_dual_mov_b32 v23, v9 :: v_dual_mov_b32 v14, v13
	v_mad_nc_u64_u32 v[14:15], 0xdb629599, v8, v[14:15]
	s_delay_alu instid0(VALU_DEP_1) | instskip(NEXT) | instid1(VALU_DEP_1)
	v_mov_b32_e32 v16, v15
	v_mad_nc_u64_u32 v[16:17], 0xf534ddc0, v8, v[16:17]
	s_delay_alu instid0(VALU_DEP_1) | instskip(NEXT) | instid1(VALU_DEP_1)
	v_mov_b32_e32 v18, v17
	;; [unrolled: 3-line block ×3, first 2 shown]
	v_mad_nc_u64_u32 v[20:21], 0x4e441529, v8, v[20:21]
	v_add_nc_u32_e32 v4, 0xffffff88, v3
	s_delay_alu instid0(VALU_DEP_1) | instskip(SKIP_1) | instid1(VALU_DEP_4)
	v_cmp_lt_u32_e32 vcc_lo, 63, v4
	v_cndmask_b32_e64 v7, 0, 0xffffffc0, vcc_lo
	v_dual_cndmask_b32 v11, v20, v16 :: v_dual_mov_b32 v22, v21
	s_delay_alu instid0(VALU_DEP_2) | instskip(NEXT) | instid1(VALU_DEP_2)
	v_dual_cndmask_b32 v13, v18, v14 :: v_dual_add_nc_u32 v4, v7, v4
	v_mad_nc_u64_u32 v[8:9], 0xa2f9836e, v8, v[22:23]
	s_delay_alu instid0(VALU_DEP_2) | instskip(NEXT) | instid1(VALU_DEP_1)
	v_cmp_lt_u32_e64 s0, 31, v4
	v_cndmask_b32_e64 v7, 0, 0xffffffe0, s0
	s_delay_alu instid0(VALU_DEP_3) | instskip(NEXT) | instid1(VALU_DEP_2)
	v_dual_cndmask_b32 v8, v8, v18 :: v_dual_cndmask_b32 v9, v9, v20
	v_add_nc_u32_e32 v4, v7, v4
	s_delay_alu instid0(VALU_DEP_1) | instskip(NEXT) | instid1(VALU_DEP_1)
	v_cmp_lt_u32_e64 s1, 31, v4
	v_cndmask_b32_e64 v7, 0, 0xffffffe0, s1
	s_delay_alu instid0(VALU_DEP_1) | instskip(SKIP_2) | instid1(VALU_DEP_3)
	v_add_nc_u32_e32 v4, v7, v4
	v_cndmask_b32_e32 v7, v16, v12, vcc_lo
	v_dual_cndmask_b32 v12, v8, v11, s0 :: v_dual_cndmask_b32 v8, v9, v8, s0
	v_dual_cndmask_b32 v9, v11, v13, s0 :: v_dual_sub_nc_u32 v11, 32, v4
	s_delay_alu instid0(VALU_DEP_2) | instskip(NEXT) | instid1(VALU_DEP_2)
	v_dual_cndmask_b32 v13, v13, v7, s0 :: v_dual_cndmask_b32 v8, v8, v12, s1
	v_cndmask_b32_e64 v12, v12, v9, s1
	s_delay_alu instid0(VALU_DEP_2) | instskip(NEXT) | instid1(VALU_DEP_2)
	v_cndmask_b32_e64 v9, v9, v13, s1
	v_alignbit_b32 v15, v8, v12, v11
	v_cndmask_b32_e32 v10, v14, v10, vcc_lo
	v_cmp_eq_u32_e32 vcc_lo, 0, v4
	s_delay_alu instid0(VALU_DEP_4) | instskip(NEXT) | instid1(VALU_DEP_4)
	v_alignbit_b32 v14, v12, v9, v11
	v_cndmask_b32_e32 v4, v15, v8, vcc_lo
	s_delay_alu instid0(VALU_DEP_2) | instskip(NEXT) | instid1(VALU_DEP_2)
	v_dual_cndmask_b32 v7, v7, v10, s0 :: v_dual_cndmask_b32 v8, v14, v12, vcc_lo
	v_bfe_u32 v10, v4, 29, 1
	s_delay_alu instid0(VALU_DEP_2) | instskip(NEXT) | instid1(VALU_DEP_3)
	v_cndmask_b32_e64 v7, v13, v7, s1
	v_alignbit_b32 v12, v4, v8, 30
	s_delay_alu instid0(VALU_DEP_3) | instskip(NEXT) | instid1(VALU_DEP_3)
	v_sub_nc_u32_e32 v13, 0, v10
	v_alignbit_b32 v11, v9, v7, v11
	s_delay_alu instid0(VALU_DEP_2) | instskip(NEXT) | instid1(VALU_DEP_2)
	v_xor_b32_e32 v12, v12, v13
	v_cndmask_b32_e32 v9, v11, v9, vcc_lo
	s_delay_alu instid0(VALU_DEP_2) | instskip(NEXT) | instid1(VALU_DEP_2)
	v_clz_i32_u32_e32 v11, v12
	v_alignbit_b32 v8, v8, v9, 30
	v_alignbit_b32 v7, v9, v7, 30
	s_delay_alu instid0(VALU_DEP_3) | instskip(NEXT) | instid1(VALU_DEP_3)
	v_min_u32_e32 v11, 32, v11
	v_xor_b32_e32 v8, v8, v13
	s_delay_alu instid0(VALU_DEP_3) | instskip(NEXT) | instid1(VALU_DEP_3)
	v_dual_lshrrev_b32 v13, 29, v4 :: v_dual_bitop2_b32 v7, v7, v13 bitop3:0x14
	v_dual_sub_nc_u32 v9, 31, v11 :: v_dual_lshlrev_b32 v14, 23, v11
	s_delay_alu instid0(VALU_DEP_1) | instskip(NEXT) | instid1(VALU_DEP_3)
	v_alignbit_b32 v12, v12, v8, v9
	v_alignbit_b32 v7, v8, v7, v9
	s_delay_alu instid0(VALU_DEP_4) | instskip(NEXT) | instid1(VALU_DEP_2)
	v_lshlrev_b32_e32 v8, 31, v13
	v_alignbit_b32 v9, v12, v7, 9
	s_delay_alu instid0(VALU_DEP_2) | instskip(SKIP_2) | instid1(VALU_DEP_4)
	v_or_b32_e32 v13, 0.5, v8
	v_lshrrev_b32_e32 v12, 9, v12
	v_or_b32_e32 v8, 0x33000000, v8
	v_clz_i32_u32_e32 v15, v9
	s_delay_alu instid0(VALU_DEP_4) | instskip(NEXT) | instid1(VALU_DEP_2)
	v_sub_nc_u32_e32 v13, v13, v14
	v_min_u32_e32 v14, 32, v15
	s_delay_alu instid0(VALU_DEP_2) | instskip(NEXT) | instid1(VALU_DEP_2)
	v_or_b32_e32 v12, v12, v13
	v_not_b32_e32 v13, v14
	v_add_lshl_u32 v11, v14, v11, 23
	s_delay_alu instid0(VALU_DEP_2) | instskip(NEXT) | instid1(VALU_DEP_2)
	v_alignbit_b32 v7, v9, v7, v13
	v_sub_nc_u32_e32 v8, v8, v11
	s_delay_alu instid0(VALU_DEP_2) | instskip(SKIP_1) | instid1(VALU_DEP_2)
	v_lshrrev_b32_e32 v7, 9, v7
	v_mul_f32_e32 v15, 0x3fc90fda, v12
	v_or_b32_e32 v7, v8, v7
	s_delay_alu instid0(VALU_DEP_2) | instskip(NEXT) | instid1(VALU_DEP_1)
	v_fma_f32 v9, 0x3fc90fda, v12, -v15
	v_fmamk_f32 v9, v12, 0x33a22168, v9
	s_delay_alu instid0(VALU_DEP_1) | instskip(NEXT) | instid1(VALU_DEP_1)
	v_fmac_f32_e32 v9, 0x3fc90fda, v7
	v_dual_add_f32 v4, v15, v9 :: v_dual_lshrrev_b32 v7, 30, v4
	s_delay_alu instid0(VALU_DEP_1)
	v_add_nc_u32_e32 v7, v10, v7
	s_or_saveexec_b32 s0, s3
	v_mul_f32_e64 v10, 0x3f22f983, |v5|
	s_xor_b32 exec_lo, exec_lo, s0
	s_branch .LBB1_13
.LBB1_12:
	s_or_saveexec_b32 s0, s3
	v_mul_f32_e64 v10, 0x3f22f983, |v5|
	s_xor_b32 exec_lo, exec_lo, s0
.LBB1_13:
	s_delay_alu instid0(VALU_DEP_1) | instskip(NEXT) | instid1(VALU_DEP_1)
	v_rndne_f32_e32 v7, v10
	v_fma_f32 v4, 0xbfc90fda, v7, |v5|
	s_delay_alu instid0(VALU_DEP_1) | instskip(NEXT) | instid1(VALU_DEP_1)
	v_fmamk_f32 v4, v7, 0xb3a22168, v4
	v_fmamk_f32 v4, v7, 0xa7c234c4, v4
	v_cvt_i32_f32_e32 v7, v7
; %bb.14:
	s_or_b32 exec_lo, exec_lo, s0
                                        ; implicit-def: $vgpr9
                                        ; implicit-def: $vgpr8
	s_and_saveexec_b32 s0, s2
	s_delay_alu instid0(SALU_CYCLE_1)
	s_xor_b32 s2, exec_lo, s0
	s_cbranch_execz .LBB1_16
; %bb.15:
	s_mov_b32 s0, 0x7fffff
	v_mov_b32_e32 v9, 0
	v_and_or_b32 v8, v1, s0, 0x800000
	s_mov_b64 s[0:1], 0xfe5163ab
	v_add_nc_u32_e32 v3, 0xffffff88, v3
	s_delay_alu instid0(VALU_DEP_2) | instskip(NEXT) | instid1(VALU_DEP_2)
	v_mul_u64_e32 v[10:11], s[0:1], v[8:9]
	v_cmp_lt_u32_e32 vcc_lo, 63, v3
	s_delay_alu instid0(VALU_DEP_2) | instskip(SKIP_2) | instid1(VALU_DEP_3)
	v_dual_mov_b32 v12, v11 :: v_dual_mov_b32 v13, v9
	v_dual_mov_b32 v15, v9 :: v_dual_mov_b32 v17, v9
	;; [unrolled: 1-line block ×3, first 2 shown]
	v_mad_nc_u64_u32 v[12:13], 0x3c439041, v8, v[12:13]
	v_cndmask_b32_e64 v11, 0, 0xffffffc0, vcc_lo
	s_delay_alu instid0(VALU_DEP_1) | instskip(NEXT) | instid1(VALU_DEP_3)
	v_dual_mov_b32 v23, v9 :: v_dual_add_nc_u32 v3, v11, v3
	v_mov_b32_e32 v14, v13
	s_delay_alu instid0(VALU_DEP_2) | instskip(NEXT) | instid1(VALU_DEP_2)
	v_cmp_lt_u32_e64 s0, 31, v3
	v_mad_nc_u64_u32 v[14:15], 0xdb629599, v8, v[14:15]
	s_delay_alu instid0(VALU_DEP_2) | instskip(NEXT) | instid1(VALU_DEP_1)
	v_cndmask_b32_e64 v11, 0, 0xffffffe0, s0
	v_add_nc_u32_e32 v3, v11, v3
	s_delay_alu instid0(VALU_DEP_3) | instskip(NEXT) | instid1(VALU_DEP_2)
	v_mov_b32_e32 v16, v15
	v_cmp_lt_u32_e64 s1, 31, v3
	v_cndmask_b32_e32 v10, v14, v10, vcc_lo
	s_delay_alu instid0(VALU_DEP_3) | instskip(NEXT) | instid1(VALU_DEP_3)
	v_mad_nc_u64_u32 v[16:17], 0xf534ddc0, v8, v[16:17]
	v_cndmask_b32_e64 v11, 0, 0xffffffe0, s1
	s_delay_alu instid0(VALU_DEP_1) | instskip(NEXT) | instid1(VALU_DEP_3)
	v_dual_add_nc_u32 v3, v11, v3 :: v_dual_cndmask_b32 v11, v16, v12, vcc_lo
	v_mov_b32_e32 v18, v17
	s_delay_alu instid0(VALU_DEP_1) | instskip(NEXT) | instid1(VALU_DEP_1)
	v_mad_nc_u64_u32 v[18:19], 0xfc2757d1, v8, v[18:19]
	v_dual_mov_b32 v20, v19 :: v_dual_cndmask_b32 v15, v18, v14
	s_delay_alu instid0(VALU_DEP_1) | instskip(NEXT) | instid1(VALU_DEP_1)
	v_mad_nc_u64_u32 v[20:21], 0x4e441529, v8, v[20:21]
	v_dual_mov_b32 v22, v21 :: v_dual_cndmask_b32 v13, v20, v16
	s_delay_alu instid0(VALU_DEP_1) | instskip(NEXT) | instid1(VALU_DEP_1)
	v_mad_nc_u64_u32 v[8:9], 0xa2f9836e, v8, v[22:23]
	v_dual_cndmask_b32 v8, v8, v18 :: v_dual_cndmask_b32 v9, v9, v20
	v_cmp_eq_u32_e32 vcc_lo, 0, v3
	s_delay_alu instid0(VALU_DEP_2) | instskip(SKIP_2) | instid1(VALU_DEP_3)
	v_dual_cndmask_b32 v12, v8, v13, s0 :: v_dual_cndmask_b32 v8, v9, v8, s0
	v_cndmask_b32_e64 v9, v13, v15, s0
	v_sub_nc_u32_e32 v13, 32, v3
	v_dual_cndmask_b32 v15, v15, v11, s0 :: v_dual_cndmask_b32 v8, v8, v12, s1
	s_delay_alu instid0(VALU_DEP_3) | instskip(NEXT) | instid1(VALU_DEP_1)
	v_cndmask_b32_e64 v12, v12, v9, s1
	v_alignbit_b32 v16, v8, v12, v13
	s_delay_alu instid0(VALU_DEP_1) | instskip(NEXT) | instid1(VALU_DEP_1)
	v_dual_cndmask_b32 v9, v9, v15, s1 :: v_dual_cndmask_b32 v3, v16, v8, vcc_lo
	v_alignbit_b32 v14, v12, v9, v13
	v_cndmask_b32_e64 v8, v11, v10, s0
	s_delay_alu instid0(VALU_DEP_3) | instskip(NEXT) | instid1(VALU_DEP_3)
	v_bfe_u32 v11, v3, 29, 1
	v_cndmask_b32_e32 v10, v14, v12, vcc_lo
	s_delay_alu instid0(VALU_DEP_2) | instskip(NEXT) | instid1(VALU_DEP_2)
	v_dual_cndmask_b32 v8, v15, v8, s1 :: v_dual_sub_nc_u32 v14, 0, v11
	v_alignbit_b32 v12, v3, v10, 30
	s_delay_alu instid0(VALU_DEP_2) | instskip(NEXT) | instid1(VALU_DEP_1)
	v_alignbit_b32 v13, v9, v8, v13
	v_dual_cndmask_b32 v9, v13, v9, vcc_lo :: v_dual_bitop2_b32 v12, v12, v14 bitop3:0x14
	s_delay_alu instid0(VALU_DEP_1) | instskip(NEXT) | instid1(VALU_DEP_2)
	v_clz_i32_u32_e32 v13, v12
	v_alignbit_b32 v10, v10, v9, 30
	v_alignbit_b32 v8, v9, v8, 30
	s_delay_alu instid0(VALU_DEP_3) | instskip(NEXT) | instid1(VALU_DEP_3)
	v_min_u32_e32 v13, 32, v13
	v_xor_b32_e32 v9, v10, v14
	s_delay_alu instid0(VALU_DEP_3) | instskip(NEXT) | instid1(VALU_DEP_3)
	v_dual_lshrrev_b32 v14, 29, v3 :: v_dual_bitop2_b32 v8, v8, v14 bitop3:0x14
	v_dual_lshrrev_b32 v3, 30, v3 :: v_dual_sub_nc_u32 v10, 31, v13
	v_lshlrev_b32_e32 v15, 23, v13
	s_delay_alu instid0(VALU_DEP_2) | instskip(NEXT) | instid1(VALU_DEP_4)
	v_alignbit_b32 v12, v12, v9, v10
	v_alignbit_b32 v8, v9, v8, v10
	v_lshlrev_b32_e32 v9, 31, v14
	s_delay_alu instid0(VALU_DEP_2) | instskip(NEXT) | instid1(VALU_DEP_2)
	v_alignbit_b32 v10, v12, v8, 9
	v_dual_lshrrev_b32 v12, 9, v12 :: v_dual_bitop2_b32 v14, 0.5, v9 bitop3:0x54
	v_or_b32_e32 v9, 0x33000000, v9
	s_delay_alu instid0(VALU_DEP_3) | instskip(NEXT) | instid1(VALU_DEP_3)
	v_clz_i32_u32_e32 v16, v10
	v_sub_nc_u32_e32 v14, v14, v15
	s_delay_alu instid0(VALU_DEP_2) | instskip(NEXT) | instid1(VALU_DEP_1)
	v_min_u32_e32 v15, 32, v16
	v_add_lshl_u32 v13, v15, v13, 23
	s_delay_alu instid0(VALU_DEP_1) | instskip(SKIP_1) | instid1(VALU_DEP_1)
	v_dual_sub_nc_u32 v9, v9, v13 :: v_dual_bitop2_b32 v12, v12, v14 bitop3:0x54
	v_not_b32_e32 v14, v15
	v_alignbit_b32 v8, v10, v8, v14
	s_delay_alu instid0(VALU_DEP_1) | instskip(NEXT) | instid1(VALU_DEP_4)
	v_lshrrev_b32_e32 v8, 9, v8
	v_mul_f32_e32 v16, 0x3fc90fda, v12
	s_delay_alu instid0(VALU_DEP_2) | instskip(NEXT) | instid1(VALU_DEP_2)
	v_or_b32_e32 v8, v9, v8
	v_fma_f32 v10, 0x3fc90fda, v12, -v16
	s_delay_alu instid0(VALU_DEP_1) | instskip(NEXT) | instid1(VALU_DEP_1)
	v_dual_fmamk_f32 v10, v12, 0x33a22168, v10 :: v_dual_add_nc_u32 v9, v11, v3
	v_fmac_f32_e32 v10, 0x3fc90fda, v8
	s_delay_alu instid0(VALU_DEP_1)
	v_add_f32_e32 v8, v16, v10
                                        ; implicit-def: $vgpr10
	s_and_not1_saveexec_b32 s0, s2
	s_cbranch_execnz .LBB1_17
	s_branch .LBB1_18
.LBB1_16:
	s_and_not1_saveexec_b32 s0, s2
.LBB1_17:
	v_rndne_f32_e32 v3, v10
	s_delay_alu instid0(VALU_DEP_1) | instskip(SKIP_1) | instid1(VALU_DEP_2)
	v_fma_f32 v8, 0xbfc90fda, v3, |v5|
	v_cvt_i32_f32_e32 v9, v3
	v_fmamk_f32 v8, v3, 0xb3a22168, v8
	s_delay_alu instid0(VALU_DEP_1)
	v_fmamk_f32 v8, v3, 0xa7c234c4, v8
.LBB1_18:
	s_or_b32 exec_lo, exec_lo, s0
	v_ashrrev_i32_e32 v3, 31, v2
	s_lshr_b32 s0, s21, 31
	s_mov_b32 s2, 0xb94c1982
	s_add_co_i32 s0, s21, s0
	s_mov_b32 s3, 0x37d75334
	s_ashr_i32 s0, s0, 1
	v_lshl_add_u64 v[10:11], v[2:3], 2, s[12:13]
	s_ashr_i32 s1, s0, 31
	v_mul_f32_e32 v3, v8, v8
	s_lshl_b64 s[0:1], s[0:1], 2
	s_delay_alu instid0(VALU_DEP_2) | instid1(SALU_CYCLE_1)
	v_add_nc_u64_e32 v[10:11], s[0:1], v[10:11]
	s_clause 0x1
	global_load_b32 v12, v[10:11], off
	global_load_b32 v13, v2, s[12:13] scale_offset
	s_wait_xcnt 0x0
	v_dual_mul_f32 v2, v4, v4 :: v_dual_bitop2_b32 v10, 1, v7 bitop3:0x40
	v_fmaak_f32 v15, s2, v3, 0x3c0881c4
	v_lshlrev_b32_e32 v7, 30, v7
	v_fmaak_f32 v16, s3, v3, 0xbab64f3b
	s_delay_alu instid0(VALU_DEP_4) | instskip(SKIP_2) | instid1(VALU_DEP_1)
	v_fmaak_f32 v14, s3, v2, 0xbab64f3b
	v_cmp_eq_u32_e32 vcc_lo, 0, v10
	v_fmaak_f32 v15, v3, v15, 0xbe2aaa9d
	v_dual_fmaak_f32 v14, v2, v14, 0x3d2aabf7 :: v_dual_mul_f32 v15, v3, v15
	s_delay_alu instid0(VALU_DEP_1) | instskip(NEXT) | instid1(VALU_DEP_1)
	v_dual_fmaak_f32 v11, s2, v2, 0x3c0881c4 :: v_dual_fmac_f32 v8, v8, v15
	v_fmaak_f32 v11, v2, v11, 0xbe2aaa9d
	v_dual_lshlrev_b32 v9, 30, v9 :: v_dual_bitop2_b32 v17, 1, v9 bitop3:0x40
	s_delay_alu instid0(VALU_DEP_2) | instskip(SKIP_1) | instid1(VALU_DEP_3)
	v_dual_fmaak_f32 v16, v3, v16, 0x3d2aabf7 :: v_dual_mul_f32 v11, v2, v11
	v_xor_b32_e32 v1, v1, v5
	v_and_b32_e32 v9, 0x80000000, v9
	s_delay_alu instid0(VALU_DEP_3) | instskip(NEXT) | instid1(VALU_DEP_4)
	v_fmaak_f32 v16, v3, v16, 0xbf000004
	v_fmac_f32_e32 v4, v4, v11
	s_delay_alu instid0(VALU_DEP_2) | instskip(SKIP_1) | instid1(VALU_DEP_1)
	v_fma_f32 v3, v3, v16, 1.0
	v_fmaak_f32 v14, v2, v14, 0xbf000004
	v_fma_f32 v2, v2, v14, 1.0
	s_delay_alu instid0(VALU_DEP_1) | instskip(SKIP_1) | instid1(VALU_DEP_2)
	v_cndmask_b32_e64 v2, -v4, v2, vcc_lo
	v_cmp_eq_u32_e32 vcc_lo, 0, v17
	v_bitop3_b32 v2, v7, v2, 0x80000000 bitop3:0x6c
	v_cndmask_b32_e32 v3, v3, v8, vcc_lo
	v_cmp_class_f32_e64 vcc_lo, v5, 0x1f8
	s_delay_alu instid0(VALU_DEP_2) | instskip(NEXT) | instid1(VALU_DEP_4)
	v_xor3_b32 v1, v1, v9, v3
	v_cndmask_b32_e32 v4, 0x7fc00000, v2, vcc_lo
	s_delay_alu instid0(VALU_DEP_2) | instskip(NEXT) | instid1(VALU_DEP_1)
	v_dual_cndmask_b32 v2, 0x7fc00000, v1 :: v_dual_ashrrev_i32 v1, 31, v0
	v_mul_f32_e32 v5, v6, v2
	s_delay_alu instid0(VALU_DEP_2) | instskip(NEXT) | instid1(VALU_DEP_4)
	v_lshl_add_u64 v[2:3], v[0:1], 2, s[14:15]
	v_mul_f32_e32 v1, v6, v4
	s_delay_alu instid0(VALU_DEP_2) | instskip(SKIP_2) | instid1(VALU_DEP_1)
	v_add_nc_u64_e32 v[2:3], s[0:1], v[2:3]
	s_wait_loadcnt 0x0
	v_dual_mul_f32 v4, v12, v5 :: v_dual_mul_f32 v5, v13, v5
	v_dual_fma_f32 v4, v1, v13, -v4 :: v_dual_fmac_f32 v5, v1, v12
	s_clause 0x1
	global_store_b32 v0, v4, s[14:15] scale_offset
	global_store_b32 v[2:3], v5, off
.LBB1_19:
	s_endpgm
	.section	.rodata,"a",@progbits
	.p2align	6, 0x0
	.amdhsa_kernel _ZL9rope_neoxILb1ELb1EffEvPKT1_PT2_iiiiiiiiiiPKifff14rope_corr_dimsfPKfPKli
		.amdhsa_group_segment_fixed_size 0
		.amdhsa_private_segment_fixed_size 0
		.amdhsa_kernarg_size 368
		.amdhsa_user_sgpr_count 2
		.amdhsa_user_sgpr_dispatch_ptr 0
		.amdhsa_user_sgpr_queue_ptr 0
		.amdhsa_user_sgpr_kernarg_segment_ptr 1
		.amdhsa_user_sgpr_dispatch_id 0
		.amdhsa_user_sgpr_kernarg_preload_length 0
		.amdhsa_user_sgpr_kernarg_preload_offset 0
		.amdhsa_user_sgpr_private_segment_size 0
		.amdhsa_wavefront_size32 1
		.amdhsa_uses_dynamic_stack 0
		.amdhsa_enable_private_segment 0
		.amdhsa_system_sgpr_workgroup_id_x 1
		.amdhsa_system_sgpr_workgroup_id_y 1
		.amdhsa_system_sgpr_workgroup_id_z 0
		.amdhsa_system_sgpr_workgroup_info 0
		.amdhsa_system_vgpr_workitem_id 1
		.amdhsa_next_free_vgpr 24
		.amdhsa_next_free_sgpr 22
		.amdhsa_named_barrier_count 0
		.amdhsa_reserve_vcc 1
		.amdhsa_float_round_mode_32 0
		.amdhsa_float_round_mode_16_64 0
		.amdhsa_float_denorm_mode_32 3
		.amdhsa_float_denorm_mode_16_64 3
		.amdhsa_fp16_overflow 0
		.amdhsa_memory_ordered 1
		.amdhsa_forward_progress 1
		.amdhsa_inst_pref_size 38
		.amdhsa_round_robin_scheduling 0
		.amdhsa_exception_fp_ieee_invalid_op 0
		.amdhsa_exception_fp_denorm_src 0
		.amdhsa_exception_fp_ieee_div_zero 0
		.amdhsa_exception_fp_ieee_overflow 0
		.amdhsa_exception_fp_ieee_underflow 0
		.amdhsa_exception_fp_ieee_inexact 0
		.amdhsa_exception_int_div_zero 0
	.end_amdhsa_kernel
	.section	.text._ZL9rope_neoxILb1ELb1EffEvPKT1_PT2_iiiiiiiiiiPKifff14rope_corr_dimsfPKfPKli,"axG",@progbits,_ZL9rope_neoxILb1ELb1EffEvPKT1_PT2_iiiiiiiiiiPKifff14rope_corr_dimsfPKfPKli,comdat
.Lfunc_end1:
	.size	_ZL9rope_neoxILb1ELb1EffEvPKT1_PT2_iiiiiiiiiiPKifff14rope_corr_dimsfPKfPKli, .Lfunc_end1-_ZL9rope_neoxILb1ELb1EffEvPKT1_PT2_iiiiiiiiiiPKifff14rope_corr_dimsfPKfPKli
                                        ; -- End function
	.set _ZL9rope_neoxILb1ELb1EffEvPKT1_PT2_iiiiiiiiiiPKifff14rope_corr_dimsfPKfPKli.num_vgpr, 24
	.set _ZL9rope_neoxILb1ELb1EffEvPKT1_PT2_iiiiiiiiiiPKifff14rope_corr_dimsfPKfPKli.num_agpr, 0
	.set _ZL9rope_neoxILb1ELb1EffEvPKT1_PT2_iiiiiiiiiiPKifff14rope_corr_dimsfPKfPKli.numbered_sgpr, 22
	.set _ZL9rope_neoxILb1ELb1EffEvPKT1_PT2_iiiiiiiiiiPKifff14rope_corr_dimsfPKfPKli.num_named_barrier, 0
	.set _ZL9rope_neoxILb1ELb1EffEvPKT1_PT2_iiiiiiiiiiPKifff14rope_corr_dimsfPKfPKli.private_seg_size, 0
	.set _ZL9rope_neoxILb1ELb1EffEvPKT1_PT2_iiiiiiiiiiPKifff14rope_corr_dimsfPKfPKli.uses_vcc, 1
	.set _ZL9rope_neoxILb1ELb1EffEvPKT1_PT2_iiiiiiiiiiPKifff14rope_corr_dimsfPKfPKli.uses_flat_scratch, 0
	.set _ZL9rope_neoxILb1ELb1EffEvPKT1_PT2_iiiiiiiiiiPKifff14rope_corr_dimsfPKfPKli.has_dyn_sized_stack, 0
	.set _ZL9rope_neoxILb1ELb1EffEvPKT1_PT2_iiiiiiiiiiPKifff14rope_corr_dimsfPKfPKli.has_recursion, 0
	.set _ZL9rope_neoxILb1ELb1EffEvPKT1_PT2_iiiiiiiiiiPKifff14rope_corr_dimsfPKfPKli.has_indirect_call, 0
	.section	.AMDGPU.csdata,"",@progbits
; Kernel info:
; codeLenInByte = 4784
; TotalNumSgprs: 24
; NumVgprs: 24
; ScratchSize: 0
; MemoryBound: 0
; FloatMode: 240
; IeeeMode: 1
; LDSByteSize: 0 bytes/workgroup (compile time only)
; SGPRBlocks: 0
; VGPRBlocks: 1
; NumSGPRsForWavesPerEU: 24
; NumVGPRsForWavesPerEU: 24
; NamedBarCnt: 0
; Occupancy: 16
; WaveLimiterHint : 0
; COMPUTE_PGM_RSRC2:SCRATCH_EN: 0
; COMPUTE_PGM_RSRC2:USER_SGPR: 2
; COMPUTE_PGM_RSRC2:TRAP_HANDLER: 0
; COMPUTE_PGM_RSRC2:TGID_X_EN: 1
; COMPUTE_PGM_RSRC2:TGID_Y_EN: 1
; COMPUTE_PGM_RSRC2:TGID_Z_EN: 0
; COMPUTE_PGM_RSRC2:TIDIG_COMP_CNT: 1
	.section	.text._ZL9rope_neoxILb1ELb0Ef6__halfEvPKT1_PT2_iiiiiiiiiiPKifff14rope_corr_dimsfPKfPKli,"axG",@progbits,_ZL9rope_neoxILb1ELb0Ef6__halfEvPKT1_PT2_iiiiiiiiiiPKifff14rope_corr_dimsfPKfPKli,comdat
	.globl	_ZL9rope_neoxILb1ELb0Ef6__halfEvPKT1_PT2_iiiiiiiiiiPKifff14rope_corr_dimsfPKfPKli ; -- Begin function _ZL9rope_neoxILb1ELb0Ef6__halfEvPKT1_PT2_iiiiiiiiiiPKifff14rope_corr_dimsfPKfPKli
	.p2align	8
	.type	_ZL9rope_neoxILb1ELb0Ef6__halfEvPKT1_PT2_iiiiiiiiiiPKifff14rope_corr_dimsfPKfPKli,@function
_ZL9rope_neoxILb1ELb0Ef6__halfEvPKT1_PT2_iiiiiiiiiiPKifff14rope_corr_dimsfPKfPKli: ; @_ZL9rope_neoxILb1ELb0Ef6__halfEvPKT1_PT2_iiiiiiiiiiPKifff14rope_corr_dimsfPKfPKli
; %bb.0:
	s_clause 0x1
	s_load_u16 s3, s[0:1], 0x7e
	s_load_b256 s[4:11], s[0:1], 0x10
	s_bfe_u32 s2, ttmp6, 0x40010
	s_bfe_u32 s13, ttmp6, 0x40004
	s_add_co_i32 s2, s2, 1
	v_bfe_u32 v1, v0, 10, 10
	s_mul_i32 s12, ttmp7, s2
	s_getreg_b32 s2, hwreg(HW_REG_IB_STS2, 6, 4)
	s_add_co_i32 s13, s13, s12
	s_cmp_eq_u32 s2, 0
	s_cselect_b32 s12, ttmp7, s13
	s_wait_kmcnt 0x0
	s_mul_i32 s12, s12, s3
	s_mov_b32 s3, exec_lo
	v_add_lshl_u32 v3, s12, v1, 1
	s_delay_alu instid0(VALU_DEP_1)
	v_cmpx_gt_i32_e64 s4, v3
	s_cbranch_execz .LBB2_19
; %bb.1:
	s_add_nc_u64 s[12:13], s[0:1], 0x70
	s_bfe_u32 s4, ttmp6, 0x4000c
	s_load_b32 s3, s[12:13], 0xc
	s_add_co_i32 s4, s4, 1
	s_wait_xcnt 0x0
	s_and_b32 s12, ttmp6, 15
	s_mul_i32 s4, ttmp9, s4
	v_and_b32_e32 v0, 0x3ff, v0
	s_add_co_i32 s12, s12, s4
	s_load_b64 s[16:17], s[0:1], 0x30
	s_wait_kmcnt 0x0
	s_and_b32 s3, s3, 0xffff
	s_cmp_eq_u32 s2, 0
	s_mul_i32 s2, s6, s5
	s_cselect_b32 s4, ttmp9, s12
	s_abs_i32 s6, s2
	v_mad_u32 v2, s4, s3, v0
	s_cvt_f32_u32 s12, s6
	s_sub_co_i32 s4, 0, s6
	s_delay_alu instid0(SALU_CYCLE_2) | instskip(NEXT) | instid1(VALU_DEP_1)
	v_rcp_iflag_f32_e32 v1, s12
	v_sub_nc_u32_e32 v0, 0, v2
	s_delay_alu instid0(TRANS32_DEP_1) | instskip(NEXT) | instid1(VALU_DEP_2)
	v_readfirstlane_b32 s3, v1
	v_max_i32_e32 v0, v2, v0
	s_mul_f32 s3, s3, 0x4f7ffffe
	s_delay_alu instid0(SALU_CYCLE_3) | instskip(NEXT) | instid1(SALU_CYCLE_3)
	s_cvt_u32_f32 s3, s3
	s_mul_i32 s4, s4, s3
	s_delay_alu instid0(SALU_CYCLE_1) | instskip(NEXT) | instid1(SALU_CYCLE_1)
	s_mul_hi_u32 s4, s3, s4
	s_add_co_i32 s3, s3, s4
	s_delay_alu instid0(SALU_CYCLE_1) | instskip(SKIP_1) | instid1(VALU_DEP_1)
	v_mul_hi_u32 v1, v0, s3
	s_cvt_f32_u32 s3, s5
	v_mul_lo_u32 v4, v1, s6
	s_delay_alu instid0(VALU_DEP_1) | instskip(NEXT) | instid1(VALU_DEP_1)
	v_dual_sub_nc_u32 v0, v0, v4 :: v_dual_add_nc_u32 v4, 1, v1
	v_cmp_le_u32_e32 vcc_lo, s6, v0
	s_delay_alu instid0(VALU_DEP_2) | instskip(SKIP_1) | instid1(VALU_DEP_1)
	v_cndmask_b32_e32 v1, v1, v4, vcc_lo
	v_subrev_nc_u32_e32 v5, s6, v0
	v_dual_cndmask_b32 v0, v0, v5, vcc_lo :: v_dual_bitop2_b32 v4, s2, v2 bitop3:0x14
	s_delay_alu instid0(VALU_DEP_3) | instskip(NEXT) | instid1(VALU_DEP_2)
	v_add_nc_u32_e32 v5, 1, v1
	v_cmp_le_u32_e32 vcc_lo, s6, v0
	s_delay_alu instid0(VALU_DEP_2) | instskip(SKIP_1) | instid1(VALU_DEP_1)
	v_dual_ashrrev_i32 v4, 31, v4 :: v_dual_cndmask_b32 v0, v1, v5, vcc_lo
	v_rcp_iflag_f32_e32 v1, s3
	v_xor_b32_e32 v0, v0, v4
	s_delay_alu instid0(TRANS32_DEP_1) | instskip(NEXT) | instid1(VALU_DEP_2)
	v_readfirstlane_b32 s3, v1
	v_sub_nc_u32_e32 v0, v0, v4
	s_delay_alu instid0(VALU_DEP_1) | instskip(SKIP_2) | instid1(SALU_CYCLE_2)
	v_mul_lo_u32 v1, s2, v0
	s_mul_f32 s2, s3, 0x4f7ffffe
	s_sub_co_i32 s3, 0, s5
	s_cvt_u32_f32 s2, s2
	s_delay_alu instid0(SALU_CYCLE_3) | instskip(NEXT) | instid1(VALU_DEP_1)
	s_mul_i32 s3, s3, s2
	v_sub_nc_u32_e32 v2, v2, v1
	s_mul_hi_u32 s3, s2, s3
	s_delay_alu instid0(SALU_CYCLE_1)
	s_add_co_i32 s2, s2, s3
	s_delay_alu instid0(VALU_DEP_1) | instid1(SALU_CYCLE_1)
	v_mul_hi_u32 v1, v2, s2
	s_load_b32 s2, s[0:1], 0x68
	s_delay_alu instid0(VALU_DEP_1) | instskip(SKIP_2) | instid1(VALU_DEP_1)
	v_mul_lo_u32 v4, v1, s5
	s_wait_kmcnt 0x0
	s_cmp_eq_u32 s2, 0
	v_sub_nc_u32_e32 v4, v2, v4
	s_delay_alu instid0(VALU_DEP_1) | instskip(SKIP_1) | instid1(VALU_DEP_2)
	v_subrev_nc_u32_e32 v6, s5, v4
	v_cmp_le_u32_e32 vcc_lo, s5, v4
	v_dual_cndmask_b32 v4, v4, v6 :: v_dual_add_nc_u32 v5, 1, v1
	s_delay_alu instid0(VALU_DEP_1) | instskip(NEXT) | instid1(VALU_DEP_2)
	v_cndmask_b32_e32 v1, v1, v5, vcc_lo
	v_cmp_le_u32_e32 vcc_lo, s5, v4
	s_delay_alu instid0(VALU_DEP_2) | instskip(NEXT) | instid1(VALU_DEP_1)
	v_add_nc_u32_e32 v5, 1, v1
	v_cndmask_b32_e32 v4, v1, v5, vcc_lo
	s_cbranch_scc1 .LBB2_3
; %bb.2:
	s_load_b64 s[12:13], s[0:1], 0x60
	v_mov_b32_e32 v5, 0
	s_wait_kmcnt 0x0
	s_delay_alu instid0(VALU_DEP_1)
	v_lshl_add_u64 v[6:7], v[4:5], 3, s[12:13]
	global_load_b32 v1, v[6:7], off
	s_wait_loadcnt 0x0
	v_mul_lo_u32 v5, s2, v1
	s_branch .LBB2_4
.LBB2_3:
	v_mul_lo_u32 v1, v0, s16
	s_delay_alu instid0(VALU_DEP_1)
	v_mad_u32 v5, v4, s11, v1
.LBB2_4:
	v_mul_lo_u32 v6, v4, s5
	v_ashrrev_i32_e32 v1, 1, v3
	s_load_b128 s[12:15], s[0:1], 0x0
	s_mov_b32 s2, exec_lo
	s_delay_alu instid0(VALU_DEP_2) | instskip(NEXT) | instid1(VALU_DEP_2)
	v_sub_nc_u32_e32 v2, v2, v6
	v_mad_u32 v0, v0, s9, v1
	s_delay_alu instid0(VALU_DEP_2) | instskip(NEXT) | instid1(VALU_DEP_2)
	v_mul_lo_u32 v6, v2, s10
	v_mad_u32 v0, v4, s8, v0
	s_delay_alu instid0(VALU_DEP_1) | instskip(NEXT) | instid1(VALU_DEP_3)
	v_mad_u32 v2, v2, s7, v0
	v_add3_u32 v0, v6, v1, v5
	v_cmpx_le_i32_e64 s17, v3
	s_xor_b32 s2, exec_lo, s2
	s_cbranch_execz .LBB2_6
; %bb.5:
	s_delay_alu instid0(VALU_DEP_2)
	v_dual_add_nc_u32 v2, v2, v1 :: v_dual_add_nc_u32 v0, v0, v1
                                        ; implicit-def: $vgpr4
	s_wait_kmcnt 0x0
	global_load_b32 v3, v2, s[12:13] scale_offset
	s_wait_loadcnt 0x0
	v_cvt_f16_f32_e32 v3, v3
	global_store_b16 v0, v3, s[14:15] scale_offset
	global_load_b32 v1, v2, s[12:13] offset:4 scale_offset
                                        ; implicit-def: $vgpr2
                                        ; implicit-def: $vgpr3
	s_wait_loadcnt 0x0
	v_cvt_f16_f32_e32 v1, v1
	global_store_b16 v0, v1, s[14:15] offset:2 scale_offset
                                        ; implicit-def: $vgpr0
                                        ; implicit-def: $vgpr1
.LBB2_6:
	s_wait_xcnt 0x0
	s_and_not1_saveexec_b32 s2, s2
	s_cbranch_execz .LBB2_19
; %bb.7:
	s_load_b64 s[6:7], s[0:1], 0x50
	v_cvt_f32_i32_e32 v3, v3
	s_mov_b32 s4, 0x3e76c4e1
	s_clause 0x1
	s_load_b64 s[2:3], s[0:1], 0x38
	s_load_b128 s[8:11], s[0:1], 0x40
	v_mul_f32_e32 v3, 0.5, v3
	s_wait_kmcnt 0x0
	s_cmp_neq_f32 s7, 1.0
	global_load_b32 v22, v4, s[2:3] scale_offset
	s_cselect_b32 vcc_lo, -1, 0
	v_cndmask_b32_e32 v5, 1.0, v3, vcc_lo
	s_delay_alu instid0(VALU_DEP_1) | instskip(SKIP_1) | instid1(VALU_DEP_1)
	v_cmp_neq_f32_e32 vcc_lo, 0, v5
	v_cndmask_b32_e64 v3, 1.0, s7, vcc_lo
	v_frexp_mant_f32_e64 v6, |v3|
	v_cmp_lt_f32_e64 s7, |v3|, 1.0
	v_cmp_class_f32_e64 s0, v3, 0x204
	s_delay_alu instid0(VALU_DEP_3) | instskip(SKIP_1) | instid1(VALU_DEP_1)
	v_cmp_gt_f32_e32 vcc_lo, 0x3f2aaaab, v6
	v_cndmask_b32_e64 v7, 1.0, 2.0, vcc_lo
	v_mul_f32_e32 v6, v6, v7
	s_delay_alu instid0(VALU_DEP_1) | instskip(SKIP_1) | instid1(VALU_DEP_2)
	v_dual_add_f32 v9, 1.0, v6 :: v_dual_add_f32 v7, -1.0, v6
	v_cmp_neq_f32_e64 s5, v5, |v5|
	v_rcp_f32_e32 v12, v9
	v_add_f32_e32 v10, -1.0, v9
	s_xor_b32 s5, s5, s7
	s_delay_alu instid0(TRANS32_DEP_1) | instid1(VALU_DEP_1)
	v_dual_mul_f32 v13, v7, v12 :: v_dual_sub_f32 v6, v6, v10
	s_delay_alu instid0(VALU_DEP_1) | instskip(NEXT) | instid1(VALU_DEP_1)
	v_mul_f32_e32 v8, v9, v13
	v_fma_f32 v10, v13, v9, -v8
	s_delay_alu instid0(VALU_DEP_1) | instskip(NEXT) | instid1(VALU_DEP_1)
	v_fmac_f32_e32 v10, v13, v6
	v_add_f32_e32 v6, v8, v10
	s_delay_alu instid0(VALU_DEP_1) | instskip(NEXT) | instid1(VALU_DEP_1)
	v_dual_sub_f32 v9, v7, v6 :: v_dual_mov_b32 v11, v6
	v_pk_add_f32 v[6:7], v[6:7], v[8:9] neg_lo:[0,1] neg_hi:[0,1]
	s_delay_alu instid0(VALU_DEP_1) | instskip(NEXT) | instid1(VALU_DEP_1)
	v_pk_add_f32 v[6:7], v[6:7], v[10:11] neg_lo:[0,1] neg_hi:[0,1]
	v_add_f32_e32 v6, v6, v7
	s_delay_alu instid0(VALU_DEP_1) | instskip(NEXT) | instid1(VALU_DEP_1)
	v_add_f32_e32 v6, v9, v6
	v_mul_f32_e32 v7, v12, v6
	s_delay_alu instid0(VALU_DEP_1) | instskip(NEXT) | instid1(VALU_DEP_1)
	v_add_f32_e32 v6, v13, v7
	v_sub_f32_e32 v8, v6, v13
	s_delay_alu instid0(VALU_DEP_1) | instskip(NEXT) | instid1(VALU_DEP_1)
	v_sub_f32_e32 v18, v7, v8
	v_add_f32_e32 v8, v18, v18
	v_mul_f32_e32 v9, v6, v6
	s_delay_alu instid0(VALU_DEP_1) | instskip(NEXT) | instid1(VALU_DEP_1)
	v_fma_f32 v7, v6, v6, -v9
	v_fmac_f32_e32 v7, v6, v8
	s_delay_alu instid0(VALU_DEP_1) | instskip(NEXT) | instid1(VALU_DEP_1)
	v_add_f32_e32 v8, v9, v7
	v_dual_fmaak_f32 v10, s4, v8, 0x3e91f4c4 :: v_dual_sub_f32 v9, v8, v9
	v_cmp_eq_f32_e64 s4, 0, v3
	s_delay_alu instid0(VALU_DEP_2) | instskip(SKIP_1) | instid1(VALU_DEP_2)
	v_fmaak_f32 v12, v8, v10, 0x3ecccdef
	v_cvt_f64_f32_e64 v[10:11], |v3|
	v_dual_sub_f32 v16, v7, v9 :: v_dual_mul_f32 v13, v8, v12
	s_delay_alu instid0(VALU_DEP_1) | instskip(NEXT) | instid1(VALU_DEP_1)
	v_fma_f32 v7, v8, v12, -v13
	v_fmac_f32_e32 v7, v16, v12
	s_wait_xcnt 0x0
	s_delay_alu instid0(VALU_DEP_1) | instskip(NEXT) | instid1(VALU_DEP_1)
	v_add_f32_e32 v4, v13, v7
	v_sub_f32_e32 v9, v4, v13
	v_add_f32_e32 v13, 0x3f2aaaaa, v4
	s_delay_alu instid0(VALU_DEP_2) | instskip(NEXT) | instid1(VALU_DEP_2)
	v_sub_f32_e32 v7, v7, v9
	v_add_f32_e32 v9, 0xbf2aaaaa, v13
	v_frexp_exp_i32_f64_e32 v17, v[10:11]
	s_delay_alu instid0(VALU_DEP_3) | instskip(NEXT) | instid1(VALU_DEP_3)
	v_add_f32_e32 v7, 0x31739010, v7
	v_sub_f32_e32 v9, v4, v9
	s_delay_alu instid0(VALU_DEP_1) | instskip(NEXT) | instid1(VALU_DEP_1)
	v_pk_mul_f32 v[10:11], v[6:7], v[8:9]
	v_fma_f32 v12, v8, v6, -v10
	s_delay_alu instid0(VALU_DEP_1) | instskip(NEXT) | instid1(VALU_DEP_1)
	v_fmac_f32_e32 v12, v8, v18
	v_fmac_f32_e32 v12, v16, v6
	v_pk_add_f32 v[14:15], v[6:7], v[8:9]
	s_delay_alu instid0(VALU_DEP_1) | instskip(SKIP_1) | instid1(VALU_DEP_2)
	v_mov_b32_e32 v11, v15
	v_subrev_co_ci_u32_e64 v7, null, 0, v17, vcc_lo
	v_pk_add_f32 v[8:9], v[10:11], v[12:13]
	s_delay_alu instid0(VALU_DEP_1) | instskip(NEXT) | instid1(VALU_DEP_1)
	v_mov_b32_e32 v4, v9
	v_pk_mul_f32 v[16:17], v[8:9], v[4:5]
	v_sub_f32_e32 v11, v13, v9
	v_cvt_f32_i32_e32 v4, v7
	s_delay_alu instid0(VALU_DEP_3) | instskip(NEXT) | instid1(VALU_DEP_2)
	v_dual_sub_f32 v7, v8, v10 :: v_dual_fma_f32 v10, v8, v9, -v16
	v_dual_add_f32 v11, v15, v11 :: v_dual_mul_f32 v14, 0x3f317218, v4
	s_delay_alu instid0(VALU_DEP_2) | instskip(NEXT) | instid1(VALU_DEP_2)
	v_sub_f32_e32 v7, v12, v7
	v_fmac_f32_e32 v10, v8, v11
	s_delay_alu instid0(VALU_DEP_3) | instskip(NEXT) | instid1(VALU_DEP_2)
	v_fma_f32 v8, 0x3f317218, v4, -v14
	v_fmac_f32_e32 v10, v7, v9
	v_ldexp_f32 v9, v6, 1
	s_delay_alu instid0(VALU_DEP_2) | instskip(NEXT) | instid1(VALU_DEP_2)
	v_add_f32_e32 v15, v16, v10
	v_dual_fmamk_f32 v8, v4, 0xb102e308, v8 :: v_dual_mov_b32 v17, v9
	v_ldexp_f32 v4, v18, 1
	s_delay_alu instid0(VALU_DEP_3) | instskip(NEXT) | instid1(VALU_DEP_3)
	v_mov_b32_e32 v11, v15
	v_pk_add_f32 v[6:7], v[14:15], v[8:9]
	s_delay_alu instid0(VALU_DEP_1) | instskip(SKIP_1) | instid1(VALU_DEP_1)
	v_dual_mov_b32 v13, v7 :: v_dual_mov_b32 v9, v6
	v_dual_mov_b32 v12, v15 :: v_dual_mov_b32 v20, v7
	v_pk_add_f32 v[12:13], v[12:13], v[16:17] neg_lo:[0,1] neg_hi:[0,1]
	s_delay_alu instid0(VALU_DEP_1) | instskip(NEXT) | instid1(VALU_DEP_1)
	v_pk_add_f32 v[10:11], v[10:11], v[12:13] neg_lo:[0,1] neg_hi:[0,1]
	v_add_f32_e32 v4, v4, v10
	s_delay_alu instid0(VALU_DEP_1) | instskip(NEXT) | instid1(VALU_DEP_1)
	v_add_f32_e32 v15, v4, v11
	v_pk_add_f32 v[10:11], v[6:7], v[14:15]
	v_pk_add_f32 v[12:13], v[6:7], v[14:15] neg_lo:[0,1] neg_hi:[0,1]
	s_delay_alu instid0(VALU_DEP_2) | instskip(NEXT) | instid1(VALU_DEP_1)
	v_mov_b32_e32 v13, v11
	v_pk_add_f32 v[16:17], v[8:9], v[12:13]
	v_pk_add_f32 v[8:9], v[8:9], v[12:13] neg_lo:[0,1] neg_hi:[0,1]
	s_delay_alu instid0(VALU_DEP_2) | instskip(NEXT) | instid1(VALU_DEP_1)
	v_dual_mov_b32 v4, v17 :: v_dual_mov_b32 v9, v17
	v_pk_add_f32 v[18:19], v[4:5], v[6:7] neg_lo:[0,1] neg_hi:[0,1]
	v_dual_mov_b32 v16, v11 :: v_dual_mov_b32 v7, v6
	s_delay_alu instid0(VALU_DEP_2) | instskip(SKIP_1) | instid1(VALU_DEP_2)
	v_dual_mov_b32 v6, v15 :: v_dual_mov_b32 v21, v18
	v_mov_b32_e32 v15, v18
	v_pk_add_f32 v[12:13], v[16:17], v[20:21] neg_lo:[0,1] neg_hi:[0,1]
	s_delay_alu instid0(VALU_DEP_2) | instskip(SKIP_1) | instid1(VALU_DEP_3)
	v_pk_add_f32 v[10:11], v[10:11], v[14:15] neg_lo:[0,1] neg_hi:[0,1]
	v_mov_b32_e32 v10, v8
	v_pk_add_f32 v[6:7], v[6:7], v[12:13] neg_lo:[0,1] neg_hi:[0,1]
	s_delay_alu instid0(VALU_DEP_1) | instskip(NEXT) | instid1(VALU_DEP_1)
	v_pk_add_f32 v[10:11], v[10:11], v[6:7]
	v_mov_b32_e32 v12, v11
	s_delay_alu instid0(VALU_DEP_1) | instskip(NEXT) | instid1(VALU_DEP_1)
	v_pk_add_f32 v[12:13], v[10:11], v[12:13]
	v_pk_add_f32 v[14:15], v[4:5], v[12:13]
	s_delay_alu instid0(VALU_DEP_1) | instskip(NEXT) | instid1(VALU_DEP_1)
	v_dual_mov_b32 v7, v12 :: v_dual_mov_b32 v11, v14
	v_pk_add_f32 v[16:17], v[10:11], v[8:9] neg_lo:[0,1] neg_hi:[0,1]
	s_delay_alu instid0(VALU_DEP_1) | instskip(NEXT) | instid1(VALU_DEP_2)
	v_sub_f32_e32 v4, v10, v16
	v_pk_add_f32 v[6:7], v[6:7], v[16:17] neg_lo:[0,1] neg_hi:[0,1]
	s_delay_alu instid0(VALU_DEP_2) | instskip(NEXT) | instid1(VALU_DEP_1)
	v_sub_f32_e32 v4, v8, v4
	v_add_f32_e32 v4, v6, v4
	s_delay_alu instid0(VALU_DEP_1) | instskip(NEXT) | instid1(VALU_DEP_1)
	v_add_f32_e32 v4, v4, v7
	v_add_f32_e32 v6, v14, v4
	s_delay_alu instid0(VALU_DEP_1) | instskip(NEXT) | instid1(VALU_DEP_1)
	v_sub_f32_e32 v7, v6, v14
	v_dual_sub_f32 v4, v4, v7 :: v_dual_mul_f32 v8, v5, v6
	s_delay_alu instid0(VALU_DEP_1) | instskip(SKIP_1) | instid1(VALU_DEP_2)
	v_fma_f32 v6, v5, v6, -v8
	v_cmp_class_f32_e64 vcc_lo, v8, 0x204
	v_fmac_f32_e32 v6, v5, v4
	s_delay_alu instid0(VALU_DEP_1) | instskip(NEXT) | instid1(VALU_DEP_1)
	v_add_f32_e32 v4, v8, v6
	v_cndmask_b32_e32 v7, v4, v8, vcc_lo
	s_delay_alu instid0(VALU_DEP_1) | instskip(SKIP_1) | instid1(VALU_DEP_1)
	v_cmp_eq_f32_e32 vcc_lo, 0x42b17218, v7
	v_cndmask_b32_e64 v9, 0, 0x37000000, vcc_lo
	v_sub_f32_e32 v10, v7, v9
	s_delay_alu instid0(VALU_DEP_1) | instskip(NEXT) | instid1(VALU_DEP_1)
	v_mul_f32_e32 v11, 0x3fb8aa3b, v10
	v_fma_f32 v12, 0x3fb8aa3b, v10, -v11
	v_rndne_f32_e32 v13, v11
	s_delay_alu instid0(VALU_DEP_1) | instskip(SKIP_3) | instid1(VALU_DEP_4)
	v_dual_fmamk_f32 v12, v10, 0x32a5705f, v12 :: v_dual_sub_f32 v11, v11, v13
	v_sub_f32_e32 v4, v4, v8
	v_cmp_neq_f32_e64 vcc_lo, 0x7f800000, |v7|
	v_trunc_f32_e32 v7, v5
	v_add_f32_e32 v11, v11, v12
	s_delay_alu instid0(VALU_DEP_4) | instskip(NEXT) | instid1(VALU_DEP_2)
	v_sub_f32_e32 v4, v6, v4
	v_exp_f32_e32 v8, v11
	v_nop
	v_cvt_i32_f32_e32 v11, v13
	s_delay_alu instid0(VALU_DEP_3)
	v_cndmask_b32_e32 v4, 0, v4, vcc_lo
	v_cmp_ngt_f32_e32 vcc_lo, 0xc2ce8ed0, v10
	s_delay_alu instid0(TRANS32_DEP_1) | instid1(VALU_DEP_3)
	v_ldexp_f32 v6, v8, v11
	s_delay_alu instid0(VALU_DEP_1) | instskip(NEXT) | instid1(VALU_DEP_1)
	v_dual_mul_f32 v8, 0.5, v5 :: v_dual_cndmask_b32 v6, 0, v6, vcc_lo
	v_trunc_f32_e32 v11, v8
	v_cmp_nlt_f32_e32 vcc_lo, 0x42b17218, v10
	s_delay_alu instid0(VALU_DEP_2) | instskip(NEXT) | instid1(VALU_DEP_4)
	v_cmp_neq_f32_e64 s2, v11, v8
	v_cndmask_b32_e32 v6, 0x7f800000, v6, vcc_lo
	v_cmp_eq_f32_e32 vcc_lo, v7, v5
	s_delay_alu instid0(VALU_DEP_2) | instskip(SKIP_1) | instid1(SALU_CYCLE_1)
	v_cmp_class_f32_e64 s3, v6, 0x204
	s_and_b32 s2, vcc_lo, s2
	v_dual_add_f32 v4, v9, v4 :: v_dual_cndmask_b32 v9, 0, v3, s2
	s_delay_alu instid0(VALU_DEP_1) | instskip(NEXT) | instid1(VALU_DEP_1)
	v_dual_cndmask_b32 v7, 1.0, v3, s2 :: v_dual_fma_f32 v4, v6, v4, v6
	v_cndmask_b32_e64 v4, v4, v6, s3
	v_cndmask_b32_e64 v6, 0x7f800000, 0, s5
	v_cmp_gt_f32_e64 s3, 0, v5
	s_delay_alu instid0(VALU_DEP_3) | instskip(SKIP_1) | instid1(SALU_CYCLE_1)
	v_bfi_b32 v4, 0x7fffffff, v4, v7
	s_xor_b32 s3, s3, s4
	v_cndmask_b32_e64 v7, 0x7f800000, 0, s3
	s_delay_alu instid0(VALU_DEP_2) | instskip(SKIP_1) | instid1(VALU_DEP_3)
	v_cndmask_b32_e32 v8, 0x7fc00000, v4, vcc_lo
	v_cmp_neq_f32_e64 vcc_lo, |v3|, 1.0
	v_bfi_b32 v7, 0x7fffffff, v7, v9
	v_cndmask_b32_e32 v6, 1.0, v6, vcc_lo
	v_cmp_gt_f32_e32 vcc_lo, 0, v3
	v_cndmask_b32_e32 v4, v4, v8, vcc_lo
	v_cmp_class_f32_e64 vcc_lo, v5, 0x204
	s_wait_loadcnt 0x0
	v_cvt_f32_i32_e32 v5, v22
	s_delay_alu instid0(VALU_DEP_3) | instskip(SKIP_2) | instid1(VALU_DEP_1)
	v_cndmask_b32_e32 v4, v4, v6, vcc_lo
	s_or_b32 vcc_lo, s4, s0
	s_cmp_eq_f32 s9, 0
	v_cndmask_b32_e32 v4, v4, v7, vcc_lo
	v_cmp_o_f32_e32 vcc_lo, v3, v3
	s_delay_alu instid0(VALU_DEP_2) | instskip(NEXT) | instid1(VALU_DEP_1)
	v_cndmask_b32_e32 v3, 0x7fc00000, v4, vcc_lo
	v_mul_f32_e32 v4, v3, v5
	s_delay_alu instid0(VALU_DEP_1)
	v_mul_f32_e32 v5, s8, v4
	s_cbranch_scc1 .LBB2_9
; %bb.8:
	v_cvt_f32_i32_e32 v1, v1
	s_sub_f32 s0, s6, s11
	v_div_scale_f32 v6, null, s8, s8, 1.0
	s_delay_alu instid0(SALU_CYCLE_2) | instskip(SKIP_4) | instid1(VALU_DEP_3)
	s_max_num_f32 s1, s0, 0x3a83126f
	v_subrev_f32_e32 v1, s11, v1
	v_rcp_f32_e32 v8, v6
	v_nop
	v_xor_b32_e32 v6, 0x80000000, v6
	v_div_scale_f32 v3, null, s1, s1, v1
	s_delay_alu instid0(TRANS32_DEP_1) | instid1(VALU_DEP_2)
	v_fma_f32 v10, v6, v8, 1.0
	s_delay_alu instid0(VALU_DEP_2) | instskip(SKIP_1) | instid1(TRANS32_DEP_1)
	v_rcp_f32_e32 v7, v3
	v_nop
	v_fma_f32 v9, -v3, v7, 1.0
	s_delay_alu instid0(VALU_DEP_1) | instskip(SKIP_2) | instid1(VALU_DEP_2)
	v_fmac_f32_e32 v7, v9, v7
	v_div_scale_f32 v11, vcc_lo, v1, s1, v1
	v_div_scale_f32 v9, s0, 1.0, s8, 1.0
	v_dual_fmac_f32 v8, v10, v8 :: v_dual_mul_f32 v10, v11, v7
	s_delay_alu instid0(VALU_DEP_1) | instskip(NEXT) | instid1(VALU_DEP_1)
	v_dual_mul_f32 v12, v9, v8 :: v_dual_fma_f32 v13, -v3, v10, v11
	v_dual_fma_f32 v14, v6, v12, v9 :: v_dual_fmac_f32 v10, v13, v7
	s_delay_alu instid0(VALU_DEP_1) | instskip(NEXT) | instid1(VALU_DEP_1)
	v_dual_fmac_f32 v12, v14, v8 :: v_dual_fma_f32 v3, -v3, v10, v11
	v_fmac_f32_e32 v9, v6, v12
	s_delay_alu instid0(VALU_DEP_2) | instskip(SKIP_1) | instid1(VALU_DEP_2)
	v_div_fmas_f32 v3, v3, v7, v10
	s_mov_b32 vcc_lo, s0
	v_div_fmas_f32 v6, v9, v8, v12
	s_delay_alu instid0(VALU_DEP_2) | instskip(NEXT) | instid1(VALU_DEP_2)
	v_div_fixup_f32 v1, v3, s1, v1 clamp
	v_div_fixup_f32 v6, v6, s8, 1.0
	s_delay_alu instid0(VALU_DEP_1) | instskip(SKIP_2) | instid1(SALU_CYCLE_1)
	v_readfirstlane_b32 s0, v6
	s_cmp_lt_f32 s0, 0x800000
	s_cselect_b32 s0, 0x4f800000, 1.0
	v_mul_f32_e32 v6, s0, v6
	s_cselect_b32 s0, 0x41b17218, 0
	s_delay_alu instid0(VALU_DEP_1) | instskip(SKIP_1) | instid1(TRANS32_DEP_1)
	v_log_f32_e32 v6, v6
	v_nop
	v_and_b32_e32 v3, 0x7fffffff, v6
	s_delay_alu instid0(VALU_DEP_1) | instskip(SKIP_2) | instid1(VALU_DEP_1)
	v_cmp_gt_f32_e32 vcc_lo, 0x7f800000, v3
	v_sub_f32_e32 v1, 1.0, v1
	v_mul_f32_e32 v7, 0x3f317217, v6
	v_xor_b32_e32 v7, 0x80000000, v7
	s_delay_alu instid0(VALU_DEP_1) | instskip(NEXT) | instid1(VALU_DEP_1)
	v_fmac_f32_e32 v7, 0x3f317217, v6
	v_fmamk_f32 v7, v6, 0x3377d1cf, v7
	s_delay_alu instid0(VALU_DEP_1) | instskip(NEXT) | instid1(VALU_DEP_1)
	v_fmac_f32_e32 v7, 0x3f317217, v6
	v_dual_cndmask_b32 v3, v6, v7 :: v_dual_mul_f32 v6, s9, v1
	v_fma_f32 v7, -s9, v1, 1.0
	s_delay_alu instid0(VALU_DEP_2) | instskip(NEXT) | instid1(VALU_DEP_2)
	v_dual_mov_b32 v1, 1.0 :: v_dual_subrev_f32 v3, s0, v3
	v_pk_mul_f32 v[4:5], v[6:7], v[4:5]
	s_delay_alu instid0(VALU_DEP_2) | instskip(NEXT) | instid1(VALU_DEP_2)
	v_fmamk_f32 v1, v3, 0x3dcccccd, v1
	v_add_f32_e32 v5, v4, v5
	s_delay_alu instid0(VALU_DEP_2)
	v_mul_f32_e32 v6, s10, v1
	s_branch .LBB2_10
.LBB2_9:
	v_mov_b32_e32 v6, s10
.LBB2_10:
	s_delay_alu instid0(VALU_DEP_2) | instskip(SKIP_1) | instid1(VALU_DEP_2)
	v_and_b32_e32 v1, 0x7fffffff, v5
	v_cmp_ngt_f32_e64 s2, 0x48000000, |v5|
                                        ; implicit-def: $vgpr7
                                        ; implicit-def: $vgpr4
	v_lshrrev_b32_e32 v3, 23, v1
	s_and_saveexec_b32 s0, s2
	s_delay_alu instid0(SALU_CYCLE_1)
	s_xor_b32 s3, exec_lo, s0
	s_cbranch_execz .LBB2_12
; %bb.11:
	s_mov_b32 s0, 0x7fffff
	v_mov_b32_e32 v9, 0
	v_and_or_b32 v8, v1, s0, 0x800000
	s_mov_b64 s[0:1], 0xfe5163ab
	s_delay_alu instid0(VALU_DEP_1) | instid1(SALU_CYCLE_1)
	v_mul_u64_e32 v[10:11], s[0:1], v[8:9]
	s_delay_alu instid0(VALU_DEP_1) | instskip(SKIP_2) | instid1(VALU_DEP_3)
	v_dual_mov_b32 v12, v11 :: v_dual_mov_b32 v13, v9
	v_dual_mov_b32 v15, v9 :: v_dual_mov_b32 v17, v9
	;; [unrolled: 1-line block ×3, first 2 shown]
	v_mad_nc_u64_u32 v[12:13], 0x3c439041, v8, v[12:13]
	s_delay_alu instid0(VALU_DEP_1) | instskip(NEXT) | instid1(VALU_DEP_1)
	v_dual_mov_b32 v23, v9 :: v_dual_mov_b32 v14, v13
	v_mad_nc_u64_u32 v[14:15], 0xdb629599, v8, v[14:15]
	s_delay_alu instid0(VALU_DEP_1) | instskip(NEXT) | instid1(VALU_DEP_1)
	v_mov_b32_e32 v16, v15
	v_mad_nc_u64_u32 v[16:17], 0xf534ddc0, v8, v[16:17]
	s_delay_alu instid0(VALU_DEP_1) | instskip(NEXT) | instid1(VALU_DEP_1)
	v_mov_b32_e32 v18, v17
	;; [unrolled: 3-line block ×3, first 2 shown]
	v_mad_nc_u64_u32 v[20:21], 0x4e441529, v8, v[20:21]
	v_add_nc_u32_e32 v4, 0xffffff88, v3
	s_delay_alu instid0(VALU_DEP_1) | instskip(SKIP_1) | instid1(VALU_DEP_4)
	v_cmp_lt_u32_e32 vcc_lo, 63, v4
	v_cndmask_b32_e64 v7, 0, 0xffffffc0, vcc_lo
	v_dual_cndmask_b32 v11, v20, v16 :: v_dual_mov_b32 v22, v21
	s_delay_alu instid0(VALU_DEP_2) | instskip(NEXT) | instid1(VALU_DEP_2)
	v_dual_cndmask_b32 v13, v18, v14 :: v_dual_add_nc_u32 v4, v7, v4
	v_mad_nc_u64_u32 v[8:9], 0xa2f9836e, v8, v[22:23]
	s_delay_alu instid0(VALU_DEP_2) | instskip(NEXT) | instid1(VALU_DEP_1)
	v_cmp_lt_u32_e64 s0, 31, v4
	v_cndmask_b32_e64 v7, 0, 0xffffffe0, s0
	s_delay_alu instid0(VALU_DEP_3) | instskip(NEXT) | instid1(VALU_DEP_2)
	v_dual_cndmask_b32 v8, v8, v18 :: v_dual_cndmask_b32 v9, v9, v20
	v_add_nc_u32_e32 v4, v7, v4
	s_delay_alu instid0(VALU_DEP_1) | instskip(NEXT) | instid1(VALU_DEP_1)
	v_cmp_lt_u32_e64 s1, 31, v4
	v_cndmask_b32_e64 v7, 0, 0xffffffe0, s1
	s_delay_alu instid0(VALU_DEP_1) | instskip(SKIP_2) | instid1(VALU_DEP_3)
	v_add_nc_u32_e32 v4, v7, v4
	v_cndmask_b32_e32 v7, v16, v12, vcc_lo
	v_dual_cndmask_b32 v12, v8, v11, s0 :: v_dual_cndmask_b32 v8, v9, v8, s0
	v_dual_cndmask_b32 v9, v11, v13, s0 :: v_dual_sub_nc_u32 v11, 32, v4
	s_delay_alu instid0(VALU_DEP_2) | instskip(NEXT) | instid1(VALU_DEP_2)
	v_dual_cndmask_b32 v13, v13, v7, s0 :: v_dual_cndmask_b32 v8, v8, v12, s1
	v_cndmask_b32_e64 v12, v12, v9, s1
	s_delay_alu instid0(VALU_DEP_2) | instskip(NEXT) | instid1(VALU_DEP_2)
	v_cndmask_b32_e64 v9, v9, v13, s1
	v_alignbit_b32 v15, v8, v12, v11
	v_cndmask_b32_e32 v10, v14, v10, vcc_lo
	v_cmp_eq_u32_e32 vcc_lo, 0, v4
	s_delay_alu instid0(VALU_DEP_4) | instskip(NEXT) | instid1(VALU_DEP_4)
	v_alignbit_b32 v14, v12, v9, v11
	v_cndmask_b32_e32 v4, v15, v8, vcc_lo
	s_delay_alu instid0(VALU_DEP_2) | instskip(NEXT) | instid1(VALU_DEP_2)
	v_dual_cndmask_b32 v7, v7, v10, s0 :: v_dual_cndmask_b32 v8, v14, v12, vcc_lo
	v_bfe_u32 v10, v4, 29, 1
	s_delay_alu instid0(VALU_DEP_2) | instskip(NEXT) | instid1(VALU_DEP_3)
	v_cndmask_b32_e64 v7, v13, v7, s1
	v_alignbit_b32 v12, v4, v8, 30
	s_delay_alu instid0(VALU_DEP_3) | instskip(NEXT) | instid1(VALU_DEP_3)
	v_sub_nc_u32_e32 v13, 0, v10
	v_alignbit_b32 v11, v9, v7, v11
	s_delay_alu instid0(VALU_DEP_2) | instskip(NEXT) | instid1(VALU_DEP_2)
	v_xor_b32_e32 v12, v12, v13
	v_cndmask_b32_e32 v9, v11, v9, vcc_lo
	s_delay_alu instid0(VALU_DEP_2) | instskip(NEXT) | instid1(VALU_DEP_2)
	v_clz_i32_u32_e32 v11, v12
	v_alignbit_b32 v8, v8, v9, 30
	v_alignbit_b32 v7, v9, v7, 30
	s_delay_alu instid0(VALU_DEP_3) | instskip(NEXT) | instid1(VALU_DEP_3)
	v_min_u32_e32 v11, 32, v11
	v_xor_b32_e32 v8, v8, v13
	s_delay_alu instid0(VALU_DEP_3) | instskip(NEXT) | instid1(VALU_DEP_3)
	v_dual_lshrrev_b32 v13, 29, v4 :: v_dual_bitop2_b32 v7, v7, v13 bitop3:0x14
	v_dual_sub_nc_u32 v9, 31, v11 :: v_dual_lshlrev_b32 v14, 23, v11
	s_delay_alu instid0(VALU_DEP_1) | instskip(NEXT) | instid1(VALU_DEP_3)
	v_alignbit_b32 v12, v12, v8, v9
	v_alignbit_b32 v7, v8, v7, v9
	s_delay_alu instid0(VALU_DEP_4) | instskip(NEXT) | instid1(VALU_DEP_2)
	v_lshlrev_b32_e32 v8, 31, v13
	v_alignbit_b32 v9, v12, v7, 9
	s_delay_alu instid0(VALU_DEP_2) | instskip(SKIP_2) | instid1(VALU_DEP_4)
	v_or_b32_e32 v13, 0.5, v8
	v_lshrrev_b32_e32 v12, 9, v12
	v_or_b32_e32 v8, 0x33000000, v8
	v_clz_i32_u32_e32 v15, v9
	s_delay_alu instid0(VALU_DEP_4) | instskip(NEXT) | instid1(VALU_DEP_2)
	v_sub_nc_u32_e32 v13, v13, v14
	v_min_u32_e32 v14, 32, v15
	s_delay_alu instid0(VALU_DEP_2) | instskip(NEXT) | instid1(VALU_DEP_2)
	v_or_b32_e32 v12, v12, v13
	v_not_b32_e32 v13, v14
	v_add_lshl_u32 v11, v14, v11, 23
	s_delay_alu instid0(VALU_DEP_2) | instskip(NEXT) | instid1(VALU_DEP_2)
	v_alignbit_b32 v7, v9, v7, v13
	v_sub_nc_u32_e32 v8, v8, v11
	s_delay_alu instid0(VALU_DEP_2) | instskip(SKIP_1) | instid1(VALU_DEP_2)
	v_lshrrev_b32_e32 v7, 9, v7
	v_mul_f32_e32 v15, 0x3fc90fda, v12
	v_or_b32_e32 v7, v8, v7
	s_delay_alu instid0(VALU_DEP_2) | instskip(NEXT) | instid1(VALU_DEP_1)
	v_fma_f32 v9, 0x3fc90fda, v12, -v15
	v_fmamk_f32 v9, v12, 0x33a22168, v9
	s_delay_alu instid0(VALU_DEP_1) | instskip(NEXT) | instid1(VALU_DEP_1)
	v_fmac_f32_e32 v9, 0x3fc90fda, v7
	v_dual_add_f32 v4, v15, v9 :: v_dual_lshrrev_b32 v7, 30, v4
	s_delay_alu instid0(VALU_DEP_1)
	v_add_nc_u32_e32 v7, v10, v7
	s_or_saveexec_b32 s0, s3
	v_mul_f32_e64 v10, 0x3f22f983, |v5|
	s_xor_b32 exec_lo, exec_lo, s0
	s_branch .LBB2_13
.LBB2_12:
	s_or_saveexec_b32 s0, s3
	v_mul_f32_e64 v10, 0x3f22f983, |v5|
	s_xor_b32 exec_lo, exec_lo, s0
.LBB2_13:
	s_delay_alu instid0(VALU_DEP_1) | instskip(NEXT) | instid1(VALU_DEP_1)
	v_rndne_f32_e32 v7, v10
	v_fma_f32 v4, 0xbfc90fda, v7, |v5|
	s_delay_alu instid0(VALU_DEP_1) | instskip(NEXT) | instid1(VALU_DEP_1)
	v_fmamk_f32 v4, v7, 0xb3a22168, v4
	v_fmamk_f32 v4, v7, 0xa7c234c4, v4
	v_cvt_i32_f32_e32 v7, v7
; %bb.14:
	s_or_b32 exec_lo, exec_lo, s0
                                        ; implicit-def: $vgpr9
                                        ; implicit-def: $vgpr8
	s_and_saveexec_b32 s0, s2
	s_delay_alu instid0(SALU_CYCLE_1)
	s_xor_b32 s2, exec_lo, s0
	s_cbranch_execz .LBB2_16
; %bb.15:
	s_mov_b32 s0, 0x7fffff
	v_mov_b32_e32 v9, 0
	v_and_or_b32 v8, v1, s0, 0x800000
	s_mov_b64 s[0:1], 0xfe5163ab
	v_add_nc_u32_e32 v3, 0xffffff88, v3
	s_delay_alu instid0(VALU_DEP_2) | instskip(NEXT) | instid1(VALU_DEP_2)
	v_mul_u64_e32 v[10:11], s[0:1], v[8:9]
	v_cmp_lt_u32_e32 vcc_lo, 63, v3
	s_delay_alu instid0(VALU_DEP_2) | instskip(SKIP_2) | instid1(VALU_DEP_3)
	v_dual_mov_b32 v12, v11 :: v_dual_mov_b32 v13, v9
	v_dual_mov_b32 v15, v9 :: v_dual_mov_b32 v17, v9
	v_dual_mov_b32 v19, v9 :: v_dual_mov_b32 v21, v9
	v_mad_nc_u64_u32 v[12:13], 0x3c439041, v8, v[12:13]
	v_cndmask_b32_e64 v11, 0, 0xffffffc0, vcc_lo
	s_delay_alu instid0(VALU_DEP_1) | instskip(NEXT) | instid1(VALU_DEP_3)
	v_dual_mov_b32 v23, v9 :: v_dual_add_nc_u32 v3, v11, v3
	v_mov_b32_e32 v14, v13
	s_delay_alu instid0(VALU_DEP_2) | instskip(NEXT) | instid1(VALU_DEP_2)
	v_cmp_lt_u32_e64 s0, 31, v3
	v_mad_nc_u64_u32 v[14:15], 0xdb629599, v8, v[14:15]
	s_delay_alu instid0(VALU_DEP_2) | instskip(NEXT) | instid1(VALU_DEP_1)
	v_cndmask_b32_e64 v11, 0, 0xffffffe0, s0
	v_add_nc_u32_e32 v3, v11, v3
	s_delay_alu instid0(VALU_DEP_3) | instskip(NEXT) | instid1(VALU_DEP_2)
	v_mov_b32_e32 v16, v15
	v_cmp_lt_u32_e64 s1, 31, v3
	v_cndmask_b32_e32 v10, v14, v10, vcc_lo
	s_delay_alu instid0(VALU_DEP_3) | instskip(NEXT) | instid1(VALU_DEP_3)
	v_mad_nc_u64_u32 v[16:17], 0xf534ddc0, v8, v[16:17]
	v_cndmask_b32_e64 v11, 0, 0xffffffe0, s1
	s_delay_alu instid0(VALU_DEP_1) | instskip(NEXT) | instid1(VALU_DEP_3)
	v_dual_add_nc_u32 v3, v11, v3 :: v_dual_cndmask_b32 v11, v16, v12, vcc_lo
	v_mov_b32_e32 v18, v17
	s_delay_alu instid0(VALU_DEP_1) | instskip(NEXT) | instid1(VALU_DEP_1)
	v_mad_nc_u64_u32 v[18:19], 0xfc2757d1, v8, v[18:19]
	v_dual_mov_b32 v20, v19 :: v_dual_cndmask_b32 v15, v18, v14
	s_delay_alu instid0(VALU_DEP_1) | instskip(NEXT) | instid1(VALU_DEP_1)
	v_mad_nc_u64_u32 v[20:21], 0x4e441529, v8, v[20:21]
	v_dual_mov_b32 v22, v21 :: v_dual_cndmask_b32 v13, v20, v16
	s_delay_alu instid0(VALU_DEP_1) | instskip(NEXT) | instid1(VALU_DEP_1)
	v_mad_nc_u64_u32 v[8:9], 0xa2f9836e, v8, v[22:23]
	v_dual_cndmask_b32 v8, v8, v18 :: v_dual_cndmask_b32 v9, v9, v20
	v_cmp_eq_u32_e32 vcc_lo, 0, v3
	s_delay_alu instid0(VALU_DEP_2) | instskip(SKIP_2) | instid1(VALU_DEP_3)
	v_dual_cndmask_b32 v12, v8, v13, s0 :: v_dual_cndmask_b32 v8, v9, v8, s0
	v_cndmask_b32_e64 v9, v13, v15, s0
	v_sub_nc_u32_e32 v13, 32, v3
	v_dual_cndmask_b32 v15, v15, v11, s0 :: v_dual_cndmask_b32 v8, v8, v12, s1
	s_delay_alu instid0(VALU_DEP_3) | instskip(NEXT) | instid1(VALU_DEP_1)
	v_cndmask_b32_e64 v12, v12, v9, s1
	v_alignbit_b32 v16, v8, v12, v13
	s_delay_alu instid0(VALU_DEP_1) | instskip(NEXT) | instid1(VALU_DEP_1)
	v_dual_cndmask_b32 v9, v9, v15, s1 :: v_dual_cndmask_b32 v3, v16, v8, vcc_lo
	v_alignbit_b32 v14, v12, v9, v13
	v_cndmask_b32_e64 v8, v11, v10, s0
	s_delay_alu instid0(VALU_DEP_3) | instskip(NEXT) | instid1(VALU_DEP_3)
	v_bfe_u32 v11, v3, 29, 1
	v_cndmask_b32_e32 v10, v14, v12, vcc_lo
	s_delay_alu instid0(VALU_DEP_2) | instskip(NEXT) | instid1(VALU_DEP_2)
	v_dual_cndmask_b32 v8, v15, v8, s1 :: v_dual_sub_nc_u32 v14, 0, v11
	v_alignbit_b32 v12, v3, v10, 30
	s_delay_alu instid0(VALU_DEP_2) | instskip(NEXT) | instid1(VALU_DEP_1)
	v_alignbit_b32 v13, v9, v8, v13
	v_dual_cndmask_b32 v9, v13, v9, vcc_lo :: v_dual_bitop2_b32 v12, v12, v14 bitop3:0x14
	s_delay_alu instid0(VALU_DEP_1) | instskip(NEXT) | instid1(VALU_DEP_2)
	v_clz_i32_u32_e32 v13, v12
	v_alignbit_b32 v10, v10, v9, 30
	v_alignbit_b32 v8, v9, v8, 30
	s_delay_alu instid0(VALU_DEP_3) | instskip(NEXT) | instid1(VALU_DEP_3)
	v_min_u32_e32 v13, 32, v13
	v_xor_b32_e32 v9, v10, v14
	s_delay_alu instid0(VALU_DEP_3) | instskip(NEXT) | instid1(VALU_DEP_3)
	v_dual_lshrrev_b32 v14, 29, v3 :: v_dual_bitop2_b32 v8, v8, v14 bitop3:0x14
	v_dual_lshrrev_b32 v3, 30, v3 :: v_dual_sub_nc_u32 v10, 31, v13
	v_lshlrev_b32_e32 v15, 23, v13
	s_delay_alu instid0(VALU_DEP_2) | instskip(NEXT) | instid1(VALU_DEP_4)
	v_alignbit_b32 v12, v12, v9, v10
	v_alignbit_b32 v8, v9, v8, v10
	v_lshlrev_b32_e32 v9, 31, v14
	s_delay_alu instid0(VALU_DEP_2) | instskip(NEXT) | instid1(VALU_DEP_2)
	v_alignbit_b32 v10, v12, v8, 9
	v_dual_lshrrev_b32 v12, 9, v12 :: v_dual_bitop2_b32 v14, 0.5, v9 bitop3:0x54
	v_or_b32_e32 v9, 0x33000000, v9
	s_delay_alu instid0(VALU_DEP_3) | instskip(NEXT) | instid1(VALU_DEP_3)
	v_clz_i32_u32_e32 v16, v10
	v_sub_nc_u32_e32 v14, v14, v15
	s_delay_alu instid0(VALU_DEP_2) | instskip(NEXT) | instid1(VALU_DEP_1)
	v_min_u32_e32 v15, 32, v16
	v_add_lshl_u32 v13, v15, v13, 23
	s_delay_alu instid0(VALU_DEP_1) | instskip(SKIP_1) | instid1(VALU_DEP_1)
	v_dual_sub_nc_u32 v9, v9, v13 :: v_dual_bitop2_b32 v12, v12, v14 bitop3:0x54
	v_not_b32_e32 v14, v15
	v_alignbit_b32 v8, v10, v8, v14
	s_delay_alu instid0(VALU_DEP_1) | instskip(NEXT) | instid1(VALU_DEP_4)
	v_lshrrev_b32_e32 v8, 9, v8
	v_mul_f32_e32 v16, 0x3fc90fda, v12
	s_delay_alu instid0(VALU_DEP_2) | instskip(NEXT) | instid1(VALU_DEP_2)
	v_or_b32_e32 v8, v9, v8
	v_fma_f32 v10, 0x3fc90fda, v12, -v16
	s_delay_alu instid0(VALU_DEP_1) | instskip(NEXT) | instid1(VALU_DEP_1)
	v_dual_fmamk_f32 v10, v12, 0x33a22168, v10 :: v_dual_add_nc_u32 v9, v11, v3
	v_fmac_f32_e32 v10, 0x3fc90fda, v8
	s_delay_alu instid0(VALU_DEP_1)
	v_add_f32_e32 v8, v16, v10
                                        ; implicit-def: $vgpr10
	s_and_not1_saveexec_b32 s0, s2
	s_cbranch_execnz .LBB2_17
	s_branch .LBB2_18
.LBB2_16:
	s_and_not1_saveexec_b32 s0, s2
.LBB2_17:
	v_rndne_f32_e32 v3, v10
	s_delay_alu instid0(VALU_DEP_1) | instskip(SKIP_1) | instid1(VALU_DEP_2)
	v_fma_f32 v8, 0xbfc90fda, v3, |v5|
	v_cvt_i32_f32_e32 v9, v3
	v_fmamk_f32 v8, v3, 0xb3a22168, v8
	s_delay_alu instid0(VALU_DEP_1)
	v_fmamk_f32 v8, v3, 0xa7c234c4, v8
.LBB2_18:
	s_or_b32 exec_lo, exec_lo, s0
	v_ashrrev_i32_e32 v3, 31, v2
	s_lshr_b32 s0, s17, 31
	s_mov_b32 s2, 0xb94c1982
	s_add_co_i32 s0, s17, s0
	s_mov_b32 s3, 0x37d75334
	v_lshl_add_u64 v[10:11], v[2:3], 2, s[12:13]
	s_ashr_i32 s0, s0, 1
	v_mul_f32_e32 v3, v8, v8
	s_ashr_i32 s1, s0, 31
	s_delay_alu instid0(VALU_DEP_2) | instid1(SALU_CYCLE_1)
	v_lshl_add_u64 v[10:11], s[0:1], 2, v[10:11]
	s_clause 0x1
	global_load_b32 v12, v[10:11], off
	global_load_b32 v13, v2, s[12:13] scale_offset
	s_wait_xcnt 0x0
	v_dual_mul_f32 v2, v4, v4 :: v_dual_bitop2_b32 v10, 1, v7 bitop3:0x40
	v_fmaak_f32 v15, s2, v3, 0x3c0881c4
	v_lshlrev_b32_e32 v7, 30, v7
	v_fmaak_f32 v16, s3, v3, 0xbab64f3b
	s_delay_alu instid0(VALU_DEP_4) | instskip(SKIP_2) | instid1(VALU_DEP_1)
	v_fmaak_f32 v14, s3, v2, 0xbab64f3b
	v_cmp_eq_u32_e32 vcc_lo, 0, v10
	v_fmaak_f32 v15, v3, v15, 0xbe2aaa9d
	v_dual_fmaak_f32 v14, v2, v14, 0x3d2aabf7 :: v_dual_mul_f32 v15, v3, v15
	s_delay_alu instid0(VALU_DEP_1) | instskip(NEXT) | instid1(VALU_DEP_1)
	v_dual_fmaak_f32 v11, s2, v2, 0x3c0881c4 :: v_dual_fmac_f32 v8, v8, v15
	v_fmaak_f32 v11, v2, v11, 0xbe2aaa9d
	v_dual_lshlrev_b32 v9, 30, v9 :: v_dual_bitop2_b32 v17, 1, v9 bitop3:0x40
	s_delay_alu instid0(VALU_DEP_2) | instskip(SKIP_1) | instid1(VALU_DEP_3)
	v_dual_fmaak_f32 v16, v3, v16, 0x3d2aabf7 :: v_dual_mul_f32 v11, v2, v11
	v_xor_b32_e32 v1, v1, v5
	v_and_b32_e32 v9, 0x80000000, v9
	s_delay_alu instid0(VALU_DEP_3) | instskip(NEXT) | instid1(VALU_DEP_4)
	v_fmaak_f32 v16, v3, v16, 0xbf000004
	v_fmac_f32_e32 v4, v4, v11
	s_delay_alu instid0(VALU_DEP_2) | instskip(SKIP_1) | instid1(VALU_DEP_1)
	v_fma_f32 v3, v3, v16, 1.0
	v_fmaak_f32 v14, v2, v14, 0xbf000004
	v_fma_f32 v2, v2, v14, 1.0
	s_delay_alu instid0(VALU_DEP_1) | instskip(SKIP_1) | instid1(VALU_DEP_2)
	v_cndmask_b32_e64 v2, -v4, v2, vcc_lo
	v_cmp_eq_u32_e32 vcc_lo, 0, v17
	v_bitop3_b32 v2, v7, v2, 0x80000000 bitop3:0x6c
	v_cndmask_b32_e32 v3, v3, v8, vcc_lo
	v_cmp_class_f32_e64 vcc_lo, v5, 0x1f8
	s_delay_alu instid0(VALU_DEP_2) | instskip(NEXT) | instid1(VALU_DEP_4)
	v_xor3_b32 v1, v1, v9, v3
	v_cndmask_b32_e32 v4, 0x7fc00000, v2, vcc_lo
	s_delay_alu instid0(VALU_DEP_2) | instskip(NEXT) | instid1(VALU_DEP_1)
	v_dual_cndmask_b32 v2, 0x7fc00000, v1 :: v_dual_ashrrev_i32 v1, 31, v0
	v_mul_f32_e32 v5, v6, v2
	s_delay_alu instid0(VALU_DEP_2) | instskip(NEXT) | instid1(VALU_DEP_4)
	v_lshl_add_u64 v[2:3], v[0:1], 1, s[14:15]
	v_mul_f32_e32 v1, v6, v4
	s_delay_alu instid0(VALU_DEP_2) | instskip(SKIP_2) | instid1(VALU_DEP_1)
	v_lshl_add_u64 v[2:3], s[0:1], 1, v[2:3]
	s_wait_loadcnt 0x0
	v_dual_mul_f32 v4, v12, v5 :: v_dual_mul_f32 v5, v13, v5
	v_fma_mixlo_f16 v4, v1, v13, -v4
	s_delay_alu instid0(VALU_DEP_2)
	v_fma_mixlo_f16 v1, v1, v12, v5
	s_clause 0x1
	global_store_b16 v0, v4, s[14:15] scale_offset
	global_store_b16 v[2:3], v1, off
.LBB2_19:
	s_endpgm
	.section	.rodata,"a",@progbits
	.p2align	6, 0x0
	.amdhsa_kernel _ZL9rope_neoxILb1ELb0Ef6__halfEvPKT1_PT2_iiiiiiiiiiPKifff14rope_corr_dimsfPKfPKli
		.amdhsa_group_segment_fixed_size 0
		.amdhsa_private_segment_fixed_size 0
		.amdhsa_kernarg_size 368
		.amdhsa_user_sgpr_count 2
		.amdhsa_user_sgpr_dispatch_ptr 0
		.amdhsa_user_sgpr_queue_ptr 0
		.amdhsa_user_sgpr_kernarg_segment_ptr 1
		.amdhsa_user_sgpr_dispatch_id 0
		.amdhsa_user_sgpr_kernarg_preload_length 0
		.amdhsa_user_sgpr_kernarg_preload_offset 0
		.amdhsa_user_sgpr_private_segment_size 0
		.amdhsa_wavefront_size32 1
		.amdhsa_uses_dynamic_stack 0
		.amdhsa_enable_private_segment 0
		.amdhsa_system_sgpr_workgroup_id_x 1
		.amdhsa_system_sgpr_workgroup_id_y 1
		.amdhsa_system_sgpr_workgroup_id_z 0
		.amdhsa_system_sgpr_workgroup_info 0
		.amdhsa_system_vgpr_workitem_id 1
		.amdhsa_next_free_vgpr 24
		.amdhsa_next_free_sgpr 18
		.amdhsa_named_barrier_count 0
		.amdhsa_reserve_vcc 1
		.amdhsa_float_round_mode_32 0
		.amdhsa_float_round_mode_16_64 0
		.amdhsa_float_denorm_mode_32 3
		.amdhsa_float_denorm_mode_16_64 3
		.amdhsa_fp16_overflow 0
		.amdhsa_memory_ordered 1
		.amdhsa_forward_progress 1
		.amdhsa_inst_pref_size 37
		.amdhsa_round_robin_scheduling 0
		.amdhsa_exception_fp_ieee_invalid_op 0
		.amdhsa_exception_fp_denorm_src 0
		.amdhsa_exception_fp_ieee_div_zero 0
		.amdhsa_exception_fp_ieee_overflow 0
		.amdhsa_exception_fp_ieee_underflow 0
		.amdhsa_exception_fp_ieee_inexact 0
		.amdhsa_exception_int_div_zero 0
	.end_amdhsa_kernel
	.section	.text._ZL9rope_neoxILb1ELb0Ef6__halfEvPKT1_PT2_iiiiiiiiiiPKifff14rope_corr_dimsfPKfPKli,"axG",@progbits,_ZL9rope_neoxILb1ELb0Ef6__halfEvPKT1_PT2_iiiiiiiiiiPKifff14rope_corr_dimsfPKfPKli,comdat
.Lfunc_end2:
	.size	_ZL9rope_neoxILb1ELb0Ef6__halfEvPKT1_PT2_iiiiiiiiiiPKifff14rope_corr_dimsfPKfPKli, .Lfunc_end2-_ZL9rope_neoxILb1ELb0Ef6__halfEvPKT1_PT2_iiiiiiiiiiPKifff14rope_corr_dimsfPKfPKli
                                        ; -- End function
	.set _ZL9rope_neoxILb1ELb0Ef6__halfEvPKT1_PT2_iiiiiiiiiiPKifff14rope_corr_dimsfPKfPKli.num_vgpr, 24
	.set _ZL9rope_neoxILb1ELb0Ef6__halfEvPKT1_PT2_iiiiiiiiiiPKifff14rope_corr_dimsfPKfPKli.num_agpr, 0
	.set _ZL9rope_neoxILb1ELb0Ef6__halfEvPKT1_PT2_iiiiiiiiiiPKifff14rope_corr_dimsfPKfPKli.numbered_sgpr, 18
	.set _ZL9rope_neoxILb1ELb0Ef6__halfEvPKT1_PT2_iiiiiiiiiiPKifff14rope_corr_dimsfPKfPKli.num_named_barrier, 0
	.set _ZL9rope_neoxILb1ELb0Ef6__halfEvPKT1_PT2_iiiiiiiiiiPKifff14rope_corr_dimsfPKfPKli.private_seg_size, 0
	.set _ZL9rope_neoxILb1ELb0Ef6__halfEvPKT1_PT2_iiiiiiiiiiPKifff14rope_corr_dimsfPKfPKli.uses_vcc, 1
	.set _ZL9rope_neoxILb1ELb0Ef6__halfEvPKT1_PT2_iiiiiiiiiiPKifff14rope_corr_dimsfPKfPKli.uses_flat_scratch, 0
	.set _ZL9rope_neoxILb1ELb0Ef6__halfEvPKT1_PT2_iiiiiiiiiiPKifff14rope_corr_dimsfPKfPKli.has_dyn_sized_stack, 0
	.set _ZL9rope_neoxILb1ELb0Ef6__halfEvPKT1_PT2_iiiiiiiiiiPKifff14rope_corr_dimsfPKfPKli.has_recursion, 0
	.set _ZL9rope_neoxILb1ELb0Ef6__halfEvPKT1_PT2_iiiiiiiiiiPKifff14rope_corr_dimsfPKfPKli.has_indirect_call, 0
	.section	.AMDGPU.csdata,"",@progbits
; Kernel info:
; codeLenInByte = 4700
; TotalNumSgprs: 20
; NumVgprs: 24
; ScratchSize: 0
; MemoryBound: 0
; FloatMode: 240
; IeeeMode: 1
; LDSByteSize: 0 bytes/workgroup (compile time only)
; SGPRBlocks: 0
; VGPRBlocks: 1
; NumSGPRsForWavesPerEU: 20
; NumVGPRsForWavesPerEU: 24
; NamedBarCnt: 0
; Occupancy: 16
; WaveLimiterHint : 0
; COMPUTE_PGM_RSRC2:SCRATCH_EN: 0
; COMPUTE_PGM_RSRC2:USER_SGPR: 2
; COMPUTE_PGM_RSRC2:TRAP_HANDLER: 0
; COMPUTE_PGM_RSRC2:TGID_X_EN: 1
; COMPUTE_PGM_RSRC2:TGID_Y_EN: 1
; COMPUTE_PGM_RSRC2:TGID_Z_EN: 0
; COMPUTE_PGM_RSRC2:TIDIG_COMP_CNT: 1
	.section	.text._ZL9rope_neoxILb1ELb1Ef6__halfEvPKT1_PT2_iiiiiiiiiiPKifff14rope_corr_dimsfPKfPKli,"axG",@progbits,_ZL9rope_neoxILb1ELb1Ef6__halfEvPKT1_PT2_iiiiiiiiiiPKifff14rope_corr_dimsfPKfPKli,comdat
	.globl	_ZL9rope_neoxILb1ELb1Ef6__halfEvPKT1_PT2_iiiiiiiiiiPKifff14rope_corr_dimsfPKfPKli ; -- Begin function _ZL9rope_neoxILb1ELb1Ef6__halfEvPKT1_PT2_iiiiiiiiiiPKifff14rope_corr_dimsfPKfPKli
	.p2align	8
	.type	_ZL9rope_neoxILb1ELb1Ef6__halfEvPKT1_PT2_iiiiiiiiiiPKifff14rope_corr_dimsfPKfPKli,@function
_ZL9rope_neoxILb1ELb1Ef6__halfEvPKT1_PT2_iiiiiiiiiiPKifff14rope_corr_dimsfPKfPKli: ; @_ZL9rope_neoxILb1ELb1Ef6__halfEvPKT1_PT2_iiiiiiiiiiPKifff14rope_corr_dimsfPKfPKli
; %bb.0:
	s_clause 0x1
	s_load_u16 s3, s[0:1], 0x7e
	s_load_b256 s[4:11], s[0:1], 0x10
	s_bfe_u32 s2, ttmp6, 0x40010
	s_bfe_u32 s13, ttmp6, 0x40004
	s_add_co_i32 s2, s2, 1
	v_bfe_u32 v1, v0, 10, 10
	s_mul_i32 s12, ttmp7, s2
	s_getreg_b32 s2, hwreg(HW_REG_IB_STS2, 6, 4)
	s_add_co_i32 s13, s13, s12
	s_cmp_eq_u32 s2, 0
	s_cselect_b32 s12, ttmp7, s13
	s_wait_kmcnt 0x0
	s_mul_i32 s12, s12, s3
	s_mov_b32 s3, exec_lo
	v_add_lshl_u32 v3, s12, v1, 1
	s_delay_alu instid0(VALU_DEP_1)
	v_cmpx_gt_i32_e64 s4, v3
	s_cbranch_execz .LBB3_19
; %bb.1:
	s_add_nc_u64 s[12:13], s[0:1], 0x70
	s_bfe_u32 s4, ttmp6, 0x4000c
	s_load_b32 s3, s[12:13], 0xc
	s_add_co_i32 s4, s4, 1
	s_wait_xcnt 0x0
	s_and_b32 s12, ttmp6, 15
	s_mul_i32 s4, ttmp9, s4
	v_and_b32_e32 v0, 0x3ff, v0
	s_add_co_i32 s12, s12, s4
	s_clause 0x1
	s_load_b64 s[20:21], s[0:1], 0x30
	s_load_b128 s[16:19], s[0:1], 0x58
	s_wait_kmcnt 0x0
	s_and_b32 s3, s3, 0xffff
	s_cmp_eq_u32 s2, 0
	s_mul_i32 s2, s6, s5
	s_cselect_b32 s4, ttmp9, s12
	s_abs_i32 s6, s2
	v_mad_u32 v2, s4, s3, v0
	s_cvt_f32_u32 s12, s6
	s_sub_co_i32 s4, 0, s6
	s_delay_alu instid0(SALU_CYCLE_2) | instskip(NEXT) | instid1(VALU_DEP_1)
	v_rcp_iflag_f32_e32 v1, s12
	v_sub_nc_u32_e32 v0, 0, v2
	s_delay_alu instid0(TRANS32_DEP_1) | instskip(NEXT) | instid1(VALU_DEP_2)
	v_readfirstlane_b32 s3, v1
	v_max_i32_e32 v0, v2, v0
	s_mul_f32 s3, s3, 0x4f7ffffe
	s_delay_alu instid0(SALU_CYCLE_3) | instskip(NEXT) | instid1(SALU_CYCLE_3)
	s_cvt_u32_f32 s3, s3
	s_mul_i32 s4, s4, s3
	s_delay_alu instid0(SALU_CYCLE_1) | instskip(NEXT) | instid1(SALU_CYCLE_1)
	s_mul_hi_u32 s4, s3, s4
	s_add_co_i32 s3, s3, s4
	s_delay_alu instid0(SALU_CYCLE_1) | instskip(SKIP_1) | instid1(VALU_DEP_1)
	v_mul_hi_u32 v1, v0, s3
	s_cvt_f32_u32 s3, s5
	v_mul_lo_u32 v4, v1, s6
	s_delay_alu instid0(VALU_DEP_1) | instskip(NEXT) | instid1(VALU_DEP_1)
	v_dual_sub_nc_u32 v0, v0, v4 :: v_dual_add_nc_u32 v4, 1, v1
	v_cmp_le_u32_e32 vcc_lo, s6, v0
	s_delay_alu instid0(VALU_DEP_2) | instskip(SKIP_1) | instid1(VALU_DEP_1)
	v_cndmask_b32_e32 v1, v1, v4, vcc_lo
	v_subrev_nc_u32_e32 v5, s6, v0
	v_dual_cndmask_b32 v0, v0, v5, vcc_lo :: v_dual_bitop2_b32 v4, s2, v2 bitop3:0x14
	s_delay_alu instid0(VALU_DEP_3) | instskip(NEXT) | instid1(VALU_DEP_2)
	v_add_nc_u32_e32 v5, 1, v1
	v_cmp_le_u32_e32 vcc_lo, s6, v0
	s_delay_alu instid0(VALU_DEP_2) | instskip(SKIP_1) | instid1(VALU_DEP_1)
	v_dual_ashrrev_i32 v4, 31, v4 :: v_dual_cndmask_b32 v0, v1, v5, vcc_lo
	v_rcp_iflag_f32_e32 v1, s3
	v_xor_b32_e32 v0, v0, v4
	s_delay_alu instid0(TRANS32_DEP_1) | instskip(NEXT) | instid1(VALU_DEP_2)
	v_readfirstlane_b32 s3, v1
	v_sub_nc_u32_e32 v0, v0, v4
	s_delay_alu instid0(VALU_DEP_1) | instskip(SKIP_2) | instid1(SALU_CYCLE_2)
	v_mul_lo_u32 v1, s2, v0
	s_mul_f32 s2, s3, 0x4f7ffffe
	s_sub_co_i32 s3, 0, s5
	s_cvt_u32_f32 s2, s2
	s_delay_alu instid0(SALU_CYCLE_3) | instskip(NEXT) | instid1(VALU_DEP_1)
	s_mul_i32 s3, s3, s2
	v_sub_nc_u32_e32 v2, v2, v1
	s_mul_hi_u32 s3, s2, s3
	s_delay_alu instid0(SALU_CYCLE_1)
	s_add_co_i32 s2, s2, s3
	s_delay_alu instid0(VALU_DEP_1) | instid1(SALU_CYCLE_1)
	v_mul_hi_u32 v1, v2, s2
	s_load_b32 s2, s[0:1], 0x68
	s_delay_alu instid0(VALU_DEP_1) | instskip(SKIP_2) | instid1(VALU_DEP_1)
	v_mul_lo_u32 v4, v1, s5
	s_wait_kmcnt 0x0
	s_cmp_eq_u32 s2, 0
	v_sub_nc_u32_e32 v4, v2, v4
	s_delay_alu instid0(VALU_DEP_1) | instskip(SKIP_1) | instid1(VALU_DEP_2)
	v_subrev_nc_u32_e32 v6, s5, v4
	v_cmp_le_u32_e32 vcc_lo, s5, v4
	v_dual_cndmask_b32 v4, v4, v6 :: v_dual_add_nc_u32 v5, 1, v1
	s_delay_alu instid0(VALU_DEP_1) | instskip(NEXT) | instid1(VALU_DEP_2)
	v_cndmask_b32_e32 v1, v1, v5, vcc_lo
	v_cmp_le_u32_e32 vcc_lo, s5, v4
	s_delay_alu instid0(VALU_DEP_2) | instskip(NEXT) | instid1(VALU_DEP_1)
	v_add_nc_u32_e32 v5, 1, v1
	v_cndmask_b32_e32 v8, v1, v5, vcc_lo
	s_cbranch_scc1 .LBB3_3
; %bb.2:
	v_mov_b32_e32 v9, 0
	s_delay_alu instid0(VALU_DEP_1)
	v_lshl_add_u64 v[4:5], v[8:9], 3, s[18:19]
	global_load_b32 v1, v[4:5], off
	s_wait_loadcnt 0x0
	v_mul_lo_u32 v4, s2, v1
	s_branch .LBB3_4
.LBB3_3:
	v_mul_lo_u32 v1, v0, s20
	s_delay_alu instid0(VALU_DEP_1)
	v_mad_u32 v4, v8, s11, v1
.LBB3_4:
	v_mul_lo_u32 v5, v8, s5
	v_ashrrev_i32_e32 v1, 1, v3
	s_load_b128 s[12:15], s[0:1], 0x0
	s_mov_b32 s2, exec_lo
	s_delay_alu instid0(VALU_DEP_2) | instskip(NEXT) | instid1(VALU_DEP_2)
	v_sub_nc_u32_e32 v2, v2, v5
	v_mad_u32 v0, v0, s9, v1
	s_delay_alu instid0(VALU_DEP_2) | instskip(NEXT) | instid1(VALU_DEP_2)
	v_mul_lo_u32 v5, v2, s10
	v_mad_u32 v0, v8, s8, v0
	s_delay_alu instid0(VALU_DEP_1) | instskip(NEXT) | instid1(VALU_DEP_3)
	v_mad_u32 v2, v2, s7, v0
	v_add3_u32 v0, v5, v1, v4
	v_cmpx_le_i32_e64 s21, v3
	s_xor_b32 s2, exec_lo, s2
	s_cbranch_execz .LBB3_6
; %bb.5:
	s_delay_alu instid0(VALU_DEP_2)
	v_dual_add_nc_u32 v2, v2, v1 :: v_dual_add_nc_u32 v0, v0, v1
                                        ; implicit-def: $vgpr8
	s_wait_kmcnt 0x0
	global_load_b32 v3, v2, s[12:13] scale_offset
	s_wait_loadcnt 0x0
	v_cvt_f16_f32_e32 v3, v3
	global_store_b16 v0, v3, s[14:15] scale_offset
	global_load_b32 v1, v2, s[12:13] offset:4 scale_offset
                                        ; implicit-def: $vgpr2
                                        ; implicit-def: $vgpr3
	s_wait_loadcnt 0x0
	v_cvt_f16_f32_e32 v1, v1
	global_store_b16 v0, v1, s[14:15] offset:2 scale_offset
                                        ; implicit-def: $vgpr0
                                        ; implicit-def: $vgpr1
.LBB3_6:
	s_wait_xcnt 0x0
	s_and_not1_saveexec_b32 s2, s2
	s_cbranch_execz .LBB3_19
; %bb.7:
	s_clause 0x1
	s_load_b64 s[8:9], s[0:1], 0x50
	s_load_b64 s[2:3], s[0:1], 0x38
	v_cvt_f32_i32_e32 v3, v3
	s_mov_b32 s4, 0x3e76c4e1
	global_load_b32 v22, v1, s[16:17] scale_offset
	v_mul_f32_e32 v3, 0.5, v3
	s_wait_kmcnt 0x0
	s_cmp_neq_f32 s9, 1.0
	global_load_b32 v8, v8, s[2:3] scale_offset
	s_cselect_b32 vcc_lo, -1, 0
	v_cndmask_b32_e32 v9, 1.0, v3, vcc_lo
	s_delay_alu instid0(VALU_DEP_1) | instskip(SKIP_1) | instid1(VALU_DEP_1)
	v_cmp_neq_f32_e32 vcc_lo, 0, v9
	v_cndmask_b32_e64 v3, 1.0, s9, vcc_lo
	v_frexp_mant_f32_e64 v4, |v3|
	v_cmp_lt_f32_e64 s6, |v3|, 1.0
	s_delay_alu instid0(VALU_DEP_2) | instskip(SKIP_1) | instid1(VALU_DEP_1)
	v_cmp_gt_f32_e32 vcc_lo, 0x3f2aaaab, v4
	v_cndmask_b32_e64 v5, 1.0, 2.0, vcc_lo
	v_mul_f32_e32 v4, v4, v5
	s_delay_alu instid0(VALU_DEP_1) | instskip(SKIP_1) | instid1(VALU_DEP_2)
	v_dual_add_f32 v7, 1.0, v4 :: v_dual_add_f32 v5, -1.0, v4
	v_cmp_neq_f32_e64 s5, v9, |v9|
	v_rcp_f32_e32 v12, v7
	v_add_f32_e32 v10, -1.0, v7
	s_xor_b32 s5, s5, s6
	s_delay_alu instid0(TRANS32_DEP_1) | instid1(VALU_DEP_1)
	v_dual_sub_f32 v4, v4, v10 :: v_dual_mul_f32 v13, v5, v12
	s_delay_alu instid0(VALU_DEP_1) | instskip(NEXT) | instid1(VALU_DEP_1)
	v_mul_f32_e32 v6, v7, v13
	v_fma_f32 v10, v13, v7, -v6
	s_delay_alu instid0(VALU_DEP_1) | instskip(NEXT) | instid1(VALU_DEP_1)
	v_fmac_f32_e32 v10, v13, v4
	v_add_f32_e32 v4, v6, v10
	s_delay_alu instid0(VALU_DEP_1) | instskip(NEXT) | instid1(VALU_DEP_1)
	v_dual_sub_f32 v7, v5, v4 :: v_dual_mov_b32 v11, v4
	v_pk_add_f32 v[4:5], v[4:5], v[6:7] neg_lo:[0,1] neg_hi:[0,1]
	s_delay_alu instid0(VALU_DEP_1) | instskip(NEXT) | instid1(VALU_DEP_1)
	v_pk_add_f32 v[4:5], v[4:5], v[10:11] neg_lo:[0,1] neg_hi:[0,1]
	v_add_f32_e32 v4, v4, v5
	s_delay_alu instid0(VALU_DEP_1) | instskip(NEXT) | instid1(VALU_DEP_1)
	v_add_f32_e32 v4, v7, v4
	v_mul_f32_e32 v5, v12, v4
	s_delay_alu instid0(VALU_DEP_1) | instskip(NEXT) | instid1(VALU_DEP_1)
	v_add_f32_e32 v4, v13, v5
	v_dual_sub_f32 v6, v4, v13 :: v_dual_mul_f32 v7, v4, v4
	s_delay_alu instid0(VALU_DEP_1) | instskip(NEXT) | instid1(VALU_DEP_1)
	v_dual_sub_f32 v18, v5, v6 :: v_dual_fma_f32 v5, v4, v4, -v7
	v_add_f32_e32 v6, v18, v18
	s_delay_alu instid0(VALU_DEP_1) | instskip(NEXT) | instid1(VALU_DEP_1)
	v_fmac_f32_e32 v5, v4, v6
	v_add_f32_e32 v6, v7, v5
	s_delay_alu instid0(VALU_DEP_1) | instskip(SKIP_1) | instid1(VALU_DEP_2)
	v_dual_fmaak_f32 v10, s4, v6, 0x3e91f4c4 :: v_dual_sub_f32 v7, v6, v7
	v_cmp_eq_f32_e64 s4, 0, v3
	v_fmaak_f32 v12, v6, v10, 0x3ecccdef
	v_cvt_f64_f32_e64 v[10:11], |v3|
	s_delay_alu instid0(VALU_DEP_2) | instskip(NEXT) | instid1(VALU_DEP_1)
	v_dual_sub_f32 v16, v5, v7 :: v_dual_mul_f32 v13, v6, v12
	v_fma_f32 v5, v6, v12, -v13
	s_delay_alu instid0(VALU_DEP_1) | instskip(NEXT) | instid1(VALU_DEP_1)
	v_fmac_f32_e32 v5, v16, v12
	v_add_f32_e32 v7, v13, v5
	s_delay_alu instid0(VALU_DEP_1) | instskip(NEXT) | instid1(VALU_DEP_1)
	v_dual_sub_f32 v12, v7, v13 :: v_dual_add_f32 v13, 0x3f2aaaaa, v7
	v_dual_sub_f32 v5, v5, v12 :: v_dual_add_f32 v12, 0xbf2aaaaa, v13
	v_frexp_exp_i32_f64_e32 v17, v[10:11]
	s_delay_alu instid0(VALU_DEP_2) | instskip(NEXT) | instid1(VALU_DEP_3)
	v_add_f32_e32 v5, 0x31739010, v5
	v_sub_f32_e32 v7, v7, v12
	s_delay_alu instid0(VALU_DEP_1) | instskip(NEXT) | instid1(VALU_DEP_1)
	v_pk_mul_f32 v[10:11], v[4:5], v[6:7]
	v_fma_f32 v12, v6, v4, -v10
	s_delay_alu instid0(VALU_DEP_1) | instskip(NEXT) | instid1(VALU_DEP_1)
	v_fmac_f32_e32 v12, v6, v18
	v_fmac_f32_e32 v12, v16, v4
	v_pk_add_f32 v[14:15], v[4:5], v[6:7]
	s_delay_alu instid0(VALU_DEP_1) | instskip(SKIP_1) | instid1(VALU_DEP_2)
	v_mov_b32_e32 v11, v15
	v_subrev_co_ci_u32_e64 v5, null, 0, v17, vcc_lo
	v_pk_add_f32 v[6:7], v[10:11], v[12:13]
	s_delay_alu instid0(VALU_DEP_2) | instskip(NEXT) | instid1(VALU_DEP_2)
	v_cvt_f32_i32_e32 v5, v5
	v_dual_mov_b32 v14, v7 :: v_dual_sub_f32 v11, v13, v7
	s_delay_alu instid0(VALU_DEP_3) | instskip(NEXT) | instid1(VALU_DEP_2)
	v_sub_f32_e32 v13, v6, v10
	v_pk_mul_f32 v[16:17], v[6:7], v[14:15]
	s_delay_alu instid0(VALU_DEP_3) | instskip(NEXT) | instid1(VALU_DEP_2)
	v_dual_add_f32 v11, v15, v11 :: v_dual_mul_f32 v14, 0x3f317218, v5
	v_dual_sub_f32 v12, v12, v13 :: v_dual_fma_f32 v10, v6, v7, -v16
	s_delay_alu instid0(VALU_DEP_1) | instskip(NEXT) | instid1(VALU_DEP_3)
	v_fmac_f32_e32 v10, v6, v11
	v_fma_f32 v6, 0x3f317218, v5, -v14
	s_delay_alu instid0(VALU_DEP_2) | instskip(NEXT) | instid1(VALU_DEP_2)
	v_fmac_f32_e32 v10, v12, v7
	v_fmamk_f32 v6, v5, 0xb102e308, v6
	v_ldexp_f32 v7, v4, 1
	s_delay_alu instid0(VALU_DEP_1) | instskip(NEXT) | instid1(VALU_DEP_1)
	v_dual_add_f32 v15, v16, v10 :: v_dual_mov_b32 v17, v7
	v_pk_add_f32 v[4:5], v[14:15], v[6:7]
	v_mov_b32_e32 v12, v15
	v_ldexp_f32 v7, v18, 1
	s_delay_alu instid0(VALU_DEP_3) | instskip(SKIP_1) | instid1(VALU_DEP_2)
	v_dual_mov_b32 v11, v15 :: v_dual_mov_b32 v13, v5
	v_mov_b32_e32 v20, v5
	v_pk_add_f32 v[12:13], v[12:13], v[16:17] neg_lo:[0,1] neg_hi:[0,1]
	s_delay_alu instid0(VALU_DEP_1) | instskip(NEXT) | instid1(VALU_DEP_1)
	v_pk_add_f32 v[10:11], v[10:11], v[12:13] neg_lo:[0,1] neg_hi:[0,1]
	v_add_f32_e32 v7, v7, v10
	s_delay_alu instid0(VALU_DEP_1) | instskip(NEXT) | instid1(VALU_DEP_1)
	v_dual_add_f32 v15, v7, v11 :: v_dual_mov_b32 v7, v4
	v_pk_add_f32 v[10:11], v[4:5], v[14:15]
	v_pk_add_f32 v[12:13], v[4:5], v[14:15] neg_lo:[0,1] neg_hi:[0,1]
	s_delay_alu instid0(VALU_DEP_2) | instskip(NEXT) | instid1(VALU_DEP_1)
	v_mov_b32_e32 v13, v11
	v_pk_add_f32 v[16:17], v[6:7], v[12:13]
	v_pk_add_f32 v[6:7], v[6:7], v[12:13] neg_lo:[0,1] neg_hi:[0,1]
	s_delay_alu instid0(VALU_DEP_2) | instskip(NEXT) | instid1(VALU_DEP_1)
	v_dual_mov_b32 v14, v17 :: v_dual_mov_b32 v7, v17
	v_pk_add_f32 v[18:19], v[14:15], v[4:5] neg_lo:[0,1] neg_hi:[0,1]
	v_dual_mov_b32 v16, v11 :: v_dual_mov_b32 v5, v4
	s_delay_alu instid0(VALU_DEP_2) | instskip(SKIP_1) | instid1(VALU_DEP_2)
	v_dual_mov_b32 v4, v15 :: v_dual_mov_b32 v21, v18
	v_mov_b32_e32 v15, v18
	v_pk_add_f32 v[12:13], v[16:17], v[20:21] neg_lo:[0,1] neg_hi:[0,1]
	s_delay_alu instid0(VALU_DEP_2) | instskip(SKIP_1) | instid1(VALU_DEP_3)
	v_pk_add_f32 v[10:11], v[10:11], v[14:15] neg_lo:[0,1] neg_hi:[0,1]
	v_mov_b32_e32 v10, v6
	v_pk_add_f32 v[4:5], v[4:5], v[12:13] neg_lo:[0,1] neg_hi:[0,1]
	s_delay_alu instid0(VALU_DEP_1) | instskip(NEXT) | instid1(VALU_DEP_1)
	v_pk_add_f32 v[10:11], v[10:11], v[4:5]
	v_mov_b32_e32 v12, v11
	s_delay_alu instid0(VALU_DEP_1) | instskip(NEXT) | instid1(VALU_DEP_1)
	v_pk_add_f32 v[12:13], v[10:11], v[12:13]
	v_pk_add_f32 v[14:15], v[14:15], v[12:13]
	s_delay_alu instid0(VALU_DEP_1) | instskip(NEXT) | instid1(VALU_DEP_1)
	v_dual_mov_b32 v5, v12 :: v_dual_mov_b32 v11, v14
	v_pk_add_f32 v[16:17], v[10:11], v[6:7] neg_lo:[0,1] neg_hi:[0,1]
	s_delay_alu instid0(VALU_DEP_1) | instskip(SKIP_1) | instid1(VALU_DEP_1)
	v_pk_add_f32 v[4:5], v[4:5], v[16:17] neg_lo:[0,1] neg_hi:[0,1]
	v_sub_f32_e32 v7, v10, v16
	v_sub_f32_e32 v6, v6, v7
	s_delay_alu instid0(VALU_DEP_1) | instskip(NEXT) | instid1(VALU_DEP_1)
	v_add_f32_e32 v4, v4, v6
	v_add_f32_e32 v4, v4, v5
	s_delay_alu instid0(VALU_DEP_1) | instskip(NEXT) | instid1(VALU_DEP_1)
	v_add_f32_e32 v5, v14, v4
	v_sub_f32_e32 v6, v5, v14
	s_delay_alu instid0(VALU_DEP_1) | instskip(NEXT) | instid1(VALU_DEP_1)
	v_dual_sub_f32 v4, v4, v6 :: v_dual_mul_f32 v7, v9, v5
	v_fma_f32 v5, v9, v5, -v7
	s_delay_alu instid0(VALU_DEP_1) | instskip(SKIP_1) | instid1(VALU_DEP_2)
	v_fmac_f32_e32 v5, v9, v4
	v_cmp_class_f32_e64 vcc_lo, v7, 0x204
	v_add_f32_e32 v4, v7, v5
	s_delay_alu instid0(VALU_DEP_1) | instskip(NEXT) | instid1(VALU_DEP_1)
	v_dual_cndmask_b32 v6, v4, v7, vcc_lo :: v_dual_sub_f32 v4, v4, v7
	v_cmp_eq_f32_e32 vcc_lo, 0x42b17218, v6
	s_delay_alu instid0(VALU_DEP_2) | instskip(SKIP_2) | instid1(VALU_DEP_2)
	v_sub_f32_e32 v4, v5, v4
	v_cndmask_b32_e64 v10, 0, 0x37000000, vcc_lo
	v_cmp_neq_f32_e64 vcc_lo, 0x7f800000, |v6|
	v_dual_sub_f32 v11, v6, v10 :: v_dual_cndmask_b32 v4, 0, v4
	v_trunc_f32_e32 v6, v9
	s_delay_alu instid0(VALU_DEP_2) | instskip(NEXT) | instid1(VALU_DEP_1)
	v_mul_f32_e32 v12, 0x3fb8aa3b, v11
	v_fma_f32 v13, 0x3fb8aa3b, v11, -v12
	v_rndne_f32_e32 v14, v12
	s_delay_alu instid0(VALU_DEP_1) | instskip(NEXT) | instid1(VALU_DEP_1)
	v_dual_fmamk_f32 v13, v11, 0x32a5705f, v13 :: v_dual_sub_f32 v12, v12, v14
	v_add_f32_e32 v12, v12, v13
	v_cmp_ngt_f32_e32 vcc_lo, 0xc2ce8ed0, v11
	s_delay_alu instid0(VALU_DEP_2)
	v_exp_f32_e32 v7, v12
	v_nop
	v_cvt_i32_f32_e32 v12, v14
	s_delay_alu instid0(TRANS32_DEP_1) | instid1(VALU_DEP_1)
	v_ldexp_f32 v5, v7, v12
	v_mul_f32_e32 v7, 0.5, v9
	s_delay_alu instid0(VALU_DEP_2) | instskip(NEXT) | instid1(VALU_DEP_2)
	v_cndmask_b32_e32 v5, 0, v5, vcc_lo
	v_trunc_f32_e32 v12, v7
	v_cmp_nlt_f32_e32 vcc_lo, 0x42b17218, v11
	s_wait_xcnt 0x0
	s_delay_alu instid0(VALU_DEP_2) | instskip(SKIP_2) | instid1(VALU_DEP_2)
	v_cmp_neq_f32_e64 s2, v12, v7
	v_cndmask_b32_e32 v5, 0x7f800000, v5, vcc_lo
	v_cmp_eq_f32_e32 vcc_lo, v6, v9
	v_cmp_class_f32_e64 s3, v5, 0x204
	s_and_b32 s2, vcc_lo, s2
	s_delay_alu instid0(SALU_CYCLE_1) | instskip(SKIP_2) | instid1(VALU_DEP_3)
	v_dual_cndmask_b32 v6, 1.0, v3, s2 :: v_dual_add_f32 v4, v10, v4
	v_cndmask_b32_e64 v10, 0, v3, s2
	v_cmp_class_f32_e64 s2, v3, 0x204
	v_fma_f32 v4, v5, v4, v5
	s_delay_alu instid0(VALU_DEP_1) | instskip(SKIP_2) | instid1(VALU_DEP_3)
	v_cndmask_b32_e64 v4, v4, v5, s3
	v_cndmask_b32_e64 v5, 0x7f800000, 0, s5
	v_cmp_gt_f32_e64 s3, 0, v9
	v_bfi_b32 v4, 0x7fffffff, v4, v6
	s_xor_b32 s3, s3, s4
	s_delay_alu instid0(SALU_CYCLE_1) | instskip(NEXT) | instid1(VALU_DEP_2)
	v_cndmask_b32_e64 v6, 0x7f800000, 0, s3
	v_cndmask_b32_e32 v7, 0x7fc00000, v4, vcc_lo
	v_cmp_neq_f32_e64 vcc_lo, |v3|, 1.0
	s_delay_alu instid0(VALU_DEP_3) | instskip(SKIP_4) | instid1(VALU_DEP_2)
	v_bfi_b32 v6, 0x7fffffff, v6, v10
	v_cndmask_b32_e32 v5, 1.0, v5, vcc_lo
	v_cmp_gt_f32_e32 vcc_lo, 0, v3
	v_cndmask_b32_e32 v4, v4, v7, vcc_lo
	v_cmp_class_f32_e64 vcc_lo, v9, 0x204
	v_cndmask_b32_e32 v4, v4, v5, vcc_lo
	s_or_b32 vcc_lo, s4, s2
	s_wait_loadcnt 0x0
	v_cvt_f32_i32_e32 v5, v8
	s_load_b128 s[4:7], s[0:1], 0x40
	v_cndmask_b32_e32 v4, v4, v6, vcc_lo
	v_cmp_o_f32_e32 vcc_lo, v3, v3
	s_delay_alu instid0(VALU_DEP_2) | instskip(NEXT) | instid1(VALU_DEP_1)
	v_cndmask_b32_e32 v3, 0x7fc00000, v4, vcc_lo
	v_mul_f32_e32 v3, v3, v5
	s_delay_alu instid0(VALU_DEP_1) | instskip(SKIP_3) | instid1(VALU_DEP_2)
	v_div_scale_f32 v4, null, v22, v22, v3
	v_div_scale_f32 v7, vcc_lo, v3, v22, v3
	s_wait_kmcnt 0x0
	s_cmp_eq_f32 s5, 0
	v_rcp_f32_e32 v5, v4
	v_nop
	s_delay_alu instid0(TRANS32_DEP_1) | instskip(NEXT) | instid1(VALU_DEP_1)
	v_fma_f32 v6, -v4, v5, 1.0
	v_fmac_f32_e32 v5, v6, v5
	s_delay_alu instid0(VALU_DEP_1) | instskip(NEXT) | instid1(VALU_DEP_1)
	v_mul_f32_e32 v6, v7, v5
	v_fma_f32 v8, -v4, v6, v7
	s_delay_alu instid0(VALU_DEP_1) | instskip(NEXT) | instid1(VALU_DEP_1)
	v_fmac_f32_e32 v6, v8, v5
	v_fma_f32 v4, -v4, v6, v7
	s_delay_alu instid0(VALU_DEP_1) | instskip(NEXT) | instid1(VALU_DEP_1)
	v_div_fmas_f32 v4, v4, v5, v6
	v_div_fixup_f32 v4, v4, v22, v3
	s_delay_alu instid0(VALU_DEP_1)
	v_mul_f32_e32 v5, s4, v4
	s_cbranch_scc1 .LBB3_9
; %bb.8:
	v_cvt_f32_i32_e32 v1, v1
	s_sub_f32 s0, s8, s7
	v_div_scale_f32 v6, null, s4, s4, 1.0
	s_delay_alu instid0(SALU_CYCLE_2) | instskip(SKIP_4) | instid1(VALU_DEP_3)
	s_max_num_f32 s1, s0, 0x3a83126f
	v_subrev_f32_e32 v1, s7, v1
	v_rcp_f32_e32 v8, v6
	v_nop
	v_xor_b32_e32 v6, 0x80000000, v6
	v_div_scale_f32 v3, null, s1, s1, v1
	s_delay_alu instid0(TRANS32_DEP_1) | instid1(VALU_DEP_2)
	v_fma_f32 v10, v6, v8, 1.0
	s_delay_alu instid0(VALU_DEP_2) | instskip(SKIP_1) | instid1(TRANS32_DEP_1)
	v_rcp_f32_e32 v7, v3
	v_nop
	v_fma_f32 v9, -v3, v7, 1.0
	s_delay_alu instid0(VALU_DEP_1) | instskip(SKIP_2) | instid1(VALU_DEP_2)
	v_fmac_f32_e32 v7, v9, v7
	v_div_scale_f32 v11, vcc_lo, v1, s1, v1
	v_div_scale_f32 v9, s0, 1.0, s4, 1.0
	v_dual_fmac_f32 v8, v10, v8 :: v_dual_mul_f32 v10, v11, v7
	s_delay_alu instid0(VALU_DEP_1) | instskip(NEXT) | instid1(VALU_DEP_1)
	v_dual_mul_f32 v12, v9, v8 :: v_dual_fma_f32 v13, -v3, v10, v11
	v_dual_fma_f32 v14, v6, v12, v9 :: v_dual_fmac_f32 v10, v13, v7
	s_delay_alu instid0(VALU_DEP_1) | instskip(NEXT) | instid1(VALU_DEP_1)
	v_dual_fmac_f32 v12, v14, v8 :: v_dual_fma_f32 v3, -v3, v10, v11
	v_fmac_f32_e32 v9, v6, v12
	s_delay_alu instid0(VALU_DEP_2) | instskip(SKIP_1) | instid1(VALU_DEP_2)
	v_div_fmas_f32 v3, v3, v7, v10
	s_mov_b32 vcc_lo, s0
	v_div_fmas_f32 v6, v9, v8, v12
	s_delay_alu instid0(VALU_DEP_2) | instskip(NEXT) | instid1(VALU_DEP_2)
	v_div_fixup_f32 v1, v3, s1, v1 clamp
	v_div_fixup_f32 v6, v6, s4, 1.0
	s_delay_alu instid0(VALU_DEP_1) | instskip(SKIP_2) | instid1(SALU_CYCLE_1)
	v_readfirstlane_b32 s0, v6
	s_cmp_lt_f32 s0, 0x800000
	s_cselect_b32 s0, 0x4f800000, 1.0
	v_mul_f32_e32 v6, s0, v6
	s_cselect_b32 s0, 0x41b17218, 0
	s_delay_alu instid0(VALU_DEP_1) | instskip(SKIP_1) | instid1(TRANS32_DEP_1)
	v_log_f32_e32 v6, v6
	v_nop
	v_and_b32_e32 v3, 0x7fffffff, v6
	s_delay_alu instid0(VALU_DEP_1) | instskip(SKIP_2) | instid1(VALU_DEP_1)
	v_cmp_gt_f32_e32 vcc_lo, 0x7f800000, v3
	v_sub_f32_e32 v1, 1.0, v1
	v_mul_f32_e32 v7, 0x3f317217, v6
	v_xor_b32_e32 v7, 0x80000000, v7
	s_delay_alu instid0(VALU_DEP_1) | instskip(NEXT) | instid1(VALU_DEP_1)
	v_fmac_f32_e32 v7, 0x3f317217, v6
	v_fmamk_f32 v7, v6, 0x3377d1cf, v7
	s_delay_alu instid0(VALU_DEP_1) | instskip(NEXT) | instid1(VALU_DEP_1)
	v_fmac_f32_e32 v7, 0x3f317217, v6
	v_dual_cndmask_b32 v3, v6, v7 :: v_dual_mul_f32 v6, s5, v1
	v_fma_f32 v7, -s5, v1, 1.0
	s_delay_alu instid0(VALU_DEP_2) | instskip(NEXT) | instid1(VALU_DEP_2)
	v_dual_mov_b32 v1, 1.0 :: v_dual_subrev_f32 v3, s0, v3
	v_pk_mul_f32 v[4:5], v[6:7], v[4:5]
	s_delay_alu instid0(VALU_DEP_2) | instskip(NEXT) | instid1(VALU_DEP_2)
	v_fmamk_f32 v1, v3, 0x3dcccccd, v1
	v_add_f32_e32 v5, v4, v5
	s_delay_alu instid0(VALU_DEP_2)
	v_mul_f32_e32 v6, s6, v1
	s_branch .LBB3_10
.LBB3_9:
	v_mov_b32_e32 v6, s6
.LBB3_10:
	s_delay_alu instid0(VALU_DEP_2) | instskip(SKIP_1) | instid1(VALU_DEP_2)
	v_and_b32_e32 v1, 0x7fffffff, v5
	v_cmp_ngt_f32_e64 s2, 0x48000000, |v5|
                                        ; implicit-def: $vgpr7
                                        ; implicit-def: $vgpr4
	v_lshrrev_b32_e32 v3, 23, v1
	s_and_saveexec_b32 s0, s2
	s_delay_alu instid0(SALU_CYCLE_1)
	s_xor_b32 s3, exec_lo, s0
	s_cbranch_execz .LBB3_12
; %bb.11:
	s_mov_b32 s0, 0x7fffff
	v_mov_b32_e32 v9, 0
	v_and_or_b32 v8, v1, s0, 0x800000
	s_mov_b64 s[0:1], 0xfe5163ab
	s_delay_alu instid0(VALU_DEP_1) | instid1(SALU_CYCLE_1)
	v_mul_u64_e32 v[10:11], s[0:1], v[8:9]
	s_delay_alu instid0(VALU_DEP_1) | instskip(SKIP_2) | instid1(VALU_DEP_3)
	v_dual_mov_b32 v12, v11 :: v_dual_mov_b32 v13, v9
	v_dual_mov_b32 v15, v9 :: v_dual_mov_b32 v17, v9
	;; [unrolled: 1-line block ×3, first 2 shown]
	v_mad_nc_u64_u32 v[12:13], 0x3c439041, v8, v[12:13]
	s_delay_alu instid0(VALU_DEP_1) | instskip(NEXT) | instid1(VALU_DEP_1)
	v_dual_mov_b32 v23, v9 :: v_dual_mov_b32 v14, v13
	v_mad_nc_u64_u32 v[14:15], 0xdb629599, v8, v[14:15]
	s_delay_alu instid0(VALU_DEP_1) | instskip(NEXT) | instid1(VALU_DEP_1)
	v_mov_b32_e32 v16, v15
	v_mad_nc_u64_u32 v[16:17], 0xf534ddc0, v8, v[16:17]
	s_delay_alu instid0(VALU_DEP_1) | instskip(NEXT) | instid1(VALU_DEP_1)
	v_mov_b32_e32 v18, v17
	;; [unrolled: 3-line block ×3, first 2 shown]
	v_mad_nc_u64_u32 v[20:21], 0x4e441529, v8, v[20:21]
	v_add_nc_u32_e32 v4, 0xffffff88, v3
	s_delay_alu instid0(VALU_DEP_1) | instskip(SKIP_1) | instid1(VALU_DEP_4)
	v_cmp_lt_u32_e32 vcc_lo, 63, v4
	v_cndmask_b32_e64 v7, 0, 0xffffffc0, vcc_lo
	v_dual_cndmask_b32 v11, v20, v16 :: v_dual_mov_b32 v22, v21
	s_delay_alu instid0(VALU_DEP_2) | instskip(NEXT) | instid1(VALU_DEP_2)
	v_dual_cndmask_b32 v13, v18, v14 :: v_dual_add_nc_u32 v4, v7, v4
	v_mad_nc_u64_u32 v[8:9], 0xa2f9836e, v8, v[22:23]
	s_delay_alu instid0(VALU_DEP_2) | instskip(NEXT) | instid1(VALU_DEP_1)
	v_cmp_lt_u32_e64 s0, 31, v4
	v_cndmask_b32_e64 v7, 0, 0xffffffe0, s0
	s_delay_alu instid0(VALU_DEP_3) | instskip(NEXT) | instid1(VALU_DEP_2)
	v_dual_cndmask_b32 v8, v8, v18 :: v_dual_cndmask_b32 v9, v9, v20
	v_add_nc_u32_e32 v4, v7, v4
	s_delay_alu instid0(VALU_DEP_1) | instskip(NEXT) | instid1(VALU_DEP_1)
	v_cmp_lt_u32_e64 s1, 31, v4
	v_cndmask_b32_e64 v7, 0, 0xffffffe0, s1
	s_delay_alu instid0(VALU_DEP_1) | instskip(SKIP_2) | instid1(VALU_DEP_3)
	v_add_nc_u32_e32 v4, v7, v4
	v_cndmask_b32_e32 v7, v16, v12, vcc_lo
	v_dual_cndmask_b32 v12, v8, v11, s0 :: v_dual_cndmask_b32 v8, v9, v8, s0
	v_dual_cndmask_b32 v9, v11, v13, s0 :: v_dual_sub_nc_u32 v11, 32, v4
	s_delay_alu instid0(VALU_DEP_2) | instskip(NEXT) | instid1(VALU_DEP_2)
	v_dual_cndmask_b32 v13, v13, v7, s0 :: v_dual_cndmask_b32 v8, v8, v12, s1
	v_cndmask_b32_e64 v12, v12, v9, s1
	s_delay_alu instid0(VALU_DEP_2) | instskip(NEXT) | instid1(VALU_DEP_2)
	v_cndmask_b32_e64 v9, v9, v13, s1
	v_alignbit_b32 v15, v8, v12, v11
	v_cndmask_b32_e32 v10, v14, v10, vcc_lo
	v_cmp_eq_u32_e32 vcc_lo, 0, v4
	s_delay_alu instid0(VALU_DEP_4) | instskip(NEXT) | instid1(VALU_DEP_4)
	v_alignbit_b32 v14, v12, v9, v11
	v_cndmask_b32_e32 v4, v15, v8, vcc_lo
	s_delay_alu instid0(VALU_DEP_2) | instskip(NEXT) | instid1(VALU_DEP_2)
	v_dual_cndmask_b32 v7, v7, v10, s0 :: v_dual_cndmask_b32 v8, v14, v12, vcc_lo
	v_bfe_u32 v10, v4, 29, 1
	s_delay_alu instid0(VALU_DEP_2) | instskip(NEXT) | instid1(VALU_DEP_3)
	v_cndmask_b32_e64 v7, v13, v7, s1
	v_alignbit_b32 v12, v4, v8, 30
	s_delay_alu instid0(VALU_DEP_3) | instskip(NEXT) | instid1(VALU_DEP_3)
	v_sub_nc_u32_e32 v13, 0, v10
	v_alignbit_b32 v11, v9, v7, v11
	s_delay_alu instid0(VALU_DEP_2) | instskip(NEXT) | instid1(VALU_DEP_2)
	v_xor_b32_e32 v12, v12, v13
	v_cndmask_b32_e32 v9, v11, v9, vcc_lo
	s_delay_alu instid0(VALU_DEP_2) | instskip(NEXT) | instid1(VALU_DEP_2)
	v_clz_i32_u32_e32 v11, v12
	v_alignbit_b32 v8, v8, v9, 30
	v_alignbit_b32 v7, v9, v7, 30
	s_delay_alu instid0(VALU_DEP_3) | instskip(NEXT) | instid1(VALU_DEP_3)
	v_min_u32_e32 v11, 32, v11
	v_xor_b32_e32 v8, v8, v13
	s_delay_alu instid0(VALU_DEP_3) | instskip(NEXT) | instid1(VALU_DEP_3)
	v_dual_lshrrev_b32 v13, 29, v4 :: v_dual_bitop2_b32 v7, v7, v13 bitop3:0x14
	v_dual_sub_nc_u32 v9, 31, v11 :: v_dual_lshlrev_b32 v14, 23, v11
	s_delay_alu instid0(VALU_DEP_1) | instskip(NEXT) | instid1(VALU_DEP_3)
	v_alignbit_b32 v12, v12, v8, v9
	v_alignbit_b32 v7, v8, v7, v9
	s_delay_alu instid0(VALU_DEP_4) | instskip(NEXT) | instid1(VALU_DEP_2)
	v_lshlrev_b32_e32 v8, 31, v13
	v_alignbit_b32 v9, v12, v7, 9
	s_delay_alu instid0(VALU_DEP_2) | instskip(SKIP_2) | instid1(VALU_DEP_4)
	v_or_b32_e32 v13, 0.5, v8
	v_lshrrev_b32_e32 v12, 9, v12
	v_or_b32_e32 v8, 0x33000000, v8
	v_clz_i32_u32_e32 v15, v9
	s_delay_alu instid0(VALU_DEP_4) | instskip(NEXT) | instid1(VALU_DEP_2)
	v_sub_nc_u32_e32 v13, v13, v14
	v_min_u32_e32 v14, 32, v15
	s_delay_alu instid0(VALU_DEP_2) | instskip(NEXT) | instid1(VALU_DEP_2)
	v_or_b32_e32 v12, v12, v13
	v_not_b32_e32 v13, v14
	v_add_lshl_u32 v11, v14, v11, 23
	s_delay_alu instid0(VALU_DEP_2) | instskip(NEXT) | instid1(VALU_DEP_2)
	v_alignbit_b32 v7, v9, v7, v13
	v_sub_nc_u32_e32 v8, v8, v11
	s_delay_alu instid0(VALU_DEP_2) | instskip(SKIP_1) | instid1(VALU_DEP_2)
	v_lshrrev_b32_e32 v7, 9, v7
	v_mul_f32_e32 v15, 0x3fc90fda, v12
	v_or_b32_e32 v7, v8, v7
	s_delay_alu instid0(VALU_DEP_2) | instskip(NEXT) | instid1(VALU_DEP_1)
	v_fma_f32 v9, 0x3fc90fda, v12, -v15
	v_fmamk_f32 v9, v12, 0x33a22168, v9
	s_delay_alu instid0(VALU_DEP_1) | instskip(NEXT) | instid1(VALU_DEP_1)
	v_fmac_f32_e32 v9, 0x3fc90fda, v7
	v_dual_add_f32 v4, v15, v9 :: v_dual_lshrrev_b32 v7, 30, v4
	s_delay_alu instid0(VALU_DEP_1)
	v_add_nc_u32_e32 v7, v10, v7
	s_or_saveexec_b32 s0, s3
	v_mul_f32_e64 v10, 0x3f22f983, |v5|
	s_xor_b32 exec_lo, exec_lo, s0
	s_branch .LBB3_13
.LBB3_12:
	s_or_saveexec_b32 s0, s3
	v_mul_f32_e64 v10, 0x3f22f983, |v5|
	s_xor_b32 exec_lo, exec_lo, s0
.LBB3_13:
	s_delay_alu instid0(VALU_DEP_1) | instskip(NEXT) | instid1(VALU_DEP_1)
	v_rndne_f32_e32 v7, v10
	v_fma_f32 v4, 0xbfc90fda, v7, |v5|
	s_delay_alu instid0(VALU_DEP_1) | instskip(NEXT) | instid1(VALU_DEP_1)
	v_fmamk_f32 v4, v7, 0xb3a22168, v4
	v_fmamk_f32 v4, v7, 0xa7c234c4, v4
	v_cvt_i32_f32_e32 v7, v7
; %bb.14:
	s_or_b32 exec_lo, exec_lo, s0
                                        ; implicit-def: $vgpr9
                                        ; implicit-def: $vgpr8
	s_and_saveexec_b32 s0, s2
	s_delay_alu instid0(SALU_CYCLE_1)
	s_xor_b32 s2, exec_lo, s0
	s_cbranch_execz .LBB3_16
; %bb.15:
	s_mov_b32 s0, 0x7fffff
	v_mov_b32_e32 v9, 0
	v_and_or_b32 v8, v1, s0, 0x800000
	s_mov_b64 s[0:1], 0xfe5163ab
	v_add_nc_u32_e32 v3, 0xffffff88, v3
	s_delay_alu instid0(VALU_DEP_2) | instskip(NEXT) | instid1(VALU_DEP_2)
	v_mul_u64_e32 v[10:11], s[0:1], v[8:9]
	v_cmp_lt_u32_e32 vcc_lo, 63, v3
	s_delay_alu instid0(VALU_DEP_2) | instskip(SKIP_2) | instid1(VALU_DEP_3)
	v_dual_mov_b32 v12, v11 :: v_dual_mov_b32 v13, v9
	v_dual_mov_b32 v15, v9 :: v_dual_mov_b32 v17, v9
	;; [unrolled: 1-line block ×3, first 2 shown]
	v_mad_nc_u64_u32 v[12:13], 0x3c439041, v8, v[12:13]
	v_cndmask_b32_e64 v11, 0, 0xffffffc0, vcc_lo
	s_delay_alu instid0(VALU_DEP_1) | instskip(NEXT) | instid1(VALU_DEP_3)
	v_dual_mov_b32 v23, v9 :: v_dual_add_nc_u32 v3, v11, v3
	v_mov_b32_e32 v14, v13
	s_delay_alu instid0(VALU_DEP_2) | instskip(NEXT) | instid1(VALU_DEP_2)
	v_cmp_lt_u32_e64 s0, 31, v3
	v_mad_nc_u64_u32 v[14:15], 0xdb629599, v8, v[14:15]
	s_delay_alu instid0(VALU_DEP_2) | instskip(NEXT) | instid1(VALU_DEP_1)
	v_cndmask_b32_e64 v11, 0, 0xffffffe0, s0
	v_add_nc_u32_e32 v3, v11, v3
	s_delay_alu instid0(VALU_DEP_3) | instskip(NEXT) | instid1(VALU_DEP_2)
	v_mov_b32_e32 v16, v15
	v_cmp_lt_u32_e64 s1, 31, v3
	v_cndmask_b32_e32 v10, v14, v10, vcc_lo
	s_delay_alu instid0(VALU_DEP_3) | instskip(NEXT) | instid1(VALU_DEP_3)
	v_mad_nc_u64_u32 v[16:17], 0xf534ddc0, v8, v[16:17]
	v_cndmask_b32_e64 v11, 0, 0xffffffe0, s1
	s_delay_alu instid0(VALU_DEP_1) | instskip(NEXT) | instid1(VALU_DEP_3)
	v_dual_add_nc_u32 v3, v11, v3 :: v_dual_cndmask_b32 v11, v16, v12, vcc_lo
	v_mov_b32_e32 v18, v17
	s_delay_alu instid0(VALU_DEP_1) | instskip(NEXT) | instid1(VALU_DEP_1)
	v_mad_nc_u64_u32 v[18:19], 0xfc2757d1, v8, v[18:19]
	v_dual_mov_b32 v20, v19 :: v_dual_cndmask_b32 v15, v18, v14
	s_delay_alu instid0(VALU_DEP_1) | instskip(NEXT) | instid1(VALU_DEP_1)
	v_mad_nc_u64_u32 v[20:21], 0x4e441529, v8, v[20:21]
	v_dual_mov_b32 v22, v21 :: v_dual_cndmask_b32 v13, v20, v16
	s_delay_alu instid0(VALU_DEP_1) | instskip(NEXT) | instid1(VALU_DEP_1)
	v_mad_nc_u64_u32 v[8:9], 0xa2f9836e, v8, v[22:23]
	v_dual_cndmask_b32 v8, v8, v18 :: v_dual_cndmask_b32 v9, v9, v20
	v_cmp_eq_u32_e32 vcc_lo, 0, v3
	s_delay_alu instid0(VALU_DEP_2) | instskip(SKIP_2) | instid1(VALU_DEP_3)
	v_dual_cndmask_b32 v12, v8, v13, s0 :: v_dual_cndmask_b32 v8, v9, v8, s0
	v_cndmask_b32_e64 v9, v13, v15, s0
	v_sub_nc_u32_e32 v13, 32, v3
	v_dual_cndmask_b32 v15, v15, v11, s0 :: v_dual_cndmask_b32 v8, v8, v12, s1
	s_delay_alu instid0(VALU_DEP_3) | instskip(NEXT) | instid1(VALU_DEP_1)
	v_cndmask_b32_e64 v12, v12, v9, s1
	v_alignbit_b32 v16, v8, v12, v13
	s_delay_alu instid0(VALU_DEP_1) | instskip(NEXT) | instid1(VALU_DEP_1)
	v_dual_cndmask_b32 v9, v9, v15, s1 :: v_dual_cndmask_b32 v3, v16, v8, vcc_lo
	v_alignbit_b32 v14, v12, v9, v13
	v_cndmask_b32_e64 v8, v11, v10, s0
	s_delay_alu instid0(VALU_DEP_3) | instskip(NEXT) | instid1(VALU_DEP_3)
	v_bfe_u32 v11, v3, 29, 1
	v_cndmask_b32_e32 v10, v14, v12, vcc_lo
	s_delay_alu instid0(VALU_DEP_2) | instskip(NEXT) | instid1(VALU_DEP_2)
	v_dual_cndmask_b32 v8, v15, v8, s1 :: v_dual_sub_nc_u32 v14, 0, v11
	v_alignbit_b32 v12, v3, v10, 30
	s_delay_alu instid0(VALU_DEP_2) | instskip(NEXT) | instid1(VALU_DEP_1)
	v_alignbit_b32 v13, v9, v8, v13
	v_dual_cndmask_b32 v9, v13, v9, vcc_lo :: v_dual_bitop2_b32 v12, v12, v14 bitop3:0x14
	s_delay_alu instid0(VALU_DEP_1) | instskip(NEXT) | instid1(VALU_DEP_2)
	v_clz_i32_u32_e32 v13, v12
	v_alignbit_b32 v10, v10, v9, 30
	v_alignbit_b32 v8, v9, v8, 30
	s_delay_alu instid0(VALU_DEP_3) | instskip(NEXT) | instid1(VALU_DEP_3)
	v_min_u32_e32 v13, 32, v13
	v_xor_b32_e32 v9, v10, v14
	s_delay_alu instid0(VALU_DEP_3) | instskip(NEXT) | instid1(VALU_DEP_3)
	v_dual_lshrrev_b32 v14, 29, v3 :: v_dual_bitop2_b32 v8, v8, v14 bitop3:0x14
	v_dual_lshrrev_b32 v3, 30, v3 :: v_dual_sub_nc_u32 v10, 31, v13
	v_lshlrev_b32_e32 v15, 23, v13
	s_delay_alu instid0(VALU_DEP_2) | instskip(NEXT) | instid1(VALU_DEP_4)
	v_alignbit_b32 v12, v12, v9, v10
	v_alignbit_b32 v8, v9, v8, v10
	v_lshlrev_b32_e32 v9, 31, v14
	s_delay_alu instid0(VALU_DEP_2) | instskip(NEXT) | instid1(VALU_DEP_2)
	v_alignbit_b32 v10, v12, v8, 9
	v_dual_lshrrev_b32 v12, 9, v12 :: v_dual_bitop2_b32 v14, 0.5, v9 bitop3:0x54
	v_or_b32_e32 v9, 0x33000000, v9
	s_delay_alu instid0(VALU_DEP_3) | instskip(NEXT) | instid1(VALU_DEP_3)
	v_clz_i32_u32_e32 v16, v10
	v_sub_nc_u32_e32 v14, v14, v15
	s_delay_alu instid0(VALU_DEP_2) | instskip(NEXT) | instid1(VALU_DEP_1)
	v_min_u32_e32 v15, 32, v16
	v_add_lshl_u32 v13, v15, v13, 23
	s_delay_alu instid0(VALU_DEP_1) | instskip(SKIP_1) | instid1(VALU_DEP_1)
	v_dual_sub_nc_u32 v9, v9, v13 :: v_dual_bitop2_b32 v12, v12, v14 bitop3:0x54
	v_not_b32_e32 v14, v15
	v_alignbit_b32 v8, v10, v8, v14
	s_delay_alu instid0(VALU_DEP_1) | instskip(NEXT) | instid1(VALU_DEP_4)
	v_lshrrev_b32_e32 v8, 9, v8
	v_mul_f32_e32 v16, 0x3fc90fda, v12
	s_delay_alu instid0(VALU_DEP_2) | instskip(NEXT) | instid1(VALU_DEP_2)
	v_or_b32_e32 v8, v9, v8
	v_fma_f32 v10, 0x3fc90fda, v12, -v16
	s_delay_alu instid0(VALU_DEP_1) | instskip(NEXT) | instid1(VALU_DEP_1)
	v_dual_fmamk_f32 v10, v12, 0x33a22168, v10 :: v_dual_add_nc_u32 v9, v11, v3
	v_fmac_f32_e32 v10, 0x3fc90fda, v8
	s_delay_alu instid0(VALU_DEP_1)
	v_add_f32_e32 v8, v16, v10
                                        ; implicit-def: $vgpr10
	s_and_not1_saveexec_b32 s0, s2
	s_cbranch_execnz .LBB3_17
	s_branch .LBB3_18
.LBB3_16:
	s_and_not1_saveexec_b32 s0, s2
.LBB3_17:
	v_rndne_f32_e32 v3, v10
	s_delay_alu instid0(VALU_DEP_1) | instskip(SKIP_1) | instid1(VALU_DEP_2)
	v_fma_f32 v8, 0xbfc90fda, v3, |v5|
	v_cvt_i32_f32_e32 v9, v3
	v_fmamk_f32 v8, v3, 0xb3a22168, v8
	s_delay_alu instid0(VALU_DEP_1)
	v_fmamk_f32 v8, v3, 0xa7c234c4, v8
.LBB3_18:
	s_or_b32 exec_lo, exec_lo, s0
	v_ashrrev_i32_e32 v3, 31, v2
	s_lshr_b32 s0, s21, 31
	s_mov_b32 s2, 0xb94c1982
	s_add_co_i32 s0, s21, s0
	s_mov_b32 s3, 0x37d75334
	v_lshl_add_u64 v[10:11], v[2:3], 2, s[12:13]
	s_ashr_i32 s0, s0, 1
	v_mul_f32_e32 v3, v8, v8
	s_ashr_i32 s1, s0, 31
	s_delay_alu instid0(VALU_DEP_2) | instid1(SALU_CYCLE_1)
	v_lshl_add_u64 v[10:11], s[0:1], 2, v[10:11]
	s_clause 0x1
	global_load_b32 v12, v[10:11], off
	global_load_b32 v13, v2, s[12:13] scale_offset
	s_wait_xcnt 0x0
	v_dual_mul_f32 v2, v4, v4 :: v_dual_bitop2_b32 v10, 1, v7 bitop3:0x40
	v_fmaak_f32 v15, s2, v3, 0x3c0881c4
	v_lshlrev_b32_e32 v7, 30, v7
	v_fmaak_f32 v16, s3, v3, 0xbab64f3b
	s_delay_alu instid0(VALU_DEP_4) | instskip(SKIP_2) | instid1(VALU_DEP_1)
	v_fmaak_f32 v14, s3, v2, 0xbab64f3b
	v_cmp_eq_u32_e32 vcc_lo, 0, v10
	v_fmaak_f32 v15, v3, v15, 0xbe2aaa9d
	v_dual_fmaak_f32 v14, v2, v14, 0x3d2aabf7 :: v_dual_mul_f32 v15, v3, v15
	s_delay_alu instid0(VALU_DEP_1) | instskip(NEXT) | instid1(VALU_DEP_1)
	v_dual_fmaak_f32 v11, s2, v2, 0x3c0881c4 :: v_dual_fmac_f32 v8, v8, v15
	v_fmaak_f32 v11, v2, v11, 0xbe2aaa9d
	v_dual_lshlrev_b32 v9, 30, v9 :: v_dual_bitop2_b32 v17, 1, v9 bitop3:0x40
	s_delay_alu instid0(VALU_DEP_2) | instskip(SKIP_1) | instid1(VALU_DEP_3)
	v_dual_fmaak_f32 v16, v3, v16, 0x3d2aabf7 :: v_dual_mul_f32 v11, v2, v11
	v_xor_b32_e32 v1, v1, v5
	v_and_b32_e32 v9, 0x80000000, v9
	s_delay_alu instid0(VALU_DEP_3) | instskip(NEXT) | instid1(VALU_DEP_4)
	v_fmaak_f32 v16, v3, v16, 0xbf000004
	v_fmac_f32_e32 v4, v4, v11
	s_delay_alu instid0(VALU_DEP_2) | instskip(SKIP_1) | instid1(VALU_DEP_1)
	v_fma_f32 v3, v3, v16, 1.0
	v_fmaak_f32 v14, v2, v14, 0xbf000004
	v_fma_f32 v2, v2, v14, 1.0
	s_delay_alu instid0(VALU_DEP_1) | instskip(SKIP_1) | instid1(VALU_DEP_2)
	v_cndmask_b32_e64 v2, -v4, v2, vcc_lo
	v_cmp_eq_u32_e32 vcc_lo, 0, v17
	v_bitop3_b32 v2, v7, v2, 0x80000000 bitop3:0x6c
	v_cndmask_b32_e32 v3, v3, v8, vcc_lo
	v_cmp_class_f32_e64 vcc_lo, v5, 0x1f8
	s_delay_alu instid0(VALU_DEP_2) | instskip(NEXT) | instid1(VALU_DEP_4)
	v_xor3_b32 v1, v1, v9, v3
	v_cndmask_b32_e32 v4, 0x7fc00000, v2, vcc_lo
	s_delay_alu instid0(VALU_DEP_2) | instskip(NEXT) | instid1(VALU_DEP_1)
	v_dual_cndmask_b32 v2, 0x7fc00000, v1 :: v_dual_ashrrev_i32 v1, 31, v0
	v_mul_f32_e32 v5, v6, v2
	s_delay_alu instid0(VALU_DEP_2) | instskip(NEXT) | instid1(VALU_DEP_4)
	v_lshl_add_u64 v[2:3], v[0:1], 1, s[14:15]
	v_mul_f32_e32 v1, v6, v4
	s_delay_alu instid0(VALU_DEP_2) | instskip(SKIP_2) | instid1(VALU_DEP_1)
	v_lshl_add_u64 v[2:3], s[0:1], 1, v[2:3]
	s_wait_loadcnt 0x0
	v_dual_mul_f32 v4, v12, v5 :: v_dual_mul_f32 v5, v13, v5
	v_fma_mixlo_f16 v4, v1, v13, -v4
	s_delay_alu instid0(VALU_DEP_2)
	v_fma_mixlo_f16 v1, v1, v12, v5
	s_clause 0x1
	global_store_b16 v0, v4, s[14:15] scale_offset
	global_store_b16 v[2:3], v1, off
.LBB3_19:
	s_endpgm
	.section	.rodata,"a",@progbits
	.p2align	6, 0x0
	.amdhsa_kernel _ZL9rope_neoxILb1ELb1Ef6__halfEvPKT1_PT2_iiiiiiiiiiPKifff14rope_corr_dimsfPKfPKli
		.amdhsa_group_segment_fixed_size 0
		.amdhsa_private_segment_fixed_size 0
		.amdhsa_kernarg_size 368
		.amdhsa_user_sgpr_count 2
		.amdhsa_user_sgpr_dispatch_ptr 0
		.amdhsa_user_sgpr_queue_ptr 0
		.amdhsa_user_sgpr_kernarg_segment_ptr 1
		.amdhsa_user_sgpr_dispatch_id 0
		.amdhsa_user_sgpr_kernarg_preload_length 0
		.amdhsa_user_sgpr_kernarg_preload_offset 0
		.amdhsa_user_sgpr_private_segment_size 0
		.amdhsa_wavefront_size32 1
		.amdhsa_uses_dynamic_stack 0
		.amdhsa_enable_private_segment 0
		.amdhsa_system_sgpr_workgroup_id_x 1
		.amdhsa_system_sgpr_workgroup_id_y 1
		.amdhsa_system_sgpr_workgroup_id_z 0
		.amdhsa_system_sgpr_workgroup_info 0
		.amdhsa_system_vgpr_workitem_id 1
		.amdhsa_next_free_vgpr 24
		.amdhsa_next_free_sgpr 22
		.amdhsa_named_barrier_count 0
		.amdhsa_reserve_vcc 1
		.amdhsa_float_round_mode_32 0
		.amdhsa_float_round_mode_16_64 0
		.amdhsa_float_denorm_mode_32 3
		.amdhsa_float_denorm_mode_16_64 3
		.amdhsa_fp16_overflow 0
		.amdhsa_memory_ordered 1
		.amdhsa_forward_progress 1
		.amdhsa_inst_pref_size 38
		.amdhsa_round_robin_scheduling 0
		.amdhsa_exception_fp_ieee_invalid_op 0
		.amdhsa_exception_fp_denorm_src 0
		.amdhsa_exception_fp_ieee_div_zero 0
		.amdhsa_exception_fp_ieee_overflow 0
		.amdhsa_exception_fp_ieee_underflow 0
		.amdhsa_exception_fp_ieee_inexact 0
		.amdhsa_exception_int_div_zero 0
	.end_amdhsa_kernel
	.section	.text._ZL9rope_neoxILb1ELb1Ef6__halfEvPKT1_PT2_iiiiiiiiiiPKifff14rope_corr_dimsfPKfPKli,"axG",@progbits,_ZL9rope_neoxILb1ELb1Ef6__halfEvPKT1_PT2_iiiiiiiiiiPKifff14rope_corr_dimsfPKfPKli,comdat
.Lfunc_end3:
	.size	_ZL9rope_neoxILb1ELb1Ef6__halfEvPKT1_PT2_iiiiiiiiiiPKifff14rope_corr_dimsfPKfPKli, .Lfunc_end3-_ZL9rope_neoxILb1ELb1Ef6__halfEvPKT1_PT2_iiiiiiiiiiPKifff14rope_corr_dimsfPKfPKli
                                        ; -- End function
	.set _ZL9rope_neoxILb1ELb1Ef6__halfEvPKT1_PT2_iiiiiiiiiiPKifff14rope_corr_dimsfPKfPKli.num_vgpr, 24
	.set _ZL9rope_neoxILb1ELb1Ef6__halfEvPKT1_PT2_iiiiiiiiiiPKifff14rope_corr_dimsfPKfPKli.num_agpr, 0
	.set _ZL9rope_neoxILb1ELb1Ef6__halfEvPKT1_PT2_iiiiiiiiiiPKifff14rope_corr_dimsfPKfPKli.numbered_sgpr, 22
	.set _ZL9rope_neoxILb1ELb1Ef6__halfEvPKT1_PT2_iiiiiiiiiiPKifff14rope_corr_dimsfPKfPKli.num_named_barrier, 0
	.set _ZL9rope_neoxILb1ELb1Ef6__halfEvPKT1_PT2_iiiiiiiiiiPKifff14rope_corr_dimsfPKfPKli.private_seg_size, 0
	.set _ZL9rope_neoxILb1ELb1Ef6__halfEvPKT1_PT2_iiiiiiiiiiPKifff14rope_corr_dimsfPKfPKli.uses_vcc, 1
	.set _ZL9rope_neoxILb1ELb1Ef6__halfEvPKT1_PT2_iiiiiiiiiiPKifff14rope_corr_dimsfPKfPKli.uses_flat_scratch, 0
	.set _ZL9rope_neoxILb1ELb1Ef6__halfEvPKT1_PT2_iiiiiiiiiiPKifff14rope_corr_dimsfPKfPKli.has_dyn_sized_stack, 0
	.set _ZL9rope_neoxILb1ELb1Ef6__halfEvPKT1_PT2_iiiiiiiiiiPKifff14rope_corr_dimsfPKfPKli.has_recursion, 0
	.set _ZL9rope_neoxILb1ELb1Ef6__halfEvPKT1_PT2_iiiiiiiiiiPKifff14rope_corr_dimsfPKfPKli.has_indirect_call, 0
	.section	.AMDGPU.csdata,"",@progbits
; Kernel info:
; codeLenInByte = 4804
; TotalNumSgprs: 24
; NumVgprs: 24
; ScratchSize: 0
; MemoryBound: 0
; FloatMode: 240
; IeeeMode: 1
; LDSByteSize: 0 bytes/workgroup (compile time only)
; SGPRBlocks: 0
; VGPRBlocks: 1
; NumSGPRsForWavesPerEU: 24
; NumVGPRsForWavesPerEU: 24
; NamedBarCnt: 0
; Occupancy: 16
; WaveLimiterHint : 0
; COMPUTE_PGM_RSRC2:SCRATCH_EN: 0
; COMPUTE_PGM_RSRC2:USER_SGPR: 2
; COMPUTE_PGM_RSRC2:TRAP_HANDLER: 0
; COMPUTE_PGM_RSRC2:TGID_X_EN: 1
; COMPUTE_PGM_RSRC2:TGID_Y_EN: 1
; COMPUTE_PGM_RSRC2:TGID_Z_EN: 0
; COMPUTE_PGM_RSRC2:TIDIG_COMP_CNT: 1
	.section	.text._ZL9rope_neoxILb1ELb0E6__halfS0_EvPKT1_PT2_iiiiiiiiiiPKifff14rope_corr_dimsfPKfPKli,"axG",@progbits,_ZL9rope_neoxILb1ELb0E6__halfS0_EvPKT1_PT2_iiiiiiiiiiPKifff14rope_corr_dimsfPKfPKli,comdat
	.globl	_ZL9rope_neoxILb1ELb0E6__halfS0_EvPKT1_PT2_iiiiiiiiiiPKifff14rope_corr_dimsfPKfPKli ; -- Begin function _ZL9rope_neoxILb1ELb0E6__halfS0_EvPKT1_PT2_iiiiiiiiiiPKifff14rope_corr_dimsfPKfPKli
	.p2align	8
	.type	_ZL9rope_neoxILb1ELb0E6__halfS0_EvPKT1_PT2_iiiiiiiiiiPKifff14rope_corr_dimsfPKfPKli,@function
_ZL9rope_neoxILb1ELb0E6__halfS0_EvPKT1_PT2_iiiiiiiiiiPKifff14rope_corr_dimsfPKfPKli: ; @_ZL9rope_neoxILb1ELb0E6__halfS0_EvPKT1_PT2_iiiiiiiiiiPKifff14rope_corr_dimsfPKfPKli
; %bb.0:
	s_clause 0x1
	s_load_u16 s3, s[0:1], 0x7e
	s_load_b256 s[4:11], s[0:1], 0x10
	s_bfe_u32 s2, ttmp6, 0x40010
	s_bfe_u32 s13, ttmp6, 0x40004
	s_add_co_i32 s2, s2, 1
	v_bfe_u32 v1, v0, 10, 10
	s_mul_i32 s12, ttmp7, s2
	s_getreg_b32 s2, hwreg(HW_REG_IB_STS2, 6, 4)
	s_add_co_i32 s13, s13, s12
	s_cmp_eq_u32 s2, 0
	s_cselect_b32 s12, ttmp7, s13
	s_wait_kmcnt 0x0
	s_mul_i32 s12, s12, s3
	s_mov_b32 s3, exec_lo
	v_add_lshl_u32 v3, s12, v1, 1
	s_delay_alu instid0(VALU_DEP_1)
	v_cmpx_gt_i32_e64 s4, v3
	s_cbranch_execz .LBB4_19
; %bb.1:
	s_add_nc_u64 s[12:13], s[0:1], 0x70
	s_bfe_u32 s4, ttmp6, 0x4000c
	s_load_b32 s3, s[12:13], 0xc
	s_add_co_i32 s4, s4, 1
	s_wait_xcnt 0x0
	s_and_b32 s12, ttmp6, 15
	s_mul_i32 s4, ttmp9, s4
	v_and_b32_e32 v0, 0x3ff, v0
	s_add_co_i32 s12, s12, s4
	s_load_b64 s[16:17], s[0:1], 0x30
	s_wait_kmcnt 0x0
	s_and_b32 s3, s3, 0xffff
	s_cmp_eq_u32 s2, 0
	s_mul_i32 s2, s6, s5
	s_cselect_b32 s4, ttmp9, s12
	s_abs_i32 s6, s2
	v_mad_u32 v2, s4, s3, v0
	s_cvt_f32_u32 s12, s6
	s_sub_co_i32 s4, 0, s6
	s_delay_alu instid0(SALU_CYCLE_2) | instskip(NEXT) | instid1(VALU_DEP_1)
	v_rcp_iflag_f32_e32 v1, s12
	v_sub_nc_u32_e32 v0, 0, v2
	s_delay_alu instid0(TRANS32_DEP_1) | instskip(NEXT) | instid1(VALU_DEP_2)
	v_readfirstlane_b32 s3, v1
	v_max_i32_e32 v0, v2, v0
	s_mul_f32 s3, s3, 0x4f7ffffe
	s_delay_alu instid0(SALU_CYCLE_3) | instskip(NEXT) | instid1(SALU_CYCLE_3)
	s_cvt_u32_f32 s3, s3
	s_mul_i32 s4, s4, s3
	s_delay_alu instid0(SALU_CYCLE_1) | instskip(NEXT) | instid1(SALU_CYCLE_1)
	s_mul_hi_u32 s4, s3, s4
	s_add_co_i32 s3, s3, s4
	s_delay_alu instid0(SALU_CYCLE_1) | instskip(SKIP_1) | instid1(VALU_DEP_1)
	v_mul_hi_u32 v1, v0, s3
	s_cvt_f32_u32 s3, s5
	v_mul_lo_u32 v4, v1, s6
	s_delay_alu instid0(VALU_DEP_1) | instskip(NEXT) | instid1(VALU_DEP_1)
	v_dual_sub_nc_u32 v0, v0, v4 :: v_dual_add_nc_u32 v4, 1, v1
	v_cmp_le_u32_e32 vcc_lo, s6, v0
	s_delay_alu instid0(VALU_DEP_2) | instskip(SKIP_1) | instid1(VALU_DEP_1)
	v_cndmask_b32_e32 v1, v1, v4, vcc_lo
	v_subrev_nc_u32_e32 v5, s6, v0
	v_dual_cndmask_b32 v0, v0, v5, vcc_lo :: v_dual_bitop2_b32 v4, s2, v2 bitop3:0x14
	s_delay_alu instid0(VALU_DEP_3) | instskip(NEXT) | instid1(VALU_DEP_2)
	v_add_nc_u32_e32 v5, 1, v1
	v_cmp_le_u32_e32 vcc_lo, s6, v0
	s_delay_alu instid0(VALU_DEP_2) | instskip(SKIP_1) | instid1(VALU_DEP_1)
	v_dual_ashrrev_i32 v4, 31, v4 :: v_dual_cndmask_b32 v0, v1, v5, vcc_lo
	v_rcp_iflag_f32_e32 v1, s3
	v_xor_b32_e32 v0, v0, v4
	s_delay_alu instid0(TRANS32_DEP_1) | instskip(NEXT) | instid1(VALU_DEP_2)
	v_readfirstlane_b32 s3, v1
	v_sub_nc_u32_e32 v0, v0, v4
	s_delay_alu instid0(VALU_DEP_1) | instskip(SKIP_2) | instid1(SALU_CYCLE_2)
	v_mul_lo_u32 v1, s2, v0
	s_mul_f32 s2, s3, 0x4f7ffffe
	s_sub_co_i32 s3, 0, s5
	s_cvt_u32_f32 s2, s2
	s_delay_alu instid0(SALU_CYCLE_3) | instskip(NEXT) | instid1(VALU_DEP_1)
	s_mul_i32 s3, s3, s2
	v_sub_nc_u32_e32 v2, v2, v1
	s_mul_hi_u32 s3, s2, s3
	s_delay_alu instid0(SALU_CYCLE_1)
	s_add_co_i32 s2, s2, s3
	s_delay_alu instid0(VALU_DEP_1) | instid1(SALU_CYCLE_1)
	v_mul_hi_u32 v1, v2, s2
	s_load_b32 s2, s[0:1], 0x68
	s_delay_alu instid0(VALU_DEP_1) | instskip(SKIP_2) | instid1(VALU_DEP_1)
	v_mul_lo_u32 v4, v1, s5
	s_wait_kmcnt 0x0
	s_cmp_eq_u32 s2, 0
	v_sub_nc_u32_e32 v4, v2, v4
	s_delay_alu instid0(VALU_DEP_1) | instskip(SKIP_1) | instid1(VALU_DEP_2)
	v_subrev_nc_u32_e32 v6, s5, v4
	v_cmp_le_u32_e32 vcc_lo, s5, v4
	v_dual_cndmask_b32 v4, v4, v6 :: v_dual_add_nc_u32 v5, 1, v1
	s_delay_alu instid0(VALU_DEP_1) | instskip(NEXT) | instid1(VALU_DEP_2)
	v_cndmask_b32_e32 v1, v1, v5, vcc_lo
	v_cmp_le_u32_e32 vcc_lo, s5, v4
	s_delay_alu instid0(VALU_DEP_2) | instskip(NEXT) | instid1(VALU_DEP_1)
	v_add_nc_u32_e32 v5, 1, v1
	v_cndmask_b32_e32 v4, v1, v5, vcc_lo
	s_cbranch_scc1 .LBB4_3
; %bb.2:
	s_load_b64 s[12:13], s[0:1], 0x60
	v_mov_b32_e32 v5, 0
	s_wait_kmcnt 0x0
	s_delay_alu instid0(VALU_DEP_1)
	v_lshl_add_u64 v[6:7], v[4:5], 3, s[12:13]
	global_load_b32 v1, v[6:7], off
	s_wait_loadcnt 0x0
	v_mul_lo_u32 v5, s2, v1
	s_branch .LBB4_4
.LBB4_3:
	v_mul_lo_u32 v1, v0, s16
	s_delay_alu instid0(VALU_DEP_1)
	v_mad_u32 v5, v4, s11, v1
.LBB4_4:
	v_mul_lo_u32 v6, v4, s5
	v_ashrrev_i32_e32 v1, 1, v3
	s_load_b128 s[12:15], s[0:1], 0x0
	s_mov_b32 s2, exec_lo
	s_delay_alu instid0(VALU_DEP_2) | instskip(NEXT) | instid1(VALU_DEP_2)
	v_sub_nc_u32_e32 v2, v2, v6
	v_mad_u32 v0, v0, s9, v1
	s_delay_alu instid0(VALU_DEP_2) | instskip(NEXT) | instid1(VALU_DEP_2)
	v_mul_lo_u32 v6, v2, s10
	v_mad_u32 v0, v4, s8, v0
	s_delay_alu instid0(VALU_DEP_1) | instskip(NEXT) | instid1(VALU_DEP_3)
	v_mad_u32 v2, v2, s7, v0
	v_add3_u32 v0, v6, v1, v5
	v_cmpx_le_i32_e64 s17, v3
	s_xor_b32 s2, exec_lo, s2
	s_cbranch_execz .LBB4_6
; %bb.5:
	s_delay_alu instid0(VALU_DEP_2)
	v_dual_add_nc_u32 v2, v2, v1 :: v_dual_add_nc_u32 v0, v0, v1
                                        ; implicit-def: $vgpr4
	s_wait_kmcnt 0x0
	global_load_u16 v3, v2, s[12:13] scale_offset
	s_wait_loadcnt 0x0
	global_store_b16 v0, v3, s[14:15] scale_offset
	global_load_u16 v1, v2, s[12:13] offset:2 scale_offset
                                        ; implicit-def: $vgpr2
                                        ; implicit-def: $vgpr3
	s_wait_loadcnt 0x0
	global_store_b16 v0, v1, s[14:15] offset:2 scale_offset
                                        ; implicit-def: $vgpr0
                                        ; implicit-def: $vgpr1
.LBB4_6:
	s_wait_xcnt 0x0
	s_and_not1_saveexec_b32 s2, s2
	s_cbranch_execz .LBB4_19
; %bb.7:
	s_load_b64 s[6:7], s[0:1], 0x50
	v_cvt_f32_i32_e32 v3, v3
	s_mov_b32 s4, 0x3e76c4e1
	s_clause 0x1
	s_load_b64 s[2:3], s[0:1], 0x38
	s_load_b128 s[8:11], s[0:1], 0x40
	v_mul_f32_e32 v3, 0.5, v3
	s_wait_kmcnt 0x0
	s_cmp_neq_f32 s7, 1.0
	global_load_b32 v22, v4, s[2:3] scale_offset
	s_cselect_b32 vcc_lo, -1, 0
	v_cndmask_b32_e32 v5, 1.0, v3, vcc_lo
	s_delay_alu instid0(VALU_DEP_1) | instskip(SKIP_1) | instid1(VALU_DEP_1)
	v_cmp_neq_f32_e32 vcc_lo, 0, v5
	v_cndmask_b32_e64 v3, 1.0, s7, vcc_lo
	v_frexp_mant_f32_e64 v6, |v3|
	v_cmp_lt_f32_e64 s7, |v3|, 1.0
	v_cmp_class_f32_e64 s0, v3, 0x204
	s_delay_alu instid0(VALU_DEP_3) | instskip(SKIP_1) | instid1(VALU_DEP_1)
	v_cmp_gt_f32_e32 vcc_lo, 0x3f2aaaab, v6
	v_cndmask_b32_e64 v7, 1.0, 2.0, vcc_lo
	v_mul_f32_e32 v6, v6, v7
	s_delay_alu instid0(VALU_DEP_1) | instskip(SKIP_1) | instid1(VALU_DEP_2)
	v_dual_add_f32 v9, 1.0, v6 :: v_dual_add_f32 v7, -1.0, v6
	v_cmp_neq_f32_e64 s5, v5, |v5|
	v_rcp_f32_e32 v12, v9
	v_add_f32_e32 v10, -1.0, v9
	s_xor_b32 s5, s5, s7
	s_delay_alu instid0(TRANS32_DEP_1) | instid1(VALU_DEP_1)
	v_dual_mul_f32 v13, v7, v12 :: v_dual_sub_f32 v6, v6, v10
	s_delay_alu instid0(VALU_DEP_1) | instskip(NEXT) | instid1(VALU_DEP_1)
	v_mul_f32_e32 v8, v9, v13
	v_fma_f32 v10, v13, v9, -v8
	s_delay_alu instid0(VALU_DEP_1) | instskip(NEXT) | instid1(VALU_DEP_1)
	v_fmac_f32_e32 v10, v13, v6
	v_add_f32_e32 v6, v8, v10
	s_delay_alu instid0(VALU_DEP_1) | instskip(NEXT) | instid1(VALU_DEP_1)
	v_dual_sub_f32 v9, v7, v6 :: v_dual_mov_b32 v11, v6
	v_pk_add_f32 v[6:7], v[6:7], v[8:9] neg_lo:[0,1] neg_hi:[0,1]
	s_delay_alu instid0(VALU_DEP_1) | instskip(NEXT) | instid1(VALU_DEP_1)
	v_pk_add_f32 v[6:7], v[6:7], v[10:11] neg_lo:[0,1] neg_hi:[0,1]
	v_add_f32_e32 v6, v6, v7
	s_delay_alu instid0(VALU_DEP_1) | instskip(NEXT) | instid1(VALU_DEP_1)
	v_add_f32_e32 v6, v9, v6
	v_mul_f32_e32 v7, v12, v6
	s_delay_alu instid0(VALU_DEP_1) | instskip(NEXT) | instid1(VALU_DEP_1)
	v_add_f32_e32 v6, v13, v7
	v_sub_f32_e32 v8, v6, v13
	s_delay_alu instid0(VALU_DEP_1) | instskip(NEXT) | instid1(VALU_DEP_1)
	v_sub_f32_e32 v18, v7, v8
	v_add_f32_e32 v8, v18, v18
	v_mul_f32_e32 v9, v6, v6
	s_delay_alu instid0(VALU_DEP_1) | instskip(NEXT) | instid1(VALU_DEP_1)
	v_fma_f32 v7, v6, v6, -v9
	v_fmac_f32_e32 v7, v6, v8
	s_delay_alu instid0(VALU_DEP_1) | instskip(NEXT) | instid1(VALU_DEP_1)
	v_add_f32_e32 v8, v9, v7
	v_dual_fmaak_f32 v10, s4, v8, 0x3e91f4c4 :: v_dual_sub_f32 v9, v8, v9
	v_cmp_eq_f32_e64 s4, 0, v3
	s_delay_alu instid0(VALU_DEP_2) | instskip(SKIP_1) | instid1(VALU_DEP_2)
	v_fmaak_f32 v12, v8, v10, 0x3ecccdef
	v_cvt_f64_f32_e64 v[10:11], |v3|
	v_dual_sub_f32 v16, v7, v9 :: v_dual_mul_f32 v13, v8, v12
	s_delay_alu instid0(VALU_DEP_1) | instskip(NEXT) | instid1(VALU_DEP_1)
	v_fma_f32 v7, v8, v12, -v13
	v_fmac_f32_e32 v7, v16, v12
	s_wait_xcnt 0x0
	s_delay_alu instid0(VALU_DEP_1) | instskip(NEXT) | instid1(VALU_DEP_1)
	v_add_f32_e32 v4, v13, v7
	v_sub_f32_e32 v9, v4, v13
	v_add_f32_e32 v13, 0x3f2aaaaa, v4
	s_delay_alu instid0(VALU_DEP_2) | instskip(NEXT) | instid1(VALU_DEP_2)
	v_sub_f32_e32 v7, v7, v9
	v_add_f32_e32 v9, 0xbf2aaaaa, v13
	v_frexp_exp_i32_f64_e32 v17, v[10:11]
	s_delay_alu instid0(VALU_DEP_3) | instskip(NEXT) | instid1(VALU_DEP_3)
	v_add_f32_e32 v7, 0x31739010, v7
	v_sub_f32_e32 v9, v4, v9
	s_delay_alu instid0(VALU_DEP_1) | instskip(NEXT) | instid1(VALU_DEP_1)
	v_pk_mul_f32 v[10:11], v[6:7], v[8:9]
	v_fma_f32 v12, v8, v6, -v10
	s_delay_alu instid0(VALU_DEP_1) | instskip(NEXT) | instid1(VALU_DEP_1)
	v_fmac_f32_e32 v12, v8, v18
	v_fmac_f32_e32 v12, v16, v6
	v_pk_add_f32 v[14:15], v[6:7], v[8:9]
	s_delay_alu instid0(VALU_DEP_1) | instskip(SKIP_1) | instid1(VALU_DEP_2)
	v_mov_b32_e32 v11, v15
	v_subrev_co_ci_u32_e64 v7, null, 0, v17, vcc_lo
	v_pk_add_f32 v[8:9], v[10:11], v[12:13]
	s_delay_alu instid0(VALU_DEP_1) | instskip(NEXT) | instid1(VALU_DEP_1)
	v_mov_b32_e32 v4, v9
	v_pk_mul_f32 v[16:17], v[8:9], v[4:5]
	v_sub_f32_e32 v11, v13, v9
	v_cvt_f32_i32_e32 v4, v7
	s_delay_alu instid0(VALU_DEP_3) | instskip(NEXT) | instid1(VALU_DEP_2)
	v_dual_sub_f32 v7, v8, v10 :: v_dual_fma_f32 v10, v8, v9, -v16
	v_dual_add_f32 v11, v15, v11 :: v_dual_mul_f32 v14, 0x3f317218, v4
	s_delay_alu instid0(VALU_DEP_2) | instskip(NEXT) | instid1(VALU_DEP_2)
	v_sub_f32_e32 v7, v12, v7
	v_fmac_f32_e32 v10, v8, v11
	s_delay_alu instid0(VALU_DEP_3) | instskip(NEXT) | instid1(VALU_DEP_2)
	v_fma_f32 v8, 0x3f317218, v4, -v14
	v_fmac_f32_e32 v10, v7, v9
	v_ldexp_f32 v9, v6, 1
	s_delay_alu instid0(VALU_DEP_2) | instskip(NEXT) | instid1(VALU_DEP_2)
	v_add_f32_e32 v15, v16, v10
	v_dual_fmamk_f32 v8, v4, 0xb102e308, v8 :: v_dual_mov_b32 v17, v9
	v_ldexp_f32 v4, v18, 1
	s_delay_alu instid0(VALU_DEP_3) | instskip(NEXT) | instid1(VALU_DEP_3)
	v_mov_b32_e32 v11, v15
	v_pk_add_f32 v[6:7], v[14:15], v[8:9]
	s_delay_alu instid0(VALU_DEP_1) | instskip(SKIP_1) | instid1(VALU_DEP_1)
	v_dual_mov_b32 v13, v7 :: v_dual_mov_b32 v9, v6
	v_dual_mov_b32 v12, v15 :: v_dual_mov_b32 v20, v7
	v_pk_add_f32 v[12:13], v[12:13], v[16:17] neg_lo:[0,1] neg_hi:[0,1]
	s_delay_alu instid0(VALU_DEP_1) | instskip(NEXT) | instid1(VALU_DEP_1)
	v_pk_add_f32 v[10:11], v[10:11], v[12:13] neg_lo:[0,1] neg_hi:[0,1]
	v_add_f32_e32 v4, v4, v10
	s_delay_alu instid0(VALU_DEP_1) | instskip(NEXT) | instid1(VALU_DEP_1)
	v_add_f32_e32 v15, v4, v11
	v_pk_add_f32 v[10:11], v[6:7], v[14:15]
	v_pk_add_f32 v[12:13], v[6:7], v[14:15] neg_lo:[0,1] neg_hi:[0,1]
	s_delay_alu instid0(VALU_DEP_2) | instskip(NEXT) | instid1(VALU_DEP_1)
	v_mov_b32_e32 v13, v11
	v_pk_add_f32 v[16:17], v[8:9], v[12:13]
	v_pk_add_f32 v[8:9], v[8:9], v[12:13] neg_lo:[0,1] neg_hi:[0,1]
	s_delay_alu instid0(VALU_DEP_2) | instskip(NEXT) | instid1(VALU_DEP_1)
	v_dual_mov_b32 v4, v17 :: v_dual_mov_b32 v9, v17
	v_pk_add_f32 v[18:19], v[4:5], v[6:7] neg_lo:[0,1] neg_hi:[0,1]
	v_dual_mov_b32 v16, v11 :: v_dual_mov_b32 v7, v6
	s_delay_alu instid0(VALU_DEP_2) | instskip(SKIP_1) | instid1(VALU_DEP_2)
	v_dual_mov_b32 v6, v15 :: v_dual_mov_b32 v21, v18
	v_mov_b32_e32 v15, v18
	v_pk_add_f32 v[12:13], v[16:17], v[20:21] neg_lo:[0,1] neg_hi:[0,1]
	s_delay_alu instid0(VALU_DEP_2) | instskip(SKIP_1) | instid1(VALU_DEP_3)
	v_pk_add_f32 v[10:11], v[10:11], v[14:15] neg_lo:[0,1] neg_hi:[0,1]
	v_mov_b32_e32 v10, v8
	v_pk_add_f32 v[6:7], v[6:7], v[12:13] neg_lo:[0,1] neg_hi:[0,1]
	s_delay_alu instid0(VALU_DEP_1) | instskip(NEXT) | instid1(VALU_DEP_1)
	v_pk_add_f32 v[10:11], v[10:11], v[6:7]
	v_mov_b32_e32 v12, v11
	s_delay_alu instid0(VALU_DEP_1) | instskip(NEXT) | instid1(VALU_DEP_1)
	v_pk_add_f32 v[12:13], v[10:11], v[12:13]
	v_pk_add_f32 v[14:15], v[4:5], v[12:13]
	s_delay_alu instid0(VALU_DEP_1) | instskip(NEXT) | instid1(VALU_DEP_1)
	v_dual_mov_b32 v7, v12 :: v_dual_mov_b32 v11, v14
	v_pk_add_f32 v[16:17], v[10:11], v[8:9] neg_lo:[0,1] neg_hi:[0,1]
	s_delay_alu instid0(VALU_DEP_1) | instskip(NEXT) | instid1(VALU_DEP_2)
	v_sub_f32_e32 v4, v10, v16
	v_pk_add_f32 v[6:7], v[6:7], v[16:17] neg_lo:[0,1] neg_hi:[0,1]
	s_delay_alu instid0(VALU_DEP_2) | instskip(NEXT) | instid1(VALU_DEP_1)
	v_sub_f32_e32 v4, v8, v4
	v_add_f32_e32 v4, v6, v4
	s_delay_alu instid0(VALU_DEP_1) | instskip(NEXT) | instid1(VALU_DEP_1)
	v_add_f32_e32 v4, v4, v7
	v_add_f32_e32 v6, v14, v4
	s_delay_alu instid0(VALU_DEP_1) | instskip(NEXT) | instid1(VALU_DEP_1)
	v_sub_f32_e32 v7, v6, v14
	v_dual_sub_f32 v4, v4, v7 :: v_dual_mul_f32 v8, v5, v6
	s_delay_alu instid0(VALU_DEP_1) | instskip(SKIP_1) | instid1(VALU_DEP_2)
	v_fma_f32 v6, v5, v6, -v8
	v_cmp_class_f32_e64 vcc_lo, v8, 0x204
	v_fmac_f32_e32 v6, v5, v4
	s_delay_alu instid0(VALU_DEP_1) | instskip(NEXT) | instid1(VALU_DEP_1)
	v_add_f32_e32 v4, v8, v6
	v_cndmask_b32_e32 v7, v4, v8, vcc_lo
	s_delay_alu instid0(VALU_DEP_1) | instskip(SKIP_1) | instid1(VALU_DEP_1)
	v_cmp_eq_f32_e32 vcc_lo, 0x42b17218, v7
	v_cndmask_b32_e64 v9, 0, 0x37000000, vcc_lo
	v_sub_f32_e32 v10, v7, v9
	s_delay_alu instid0(VALU_DEP_1) | instskip(NEXT) | instid1(VALU_DEP_1)
	v_mul_f32_e32 v11, 0x3fb8aa3b, v10
	v_fma_f32 v12, 0x3fb8aa3b, v10, -v11
	v_rndne_f32_e32 v13, v11
	s_delay_alu instid0(VALU_DEP_1) | instskip(SKIP_3) | instid1(VALU_DEP_4)
	v_dual_fmamk_f32 v12, v10, 0x32a5705f, v12 :: v_dual_sub_f32 v11, v11, v13
	v_sub_f32_e32 v4, v4, v8
	v_cmp_neq_f32_e64 vcc_lo, 0x7f800000, |v7|
	v_trunc_f32_e32 v7, v5
	v_add_f32_e32 v11, v11, v12
	s_delay_alu instid0(VALU_DEP_4) | instskip(NEXT) | instid1(VALU_DEP_2)
	v_sub_f32_e32 v4, v6, v4
	v_exp_f32_e32 v8, v11
	v_nop
	v_cvt_i32_f32_e32 v11, v13
	s_delay_alu instid0(VALU_DEP_3)
	v_cndmask_b32_e32 v4, 0, v4, vcc_lo
	v_cmp_ngt_f32_e32 vcc_lo, 0xc2ce8ed0, v10
	s_delay_alu instid0(TRANS32_DEP_1) | instid1(VALU_DEP_3)
	v_ldexp_f32 v6, v8, v11
	s_delay_alu instid0(VALU_DEP_1) | instskip(NEXT) | instid1(VALU_DEP_1)
	v_dual_mul_f32 v8, 0.5, v5 :: v_dual_cndmask_b32 v6, 0, v6, vcc_lo
	v_trunc_f32_e32 v11, v8
	v_cmp_nlt_f32_e32 vcc_lo, 0x42b17218, v10
	s_delay_alu instid0(VALU_DEP_2) | instskip(NEXT) | instid1(VALU_DEP_4)
	v_cmp_neq_f32_e64 s2, v11, v8
	v_cndmask_b32_e32 v6, 0x7f800000, v6, vcc_lo
	v_cmp_eq_f32_e32 vcc_lo, v7, v5
	s_delay_alu instid0(VALU_DEP_2) | instskip(SKIP_1) | instid1(SALU_CYCLE_1)
	v_cmp_class_f32_e64 s3, v6, 0x204
	s_and_b32 s2, vcc_lo, s2
	v_dual_add_f32 v4, v9, v4 :: v_dual_cndmask_b32 v9, 0, v3, s2
	s_delay_alu instid0(VALU_DEP_1) | instskip(NEXT) | instid1(VALU_DEP_1)
	v_dual_cndmask_b32 v7, 1.0, v3, s2 :: v_dual_fma_f32 v4, v6, v4, v6
	v_cndmask_b32_e64 v4, v4, v6, s3
	v_cndmask_b32_e64 v6, 0x7f800000, 0, s5
	v_cmp_gt_f32_e64 s3, 0, v5
	s_delay_alu instid0(VALU_DEP_3) | instskip(SKIP_1) | instid1(SALU_CYCLE_1)
	v_bfi_b32 v4, 0x7fffffff, v4, v7
	s_xor_b32 s3, s3, s4
	v_cndmask_b32_e64 v7, 0x7f800000, 0, s3
	s_delay_alu instid0(VALU_DEP_2) | instskip(SKIP_1) | instid1(VALU_DEP_3)
	v_cndmask_b32_e32 v8, 0x7fc00000, v4, vcc_lo
	v_cmp_neq_f32_e64 vcc_lo, |v3|, 1.0
	v_bfi_b32 v7, 0x7fffffff, v7, v9
	v_cndmask_b32_e32 v6, 1.0, v6, vcc_lo
	v_cmp_gt_f32_e32 vcc_lo, 0, v3
	v_cndmask_b32_e32 v4, v4, v8, vcc_lo
	v_cmp_class_f32_e64 vcc_lo, v5, 0x204
	s_wait_loadcnt 0x0
	v_cvt_f32_i32_e32 v5, v22
	s_delay_alu instid0(VALU_DEP_3) | instskip(SKIP_2) | instid1(VALU_DEP_1)
	v_cndmask_b32_e32 v4, v4, v6, vcc_lo
	s_or_b32 vcc_lo, s4, s0
	s_cmp_eq_f32 s9, 0
	v_cndmask_b32_e32 v4, v4, v7, vcc_lo
	v_cmp_o_f32_e32 vcc_lo, v3, v3
	s_delay_alu instid0(VALU_DEP_2) | instskip(NEXT) | instid1(VALU_DEP_1)
	v_cndmask_b32_e32 v3, 0x7fc00000, v4, vcc_lo
	v_mul_f32_e32 v4, v3, v5
	s_delay_alu instid0(VALU_DEP_1)
	v_mul_f32_e32 v5, s8, v4
	s_cbranch_scc1 .LBB4_9
; %bb.8:
	v_cvt_f32_i32_e32 v1, v1
	s_sub_f32 s0, s6, s11
	v_div_scale_f32 v6, null, s8, s8, 1.0
	s_delay_alu instid0(SALU_CYCLE_2) | instskip(SKIP_4) | instid1(VALU_DEP_3)
	s_max_num_f32 s1, s0, 0x3a83126f
	v_subrev_f32_e32 v1, s11, v1
	v_rcp_f32_e32 v8, v6
	v_nop
	v_xor_b32_e32 v6, 0x80000000, v6
	v_div_scale_f32 v3, null, s1, s1, v1
	s_delay_alu instid0(TRANS32_DEP_1) | instid1(VALU_DEP_2)
	v_fma_f32 v10, v6, v8, 1.0
	s_delay_alu instid0(VALU_DEP_2) | instskip(SKIP_1) | instid1(TRANS32_DEP_1)
	v_rcp_f32_e32 v7, v3
	v_nop
	v_fma_f32 v9, -v3, v7, 1.0
	s_delay_alu instid0(VALU_DEP_1) | instskip(SKIP_2) | instid1(VALU_DEP_2)
	v_fmac_f32_e32 v7, v9, v7
	v_div_scale_f32 v11, vcc_lo, v1, s1, v1
	v_div_scale_f32 v9, s0, 1.0, s8, 1.0
	v_dual_fmac_f32 v8, v10, v8 :: v_dual_mul_f32 v10, v11, v7
	s_delay_alu instid0(VALU_DEP_1) | instskip(NEXT) | instid1(VALU_DEP_1)
	v_dual_mul_f32 v12, v9, v8 :: v_dual_fma_f32 v13, -v3, v10, v11
	v_dual_fma_f32 v14, v6, v12, v9 :: v_dual_fmac_f32 v10, v13, v7
	s_delay_alu instid0(VALU_DEP_1) | instskip(NEXT) | instid1(VALU_DEP_1)
	v_dual_fmac_f32 v12, v14, v8 :: v_dual_fma_f32 v3, -v3, v10, v11
	v_fmac_f32_e32 v9, v6, v12
	s_delay_alu instid0(VALU_DEP_2) | instskip(SKIP_1) | instid1(VALU_DEP_2)
	v_div_fmas_f32 v3, v3, v7, v10
	s_mov_b32 vcc_lo, s0
	v_div_fmas_f32 v6, v9, v8, v12
	s_delay_alu instid0(VALU_DEP_2) | instskip(NEXT) | instid1(VALU_DEP_2)
	v_div_fixup_f32 v1, v3, s1, v1 clamp
	v_div_fixup_f32 v6, v6, s8, 1.0
	s_delay_alu instid0(VALU_DEP_1) | instskip(SKIP_2) | instid1(SALU_CYCLE_1)
	v_readfirstlane_b32 s0, v6
	s_cmp_lt_f32 s0, 0x800000
	s_cselect_b32 s0, 0x4f800000, 1.0
	v_mul_f32_e32 v6, s0, v6
	s_cselect_b32 s0, 0x41b17218, 0
	s_delay_alu instid0(VALU_DEP_1) | instskip(SKIP_1) | instid1(TRANS32_DEP_1)
	v_log_f32_e32 v6, v6
	v_nop
	v_and_b32_e32 v3, 0x7fffffff, v6
	s_delay_alu instid0(VALU_DEP_1) | instskip(SKIP_2) | instid1(VALU_DEP_1)
	v_cmp_gt_f32_e32 vcc_lo, 0x7f800000, v3
	v_sub_f32_e32 v1, 1.0, v1
	v_mul_f32_e32 v7, 0x3f317217, v6
	v_xor_b32_e32 v7, 0x80000000, v7
	s_delay_alu instid0(VALU_DEP_1) | instskip(NEXT) | instid1(VALU_DEP_1)
	v_fmac_f32_e32 v7, 0x3f317217, v6
	v_fmamk_f32 v7, v6, 0x3377d1cf, v7
	s_delay_alu instid0(VALU_DEP_1) | instskip(NEXT) | instid1(VALU_DEP_1)
	v_fmac_f32_e32 v7, 0x3f317217, v6
	v_dual_cndmask_b32 v3, v6, v7 :: v_dual_mul_f32 v6, s9, v1
	v_fma_f32 v7, -s9, v1, 1.0
	s_delay_alu instid0(VALU_DEP_2) | instskip(NEXT) | instid1(VALU_DEP_2)
	v_dual_mov_b32 v1, 1.0 :: v_dual_subrev_f32 v3, s0, v3
	v_pk_mul_f32 v[4:5], v[6:7], v[4:5]
	s_delay_alu instid0(VALU_DEP_2) | instskip(NEXT) | instid1(VALU_DEP_2)
	v_fmamk_f32 v1, v3, 0x3dcccccd, v1
	v_add_f32_e32 v5, v4, v5
	s_delay_alu instid0(VALU_DEP_2)
	v_mul_f32_e32 v6, s10, v1
	s_branch .LBB4_10
.LBB4_9:
	v_mov_b32_e32 v6, s10
.LBB4_10:
	s_delay_alu instid0(VALU_DEP_2) | instskip(SKIP_1) | instid1(VALU_DEP_2)
	v_and_b32_e32 v1, 0x7fffffff, v5
	v_cmp_ngt_f32_e64 s2, 0x48000000, |v5|
                                        ; implicit-def: $vgpr7
                                        ; implicit-def: $vgpr4
	v_lshrrev_b32_e32 v3, 23, v1
	s_and_saveexec_b32 s0, s2
	s_delay_alu instid0(SALU_CYCLE_1)
	s_xor_b32 s3, exec_lo, s0
	s_cbranch_execz .LBB4_12
; %bb.11:
	s_mov_b32 s0, 0x7fffff
	v_mov_b32_e32 v9, 0
	v_and_or_b32 v8, v1, s0, 0x800000
	s_mov_b64 s[0:1], 0xfe5163ab
	s_delay_alu instid0(VALU_DEP_1) | instid1(SALU_CYCLE_1)
	v_mul_u64_e32 v[10:11], s[0:1], v[8:9]
	s_delay_alu instid0(VALU_DEP_1) | instskip(SKIP_2) | instid1(VALU_DEP_3)
	v_dual_mov_b32 v12, v11 :: v_dual_mov_b32 v13, v9
	v_dual_mov_b32 v15, v9 :: v_dual_mov_b32 v17, v9
	;; [unrolled: 1-line block ×3, first 2 shown]
	v_mad_nc_u64_u32 v[12:13], 0x3c439041, v8, v[12:13]
	s_delay_alu instid0(VALU_DEP_1) | instskip(NEXT) | instid1(VALU_DEP_1)
	v_dual_mov_b32 v23, v9 :: v_dual_mov_b32 v14, v13
	v_mad_nc_u64_u32 v[14:15], 0xdb629599, v8, v[14:15]
	s_delay_alu instid0(VALU_DEP_1) | instskip(NEXT) | instid1(VALU_DEP_1)
	v_mov_b32_e32 v16, v15
	v_mad_nc_u64_u32 v[16:17], 0xf534ddc0, v8, v[16:17]
	s_delay_alu instid0(VALU_DEP_1) | instskip(NEXT) | instid1(VALU_DEP_1)
	v_mov_b32_e32 v18, v17
	;; [unrolled: 3-line block ×3, first 2 shown]
	v_mad_nc_u64_u32 v[20:21], 0x4e441529, v8, v[20:21]
	v_add_nc_u32_e32 v4, 0xffffff88, v3
	s_delay_alu instid0(VALU_DEP_1) | instskip(SKIP_1) | instid1(VALU_DEP_4)
	v_cmp_lt_u32_e32 vcc_lo, 63, v4
	v_cndmask_b32_e64 v7, 0, 0xffffffc0, vcc_lo
	v_dual_cndmask_b32 v11, v20, v16 :: v_dual_mov_b32 v22, v21
	s_delay_alu instid0(VALU_DEP_2) | instskip(NEXT) | instid1(VALU_DEP_2)
	v_dual_cndmask_b32 v13, v18, v14 :: v_dual_add_nc_u32 v4, v7, v4
	v_mad_nc_u64_u32 v[8:9], 0xa2f9836e, v8, v[22:23]
	s_delay_alu instid0(VALU_DEP_2) | instskip(NEXT) | instid1(VALU_DEP_1)
	v_cmp_lt_u32_e64 s0, 31, v4
	v_cndmask_b32_e64 v7, 0, 0xffffffe0, s0
	s_delay_alu instid0(VALU_DEP_3) | instskip(NEXT) | instid1(VALU_DEP_2)
	v_dual_cndmask_b32 v8, v8, v18 :: v_dual_cndmask_b32 v9, v9, v20
	v_add_nc_u32_e32 v4, v7, v4
	s_delay_alu instid0(VALU_DEP_1) | instskip(NEXT) | instid1(VALU_DEP_1)
	v_cmp_lt_u32_e64 s1, 31, v4
	v_cndmask_b32_e64 v7, 0, 0xffffffe0, s1
	s_delay_alu instid0(VALU_DEP_1) | instskip(SKIP_2) | instid1(VALU_DEP_3)
	v_add_nc_u32_e32 v4, v7, v4
	v_cndmask_b32_e32 v7, v16, v12, vcc_lo
	v_dual_cndmask_b32 v12, v8, v11, s0 :: v_dual_cndmask_b32 v8, v9, v8, s0
	v_dual_cndmask_b32 v9, v11, v13, s0 :: v_dual_sub_nc_u32 v11, 32, v4
	s_delay_alu instid0(VALU_DEP_2) | instskip(NEXT) | instid1(VALU_DEP_2)
	v_dual_cndmask_b32 v13, v13, v7, s0 :: v_dual_cndmask_b32 v8, v8, v12, s1
	v_cndmask_b32_e64 v12, v12, v9, s1
	s_delay_alu instid0(VALU_DEP_2) | instskip(NEXT) | instid1(VALU_DEP_2)
	v_cndmask_b32_e64 v9, v9, v13, s1
	v_alignbit_b32 v15, v8, v12, v11
	v_cndmask_b32_e32 v10, v14, v10, vcc_lo
	v_cmp_eq_u32_e32 vcc_lo, 0, v4
	s_delay_alu instid0(VALU_DEP_4) | instskip(NEXT) | instid1(VALU_DEP_4)
	v_alignbit_b32 v14, v12, v9, v11
	v_cndmask_b32_e32 v4, v15, v8, vcc_lo
	s_delay_alu instid0(VALU_DEP_2) | instskip(NEXT) | instid1(VALU_DEP_2)
	v_dual_cndmask_b32 v7, v7, v10, s0 :: v_dual_cndmask_b32 v8, v14, v12, vcc_lo
	v_bfe_u32 v10, v4, 29, 1
	s_delay_alu instid0(VALU_DEP_2) | instskip(NEXT) | instid1(VALU_DEP_3)
	v_cndmask_b32_e64 v7, v13, v7, s1
	v_alignbit_b32 v12, v4, v8, 30
	s_delay_alu instid0(VALU_DEP_3) | instskip(NEXT) | instid1(VALU_DEP_3)
	v_sub_nc_u32_e32 v13, 0, v10
	v_alignbit_b32 v11, v9, v7, v11
	s_delay_alu instid0(VALU_DEP_2) | instskip(NEXT) | instid1(VALU_DEP_2)
	v_xor_b32_e32 v12, v12, v13
	v_cndmask_b32_e32 v9, v11, v9, vcc_lo
	s_delay_alu instid0(VALU_DEP_2) | instskip(NEXT) | instid1(VALU_DEP_2)
	v_clz_i32_u32_e32 v11, v12
	v_alignbit_b32 v8, v8, v9, 30
	v_alignbit_b32 v7, v9, v7, 30
	s_delay_alu instid0(VALU_DEP_3) | instskip(NEXT) | instid1(VALU_DEP_3)
	v_min_u32_e32 v11, 32, v11
	v_xor_b32_e32 v8, v8, v13
	s_delay_alu instid0(VALU_DEP_3) | instskip(NEXT) | instid1(VALU_DEP_3)
	v_dual_lshrrev_b32 v13, 29, v4 :: v_dual_bitop2_b32 v7, v7, v13 bitop3:0x14
	v_dual_sub_nc_u32 v9, 31, v11 :: v_dual_lshlrev_b32 v14, 23, v11
	s_delay_alu instid0(VALU_DEP_1) | instskip(NEXT) | instid1(VALU_DEP_3)
	v_alignbit_b32 v12, v12, v8, v9
	v_alignbit_b32 v7, v8, v7, v9
	s_delay_alu instid0(VALU_DEP_4) | instskip(NEXT) | instid1(VALU_DEP_2)
	v_lshlrev_b32_e32 v8, 31, v13
	v_alignbit_b32 v9, v12, v7, 9
	s_delay_alu instid0(VALU_DEP_2) | instskip(SKIP_2) | instid1(VALU_DEP_4)
	v_or_b32_e32 v13, 0.5, v8
	v_lshrrev_b32_e32 v12, 9, v12
	v_or_b32_e32 v8, 0x33000000, v8
	v_clz_i32_u32_e32 v15, v9
	s_delay_alu instid0(VALU_DEP_4) | instskip(NEXT) | instid1(VALU_DEP_2)
	v_sub_nc_u32_e32 v13, v13, v14
	v_min_u32_e32 v14, 32, v15
	s_delay_alu instid0(VALU_DEP_2) | instskip(NEXT) | instid1(VALU_DEP_2)
	v_or_b32_e32 v12, v12, v13
	v_not_b32_e32 v13, v14
	v_add_lshl_u32 v11, v14, v11, 23
	s_delay_alu instid0(VALU_DEP_2) | instskip(NEXT) | instid1(VALU_DEP_2)
	v_alignbit_b32 v7, v9, v7, v13
	v_sub_nc_u32_e32 v8, v8, v11
	s_delay_alu instid0(VALU_DEP_2) | instskip(SKIP_1) | instid1(VALU_DEP_2)
	v_lshrrev_b32_e32 v7, 9, v7
	v_mul_f32_e32 v15, 0x3fc90fda, v12
	v_or_b32_e32 v7, v8, v7
	s_delay_alu instid0(VALU_DEP_2) | instskip(NEXT) | instid1(VALU_DEP_1)
	v_fma_f32 v9, 0x3fc90fda, v12, -v15
	v_fmamk_f32 v9, v12, 0x33a22168, v9
	s_delay_alu instid0(VALU_DEP_1) | instskip(NEXT) | instid1(VALU_DEP_1)
	v_fmac_f32_e32 v9, 0x3fc90fda, v7
	v_dual_add_f32 v4, v15, v9 :: v_dual_lshrrev_b32 v7, 30, v4
	s_delay_alu instid0(VALU_DEP_1)
	v_add_nc_u32_e32 v7, v10, v7
	s_or_saveexec_b32 s0, s3
	v_mul_f32_e64 v10, 0x3f22f983, |v5|
	s_xor_b32 exec_lo, exec_lo, s0
	s_branch .LBB4_13
.LBB4_12:
	s_or_saveexec_b32 s0, s3
	v_mul_f32_e64 v10, 0x3f22f983, |v5|
	s_xor_b32 exec_lo, exec_lo, s0
.LBB4_13:
	s_delay_alu instid0(VALU_DEP_1) | instskip(NEXT) | instid1(VALU_DEP_1)
	v_rndne_f32_e32 v7, v10
	v_fma_f32 v4, 0xbfc90fda, v7, |v5|
	s_delay_alu instid0(VALU_DEP_1) | instskip(NEXT) | instid1(VALU_DEP_1)
	v_fmamk_f32 v4, v7, 0xb3a22168, v4
	v_fmamk_f32 v4, v7, 0xa7c234c4, v4
	v_cvt_i32_f32_e32 v7, v7
; %bb.14:
	s_or_b32 exec_lo, exec_lo, s0
                                        ; implicit-def: $vgpr9
                                        ; implicit-def: $vgpr8
	s_and_saveexec_b32 s0, s2
	s_delay_alu instid0(SALU_CYCLE_1)
	s_xor_b32 s2, exec_lo, s0
	s_cbranch_execz .LBB4_16
; %bb.15:
	s_mov_b32 s0, 0x7fffff
	v_mov_b32_e32 v9, 0
	v_and_or_b32 v8, v1, s0, 0x800000
	s_mov_b64 s[0:1], 0xfe5163ab
	v_add_nc_u32_e32 v3, 0xffffff88, v3
	s_delay_alu instid0(VALU_DEP_2) | instskip(NEXT) | instid1(VALU_DEP_2)
	v_mul_u64_e32 v[10:11], s[0:1], v[8:9]
	v_cmp_lt_u32_e32 vcc_lo, 63, v3
	s_delay_alu instid0(VALU_DEP_2) | instskip(SKIP_2) | instid1(VALU_DEP_3)
	v_dual_mov_b32 v12, v11 :: v_dual_mov_b32 v13, v9
	v_dual_mov_b32 v15, v9 :: v_dual_mov_b32 v17, v9
	;; [unrolled: 1-line block ×3, first 2 shown]
	v_mad_nc_u64_u32 v[12:13], 0x3c439041, v8, v[12:13]
	v_cndmask_b32_e64 v11, 0, 0xffffffc0, vcc_lo
	s_delay_alu instid0(VALU_DEP_1) | instskip(NEXT) | instid1(VALU_DEP_3)
	v_dual_mov_b32 v23, v9 :: v_dual_add_nc_u32 v3, v11, v3
	v_mov_b32_e32 v14, v13
	s_delay_alu instid0(VALU_DEP_2) | instskip(NEXT) | instid1(VALU_DEP_2)
	v_cmp_lt_u32_e64 s0, 31, v3
	v_mad_nc_u64_u32 v[14:15], 0xdb629599, v8, v[14:15]
	s_delay_alu instid0(VALU_DEP_2) | instskip(NEXT) | instid1(VALU_DEP_1)
	v_cndmask_b32_e64 v11, 0, 0xffffffe0, s0
	v_add_nc_u32_e32 v3, v11, v3
	s_delay_alu instid0(VALU_DEP_3) | instskip(NEXT) | instid1(VALU_DEP_2)
	v_mov_b32_e32 v16, v15
	v_cmp_lt_u32_e64 s1, 31, v3
	v_cndmask_b32_e32 v10, v14, v10, vcc_lo
	s_delay_alu instid0(VALU_DEP_3) | instskip(NEXT) | instid1(VALU_DEP_3)
	v_mad_nc_u64_u32 v[16:17], 0xf534ddc0, v8, v[16:17]
	v_cndmask_b32_e64 v11, 0, 0xffffffe0, s1
	s_delay_alu instid0(VALU_DEP_1) | instskip(NEXT) | instid1(VALU_DEP_3)
	v_dual_add_nc_u32 v3, v11, v3 :: v_dual_cndmask_b32 v11, v16, v12, vcc_lo
	v_mov_b32_e32 v18, v17
	s_delay_alu instid0(VALU_DEP_1) | instskip(NEXT) | instid1(VALU_DEP_1)
	v_mad_nc_u64_u32 v[18:19], 0xfc2757d1, v8, v[18:19]
	v_dual_mov_b32 v20, v19 :: v_dual_cndmask_b32 v15, v18, v14
	s_delay_alu instid0(VALU_DEP_1) | instskip(NEXT) | instid1(VALU_DEP_1)
	v_mad_nc_u64_u32 v[20:21], 0x4e441529, v8, v[20:21]
	v_dual_mov_b32 v22, v21 :: v_dual_cndmask_b32 v13, v20, v16
	s_delay_alu instid0(VALU_DEP_1) | instskip(NEXT) | instid1(VALU_DEP_1)
	v_mad_nc_u64_u32 v[8:9], 0xa2f9836e, v8, v[22:23]
	v_dual_cndmask_b32 v8, v8, v18 :: v_dual_cndmask_b32 v9, v9, v20
	v_cmp_eq_u32_e32 vcc_lo, 0, v3
	s_delay_alu instid0(VALU_DEP_2) | instskip(SKIP_2) | instid1(VALU_DEP_3)
	v_dual_cndmask_b32 v12, v8, v13, s0 :: v_dual_cndmask_b32 v8, v9, v8, s0
	v_cndmask_b32_e64 v9, v13, v15, s0
	v_sub_nc_u32_e32 v13, 32, v3
	v_dual_cndmask_b32 v15, v15, v11, s0 :: v_dual_cndmask_b32 v8, v8, v12, s1
	s_delay_alu instid0(VALU_DEP_3) | instskip(NEXT) | instid1(VALU_DEP_1)
	v_cndmask_b32_e64 v12, v12, v9, s1
	v_alignbit_b32 v16, v8, v12, v13
	s_delay_alu instid0(VALU_DEP_1) | instskip(NEXT) | instid1(VALU_DEP_1)
	v_dual_cndmask_b32 v9, v9, v15, s1 :: v_dual_cndmask_b32 v3, v16, v8, vcc_lo
	v_alignbit_b32 v14, v12, v9, v13
	v_cndmask_b32_e64 v8, v11, v10, s0
	s_delay_alu instid0(VALU_DEP_3) | instskip(NEXT) | instid1(VALU_DEP_3)
	v_bfe_u32 v11, v3, 29, 1
	v_cndmask_b32_e32 v10, v14, v12, vcc_lo
	s_delay_alu instid0(VALU_DEP_2) | instskip(NEXT) | instid1(VALU_DEP_2)
	v_dual_cndmask_b32 v8, v15, v8, s1 :: v_dual_sub_nc_u32 v14, 0, v11
	v_alignbit_b32 v12, v3, v10, 30
	s_delay_alu instid0(VALU_DEP_2) | instskip(NEXT) | instid1(VALU_DEP_1)
	v_alignbit_b32 v13, v9, v8, v13
	v_dual_cndmask_b32 v9, v13, v9, vcc_lo :: v_dual_bitop2_b32 v12, v12, v14 bitop3:0x14
	s_delay_alu instid0(VALU_DEP_1) | instskip(NEXT) | instid1(VALU_DEP_2)
	v_clz_i32_u32_e32 v13, v12
	v_alignbit_b32 v10, v10, v9, 30
	v_alignbit_b32 v8, v9, v8, 30
	s_delay_alu instid0(VALU_DEP_3) | instskip(NEXT) | instid1(VALU_DEP_3)
	v_min_u32_e32 v13, 32, v13
	v_xor_b32_e32 v9, v10, v14
	s_delay_alu instid0(VALU_DEP_3) | instskip(NEXT) | instid1(VALU_DEP_3)
	v_dual_lshrrev_b32 v14, 29, v3 :: v_dual_bitop2_b32 v8, v8, v14 bitop3:0x14
	v_dual_lshrrev_b32 v3, 30, v3 :: v_dual_sub_nc_u32 v10, 31, v13
	v_lshlrev_b32_e32 v15, 23, v13
	s_delay_alu instid0(VALU_DEP_2) | instskip(NEXT) | instid1(VALU_DEP_4)
	v_alignbit_b32 v12, v12, v9, v10
	v_alignbit_b32 v8, v9, v8, v10
	v_lshlrev_b32_e32 v9, 31, v14
	s_delay_alu instid0(VALU_DEP_2) | instskip(NEXT) | instid1(VALU_DEP_2)
	v_alignbit_b32 v10, v12, v8, 9
	v_dual_lshrrev_b32 v12, 9, v12 :: v_dual_bitop2_b32 v14, 0.5, v9 bitop3:0x54
	v_or_b32_e32 v9, 0x33000000, v9
	s_delay_alu instid0(VALU_DEP_3) | instskip(NEXT) | instid1(VALU_DEP_3)
	v_clz_i32_u32_e32 v16, v10
	v_sub_nc_u32_e32 v14, v14, v15
	s_delay_alu instid0(VALU_DEP_2) | instskip(NEXT) | instid1(VALU_DEP_1)
	v_min_u32_e32 v15, 32, v16
	v_add_lshl_u32 v13, v15, v13, 23
	s_delay_alu instid0(VALU_DEP_1) | instskip(SKIP_1) | instid1(VALU_DEP_1)
	v_dual_sub_nc_u32 v9, v9, v13 :: v_dual_bitop2_b32 v12, v12, v14 bitop3:0x54
	v_not_b32_e32 v14, v15
	v_alignbit_b32 v8, v10, v8, v14
	s_delay_alu instid0(VALU_DEP_1) | instskip(NEXT) | instid1(VALU_DEP_4)
	v_lshrrev_b32_e32 v8, 9, v8
	v_mul_f32_e32 v16, 0x3fc90fda, v12
	s_delay_alu instid0(VALU_DEP_2) | instskip(NEXT) | instid1(VALU_DEP_2)
	v_or_b32_e32 v8, v9, v8
	v_fma_f32 v10, 0x3fc90fda, v12, -v16
	s_delay_alu instid0(VALU_DEP_1) | instskip(NEXT) | instid1(VALU_DEP_1)
	v_dual_fmamk_f32 v10, v12, 0x33a22168, v10 :: v_dual_add_nc_u32 v9, v11, v3
	v_fmac_f32_e32 v10, 0x3fc90fda, v8
	s_delay_alu instid0(VALU_DEP_1)
	v_add_f32_e32 v8, v16, v10
                                        ; implicit-def: $vgpr10
	s_and_not1_saveexec_b32 s0, s2
	s_cbranch_execnz .LBB4_17
	s_branch .LBB4_18
.LBB4_16:
	s_and_not1_saveexec_b32 s0, s2
.LBB4_17:
	v_rndne_f32_e32 v3, v10
	s_delay_alu instid0(VALU_DEP_1) | instskip(SKIP_1) | instid1(VALU_DEP_2)
	v_fma_f32 v8, 0xbfc90fda, v3, |v5|
	v_cvt_i32_f32_e32 v9, v3
	v_fmamk_f32 v8, v3, 0xb3a22168, v8
	s_delay_alu instid0(VALU_DEP_1)
	v_fmamk_f32 v8, v3, 0xa7c234c4, v8
.LBB4_18:
	s_or_b32 exec_lo, exec_lo, s0
	v_ashrrev_i32_e32 v3, 31, v2
	s_lshr_b32 s0, s17, 31
	s_mov_b32 s2, 0xb94c1982
	s_add_co_i32 s0, s17, s0
	s_mov_b32 s3, 0x37d75334
	s_ashr_i32 s0, s0, 1
	v_lshl_add_u64 v[10:11], v[2:3], 1, s[12:13]
	s_ashr_i32 s1, s0, 31
	v_mul_f32_e32 v3, v8, v8
	s_lshl_b64 s[0:1], s[0:1], 1
	s_delay_alu instid0(VALU_DEP_2) | instid1(SALU_CYCLE_1)
	v_add_nc_u64_e32 v[10:11], s[0:1], v[10:11]
	s_clause 0x1
	global_load_u16 v12, v[10:11], off
	global_load_u16 v13, v2, s[12:13] scale_offset
	s_wait_xcnt 0x0
	v_dual_mul_f32 v2, v4, v4 :: v_dual_bitop2_b32 v10, 1, v7 bitop3:0x40
	v_fmaak_f32 v15, s2, v3, 0x3c0881c4
	v_lshlrev_b32_e32 v7, 30, v7
	v_fmaak_f32 v16, s3, v3, 0xbab64f3b
	s_delay_alu instid0(VALU_DEP_4) | instskip(SKIP_2) | instid1(VALU_DEP_1)
	v_fmaak_f32 v14, s3, v2, 0xbab64f3b
	v_cmp_eq_u32_e32 vcc_lo, 0, v10
	v_fmaak_f32 v15, v3, v15, 0xbe2aaa9d
	v_dual_fmaak_f32 v14, v2, v14, 0x3d2aabf7 :: v_dual_mul_f32 v15, v3, v15
	s_delay_alu instid0(VALU_DEP_1) | instskip(NEXT) | instid1(VALU_DEP_1)
	v_dual_fmaak_f32 v11, s2, v2, 0x3c0881c4 :: v_dual_fmac_f32 v8, v8, v15
	v_fmaak_f32 v11, v2, v11, 0xbe2aaa9d
	v_dual_lshlrev_b32 v9, 30, v9 :: v_dual_bitop2_b32 v17, 1, v9 bitop3:0x40
	s_delay_alu instid0(VALU_DEP_2) | instskip(SKIP_1) | instid1(VALU_DEP_3)
	v_dual_fmaak_f32 v16, v3, v16, 0x3d2aabf7 :: v_dual_mul_f32 v11, v2, v11
	v_xor_b32_e32 v1, v1, v5
	v_and_b32_e32 v9, 0x80000000, v9
	s_delay_alu instid0(VALU_DEP_3) | instskip(NEXT) | instid1(VALU_DEP_4)
	v_fmaak_f32 v16, v3, v16, 0xbf000004
	v_fmac_f32_e32 v4, v4, v11
	s_delay_alu instid0(VALU_DEP_2) | instskip(SKIP_1) | instid1(VALU_DEP_1)
	v_fma_f32 v3, v3, v16, 1.0
	v_fmaak_f32 v14, v2, v14, 0xbf000004
	v_fma_f32 v2, v2, v14, 1.0
	s_delay_alu instid0(VALU_DEP_1) | instskip(SKIP_1) | instid1(VALU_DEP_2)
	v_cndmask_b32_e64 v2, -v4, v2, vcc_lo
	v_cmp_eq_u32_e32 vcc_lo, 0, v17
	v_bitop3_b32 v2, v7, v2, 0x80000000 bitop3:0x6c
	v_cndmask_b32_e32 v3, v3, v8, vcc_lo
	v_cmp_class_f32_e64 vcc_lo, v5, 0x1f8
	s_delay_alu instid0(VALU_DEP_2)
	v_xor3_b32 v1, v1, v9, v3
	s_wait_loadcnt 0x1
	v_cvt_f32_f16_e32 v7, v12
	s_wait_loadcnt 0x0
	v_cvt_f32_f16_e32 v8, v13
	v_cndmask_b32_e32 v4, 0x7fc00000, v2, vcc_lo
	v_dual_cndmask_b32 v2, 0x7fc00000, v1 :: v_dual_ashrrev_i32 v1, 31, v0
	s_delay_alu instid0(VALU_DEP_1) | instskip(NEXT) | instid1(VALU_DEP_2)
	v_mul_f32_e32 v5, v6, v2
	v_lshl_add_u64 v[2:3], v[0:1], 1, s[14:15]
	s_delay_alu instid0(VALU_DEP_2) | instskip(SKIP_1) | instid1(VALU_DEP_3)
	v_dual_mul_f32 v1, v6, v4 :: v_dual_mul_f32 v4, v5, v7
	v_mul_f32_e32 v5, v5, v8
	v_add_nc_u64_e32 v[2:3], s[0:1], v[2:3]
	s_delay_alu instid0(VALU_DEP_3) | instskip(NEXT) | instid1(VALU_DEP_3)
	v_fma_mixlo_f16 v4, v1, v13, -v4 op_sel_hi:[0,1,0]
	v_fma_mixlo_f16 v1, v1, v12, v5 op_sel_hi:[0,1,0]
	s_clause 0x1
	global_store_b16 v0, v4, s[14:15] scale_offset
	global_store_b16 v[2:3], v1, off
.LBB4_19:
	s_endpgm
	.section	.rodata,"a",@progbits
	.p2align	6, 0x0
	.amdhsa_kernel _ZL9rope_neoxILb1ELb0E6__halfS0_EvPKT1_PT2_iiiiiiiiiiPKifff14rope_corr_dimsfPKfPKli
		.amdhsa_group_segment_fixed_size 0
		.amdhsa_private_segment_fixed_size 0
		.amdhsa_kernarg_size 368
		.amdhsa_user_sgpr_count 2
		.amdhsa_user_sgpr_dispatch_ptr 0
		.amdhsa_user_sgpr_queue_ptr 0
		.amdhsa_user_sgpr_kernarg_segment_ptr 1
		.amdhsa_user_sgpr_dispatch_id 0
		.amdhsa_user_sgpr_kernarg_preload_length 0
		.amdhsa_user_sgpr_kernarg_preload_offset 0
		.amdhsa_user_sgpr_private_segment_size 0
		.amdhsa_wavefront_size32 1
		.amdhsa_uses_dynamic_stack 0
		.amdhsa_enable_private_segment 0
		.amdhsa_system_sgpr_workgroup_id_x 1
		.amdhsa_system_sgpr_workgroup_id_y 1
		.amdhsa_system_sgpr_workgroup_id_z 0
		.amdhsa_system_sgpr_workgroup_info 0
		.amdhsa_system_vgpr_workitem_id 1
		.amdhsa_next_free_vgpr 24
		.amdhsa_next_free_sgpr 18
		.amdhsa_named_barrier_count 0
		.amdhsa_reserve_vcc 1
		.amdhsa_float_round_mode_32 0
		.amdhsa_float_round_mode_16_64 0
		.amdhsa_float_denorm_mode_32 3
		.amdhsa_float_denorm_mode_16_64 3
		.amdhsa_fp16_overflow 0
		.amdhsa_memory_ordered 1
		.amdhsa_forward_progress 1
		.amdhsa_inst_pref_size 37
		.amdhsa_round_robin_scheduling 0
		.amdhsa_exception_fp_ieee_invalid_op 0
		.amdhsa_exception_fp_denorm_src 0
		.amdhsa_exception_fp_ieee_div_zero 0
		.amdhsa_exception_fp_ieee_overflow 0
		.amdhsa_exception_fp_ieee_underflow 0
		.amdhsa_exception_fp_ieee_inexact 0
		.amdhsa_exception_int_div_zero 0
	.end_amdhsa_kernel
	.section	.text._ZL9rope_neoxILb1ELb0E6__halfS0_EvPKT1_PT2_iiiiiiiiiiPKifff14rope_corr_dimsfPKfPKli,"axG",@progbits,_ZL9rope_neoxILb1ELb0E6__halfS0_EvPKT1_PT2_iiiiiiiiiiPKifff14rope_corr_dimsfPKfPKli,comdat
.Lfunc_end4:
	.size	_ZL9rope_neoxILb1ELb0E6__halfS0_EvPKT1_PT2_iiiiiiiiiiPKifff14rope_corr_dimsfPKfPKli, .Lfunc_end4-_ZL9rope_neoxILb1ELb0E6__halfS0_EvPKT1_PT2_iiiiiiiiiiPKifff14rope_corr_dimsfPKfPKli
                                        ; -- End function
	.set _ZL9rope_neoxILb1ELb0E6__halfS0_EvPKT1_PT2_iiiiiiiiiiPKifff14rope_corr_dimsfPKfPKli.num_vgpr, 24
	.set _ZL9rope_neoxILb1ELb0E6__halfS0_EvPKT1_PT2_iiiiiiiiiiPKifff14rope_corr_dimsfPKfPKli.num_agpr, 0
	.set _ZL9rope_neoxILb1ELb0E6__halfS0_EvPKT1_PT2_iiiiiiiiiiPKifff14rope_corr_dimsfPKfPKli.numbered_sgpr, 18
	.set _ZL9rope_neoxILb1ELb0E6__halfS0_EvPKT1_PT2_iiiiiiiiiiPKifff14rope_corr_dimsfPKfPKli.num_named_barrier, 0
	.set _ZL9rope_neoxILb1ELb0E6__halfS0_EvPKT1_PT2_iiiiiiiiiiPKifff14rope_corr_dimsfPKfPKli.private_seg_size, 0
	.set _ZL9rope_neoxILb1ELb0E6__halfS0_EvPKT1_PT2_iiiiiiiiiiPKifff14rope_corr_dimsfPKfPKli.uses_vcc, 1
	.set _ZL9rope_neoxILb1ELb0E6__halfS0_EvPKT1_PT2_iiiiiiiiiiPKifff14rope_corr_dimsfPKfPKli.uses_flat_scratch, 0
	.set _ZL9rope_neoxILb1ELb0E6__halfS0_EvPKT1_PT2_iiiiiiiiiiPKifff14rope_corr_dimsfPKfPKli.has_dyn_sized_stack, 0
	.set _ZL9rope_neoxILb1ELb0E6__halfS0_EvPKT1_PT2_iiiiiiiiiiPKifff14rope_corr_dimsfPKfPKli.has_recursion, 0
	.set _ZL9rope_neoxILb1ELb0E6__halfS0_EvPKT1_PT2_iiiiiiiiiiPKifff14rope_corr_dimsfPKfPKli.has_indirect_call, 0
	.section	.AMDGPU.csdata,"",@progbits
; Kernel info:
; codeLenInByte = 4696
; TotalNumSgprs: 20
; NumVgprs: 24
; ScratchSize: 0
; MemoryBound: 0
; FloatMode: 240
; IeeeMode: 1
; LDSByteSize: 0 bytes/workgroup (compile time only)
; SGPRBlocks: 0
; VGPRBlocks: 1
; NumSGPRsForWavesPerEU: 20
; NumVGPRsForWavesPerEU: 24
; NamedBarCnt: 0
; Occupancy: 16
; WaveLimiterHint : 0
; COMPUTE_PGM_RSRC2:SCRATCH_EN: 0
; COMPUTE_PGM_RSRC2:USER_SGPR: 2
; COMPUTE_PGM_RSRC2:TRAP_HANDLER: 0
; COMPUTE_PGM_RSRC2:TGID_X_EN: 1
; COMPUTE_PGM_RSRC2:TGID_Y_EN: 1
; COMPUTE_PGM_RSRC2:TGID_Z_EN: 0
; COMPUTE_PGM_RSRC2:TIDIG_COMP_CNT: 1
	.section	.text._ZL9rope_neoxILb1ELb1E6__halfS0_EvPKT1_PT2_iiiiiiiiiiPKifff14rope_corr_dimsfPKfPKli,"axG",@progbits,_ZL9rope_neoxILb1ELb1E6__halfS0_EvPKT1_PT2_iiiiiiiiiiPKifff14rope_corr_dimsfPKfPKli,comdat
	.globl	_ZL9rope_neoxILb1ELb1E6__halfS0_EvPKT1_PT2_iiiiiiiiiiPKifff14rope_corr_dimsfPKfPKli ; -- Begin function _ZL9rope_neoxILb1ELb1E6__halfS0_EvPKT1_PT2_iiiiiiiiiiPKifff14rope_corr_dimsfPKfPKli
	.p2align	8
	.type	_ZL9rope_neoxILb1ELb1E6__halfS0_EvPKT1_PT2_iiiiiiiiiiPKifff14rope_corr_dimsfPKfPKli,@function
_ZL9rope_neoxILb1ELb1E6__halfS0_EvPKT1_PT2_iiiiiiiiiiPKifff14rope_corr_dimsfPKfPKli: ; @_ZL9rope_neoxILb1ELb1E6__halfS0_EvPKT1_PT2_iiiiiiiiiiPKifff14rope_corr_dimsfPKfPKli
; %bb.0:
	s_clause 0x1
	s_load_u16 s3, s[0:1], 0x7e
	s_load_b256 s[4:11], s[0:1], 0x10
	s_bfe_u32 s2, ttmp6, 0x40010
	s_bfe_u32 s13, ttmp6, 0x40004
	s_add_co_i32 s2, s2, 1
	v_bfe_u32 v1, v0, 10, 10
	s_mul_i32 s12, ttmp7, s2
	s_getreg_b32 s2, hwreg(HW_REG_IB_STS2, 6, 4)
	s_add_co_i32 s13, s13, s12
	s_cmp_eq_u32 s2, 0
	s_cselect_b32 s12, ttmp7, s13
	s_wait_kmcnt 0x0
	s_mul_i32 s12, s12, s3
	s_mov_b32 s3, exec_lo
	v_add_lshl_u32 v3, s12, v1, 1
	s_delay_alu instid0(VALU_DEP_1)
	v_cmpx_gt_i32_e64 s4, v3
	s_cbranch_execz .LBB5_19
; %bb.1:
	s_add_nc_u64 s[12:13], s[0:1], 0x70
	s_bfe_u32 s4, ttmp6, 0x4000c
	s_load_b32 s3, s[12:13], 0xc
	s_add_co_i32 s4, s4, 1
	s_wait_xcnt 0x0
	s_and_b32 s12, ttmp6, 15
	s_mul_i32 s4, ttmp9, s4
	v_and_b32_e32 v0, 0x3ff, v0
	s_add_co_i32 s12, s12, s4
	s_clause 0x1
	s_load_b64 s[20:21], s[0:1], 0x30
	s_load_b128 s[16:19], s[0:1], 0x58
	s_wait_kmcnt 0x0
	s_and_b32 s3, s3, 0xffff
	s_cmp_eq_u32 s2, 0
	s_mul_i32 s2, s6, s5
	s_cselect_b32 s4, ttmp9, s12
	s_abs_i32 s6, s2
	v_mad_u32 v2, s4, s3, v0
	s_cvt_f32_u32 s12, s6
	s_sub_co_i32 s4, 0, s6
	s_delay_alu instid0(SALU_CYCLE_2) | instskip(NEXT) | instid1(VALU_DEP_1)
	v_rcp_iflag_f32_e32 v1, s12
	v_sub_nc_u32_e32 v0, 0, v2
	s_delay_alu instid0(TRANS32_DEP_1) | instskip(NEXT) | instid1(VALU_DEP_2)
	v_readfirstlane_b32 s3, v1
	v_max_i32_e32 v0, v2, v0
	s_mul_f32 s3, s3, 0x4f7ffffe
	s_delay_alu instid0(SALU_CYCLE_3) | instskip(NEXT) | instid1(SALU_CYCLE_3)
	s_cvt_u32_f32 s3, s3
	s_mul_i32 s4, s4, s3
	s_delay_alu instid0(SALU_CYCLE_1) | instskip(NEXT) | instid1(SALU_CYCLE_1)
	s_mul_hi_u32 s4, s3, s4
	s_add_co_i32 s3, s3, s4
	s_delay_alu instid0(SALU_CYCLE_1) | instskip(SKIP_1) | instid1(VALU_DEP_1)
	v_mul_hi_u32 v1, v0, s3
	s_cvt_f32_u32 s3, s5
	v_mul_lo_u32 v4, v1, s6
	s_delay_alu instid0(VALU_DEP_1) | instskip(NEXT) | instid1(VALU_DEP_1)
	v_dual_sub_nc_u32 v0, v0, v4 :: v_dual_add_nc_u32 v4, 1, v1
	v_cmp_le_u32_e32 vcc_lo, s6, v0
	s_delay_alu instid0(VALU_DEP_2) | instskip(SKIP_1) | instid1(VALU_DEP_1)
	v_cndmask_b32_e32 v1, v1, v4, vcc_lo
	v_subrev_nc_u32_e32 v5, s6, v0
	v_dual_cndmask_b32 v0, v0, v5, vcc_lo :: v_dual_bitop2_b32 v4, s2, v2 bitop3:0x14
	s_delay_alu instid0(VALU_DEP_3) | instskip(NEXT) | instid1(VALU_DEP_2)
	v_add_nc_u32_e32 v5, 1, v1
	v_cmp_le_u32_e32 vcc_lo, s6, v0
	s_delay_alu instid0(VALU_DEP_2) | instskip(SKIP_1) | instid1(VALU_DEP_1)
	v_dual_ashrrev_i32 v4, 31, v4 :: v_dual_cndmask_b32 v0, v1, v5, vcc_lo
	v_rcp_iflag_f32_e32 v1, s3
	v_xor_b32_e32 v0, v0, v4
	s_delay_alu instid0(TRANS32_DEP_1) | instskip(NEXT) | instid1(VALU_DEP_2)
	v_readfirstlane_b32 s3, v1
	v_sub_nc_u32_e32 v0, v0, v4
	s_delay_alu instid0(VALU_DEP_1) | instskip(SKIP_2) | instid1(SALU_CYCLE_2)
	v_mul_lo_u32 v1, s2, v0
	s_mul_f32 s2, s3, 0x4f7ffffe
	s_sub_co_i32 s3, 0, s5
	s_cvt_u32_f32 s2, s2
	s_delay_alu instid0(SALU_CYCLE_3) | instskip(NEXT) | instid1(VALU_DEP_1)
	s_mul_i32 s3, s3, s2
	v_sub_nc_u32_e32 v2, v2, v1
	s_mul_hi_u32 s3, s2, s3
	s_delay_alu instid0(SALU_CYCLE_1)
	s_add_co_i32 s2, s2, s3
	s_delay_alu instid0(VALU_DEP_1) | instid1(SALU_CYCLE_1)
	v_mul_hi_u32 v1, v2, s2
	s_load_b32 s2, s[0:1], 0x68
	s_delay_alu instid0(VALU_DEP_1) | instskip(SKIP_2) | instid1(VALU_DEP_1)
	v_mul_lo_u32 v4, v1, s5
	s_wait_kmcnt 0x0
	s_cmp_eq_u32 s2, 0
	v_sub_nc_u32_e32 v4, v2, v4
	s_delay_alu instid0(VALU_DEP_1) | instskip(SKIP_1) | instid1(VALU_DEP_2)
	v_subrev_nc_u32_e32 v6, s5, v4
	v_cmp_le_u32_e32 vcc_lo, s5, v4
	v_dual_cndmask_b32 v4, v4, v6 :: v_dual_add_nc_u32 v5, 1, v1
	s_delay_alu instid0(VALU_DEP_1) | instskip(NEXT) | instid1(VALU_DEP_2)
	v_cndmask_b32_e32 v1, v1, v5, vcc_lo
	v_cmp_le_u32_e32 vcc_lo, s5, v4
	s_delay_alu instid0(VALU_DEP_2) | instskip(NEXT) | instid1(VALU_DEP_1)
	v_add_nc_u32_e32 v5, 1, v1
	v_cndmask_b32_e32 v8, v1, v5, vcc_lo
	s_cbranch_scc1 .LBB5_3
; %bb.2:
	v_mov_b32_e32 v9, 0
	s_delay_alu instid0(VALU_DEP_1)
	v_lshl_add_u64 v[4:5], v[8:9], 3, s[18:19]
	global_load_b32 v1, v[4:5], off
	s_wait_loadcnt 0x0
	v_mul_lo_u32 v4, s2, v1
	s_branch .LBB5_4
.LBB5_3:
	v_mul_lo_u32 v1, v0, s20
	s_delay_alu instid0(VALU_DEP_1)
	v_mad_u32 v4, v8, s11, v1
.LBB5_4:
	v_mul_lo_u32 v5, v8, s5
	v_ashrrev_i32_e32 v1, 1, v3
	s_load_b128 s[12:15], s[0:1], 0x0
	s_mov_b32 s2, exec_lo
	s_delay_alu instid0(VALU_DEP_2) | instskip(NEXT) | instid1(VALU_DEP_2)
	v_sub_nc_u32_e32 v2, v2, v5
	v_mad_u32 v0, v0, s9, v1
	s_delay_alu instid0(VALU_DEP_2) | instskip(NEXT) | instid1(VALU_DEP_2)
	v_mul_lo_u32 v5, v2, s10
	v_mad_u32 v0, v8, s8, v0
	s_delay_alu instid0(VALU_DEP_1) | instskip(NEXT) | instid1(VALU_DEP_3)
	v_mad_u32 v2, v2, s7, v0
	v_add3_u32 v0, v5, v1, v4
	v_cmpx_le_i32_e64 s21, v3
	s_xor_b32 s2, exec_lo, s2
	s_cbranch_execz .LBB5_6
; %bb.5:
	s_delay_alu instid0(VALU_DEP_2)
	v_dual_add_nc_u32 v2, v2, v1 :: v_dual_add_nc_u32 v0, v0, v1
                                        ; implicit-def: $vgpr8
	s_wait_kmcnt 0x0
	global_load_u16 v3, v2, s[12:13] scale_offset
	s_wait_loadcnt 0x0
	global_store_b16 v0, v3, s[14:15] scale_offset
	global_load_u16 v1, v2, s[12:13] offset:2 scale_offset
                                        ; implicit-def: $vgpr2
                                        ; implicit-def: $vgpr3
	s_wait_loadcnt 0x0
	global_store_b16 v0, v1, s[14:15] offset:2 scale_offset
                                        ; implicit-def: $vgpr0
                                        ; implicit-def: $vgpr1
.LBB5_6:
	s_wait_xcnt 0x0
	s_and_not1_saveexec_b32 s2, s2
	s_cbranch_execz .LBB5_19
; %bb.7:
	s_clause 0x1
	s_load_b64 s[8:9], s[0:1], 0x50
	s_load_b64 s[2:3], s[0:1], 0x38
	v_cvt_f32_i32_e32 v3, v3
	s_mov_b32 s4, 0x3e76c4e1
	global_load_b32 v22, v1, s[16:17] scale_offset
	v_mul_f32_e32 v3, 0.5, v3
	s_wait_kmcnt 0x0
	s_cmp_neq_f32 s9, 1.0
	global_load_b32 v8, v8, s[2:3] scale_offset
	s_cselect_b32 vcc_lo, -1, 0
	v_cndmask_b32_e32 v9, 1.0, v3, vcc_lo
	s_delay_alu instid0(VALU_DEP_1) | instskip(SKIP_1) | instid1(VALU_DEP_1)
	v_cmp_neq_f32_e32 vcc_lo, 0, v9
	v_cndmask_b32_e64 v3, 1.0, s9, vcc_lo
	v_frexp_mant_f32_e64 v4, |v3|
	v_cmp_lt_f32_e64 s6, |v3|, 1.0
	s_delay_alu instid0(VALU_DEP_2) | instskip(SKIP_1) | instid1(VALU_DEP_1)
	v_cmp_gt_f32_e32 vcc_lo, 0x3f2aaaab, v4
	v_cndmask_b32_e64 v5, 1.0, 2.0, vcc_lo
	v_mul_f32_e32 v4, v4, v5
	s_delay_alu instid0(VALU_DEP_1) | instskip(SKIP_1) | instid1(VALU_DEP_2)
	v_dual_add_f32 v7, 1.0, v4 :: v_dual_add_f32 v5, -1.0, v4
	v_cmp_neq_f32_e64 s5, v9, |v9|
	v_rcp_f32_e32 v12, v7
	v_add_f32_e32 v10, -1.0, v7
	s_xor_b32 s5, s5, s6
	s_delay_alu instid0(TRANS32_DEP_1) | instid1(VALU_DEP_1)
	v_dual_sub_f32 v4, v4, v10 :: v_dual_mul_f32 v13, v5, v12
	s_delay_alu instid0(VALU_DEP_1) | instskip(NEXT) | instid1(VALU_DEP_1)
	v_mul_f32_e32 v6, v7, v13
	v_fma_f32 v10, v13, v7, -v6
	s_delay_alu instid0(VALU_DEP_1) | instskip(NEXT) | instid1(VALU_DEP_1)
	v_fmac_f32_e32 v10, v13, v4
	v_add_f32_e32 v4, v6, v10
	s_delay_alu instid0(VALU_DEP_1) | instskip(NEXT) | instid1(VALU_DEP_1)
	v_dual_sub_f32 v7, v5, v4 :: v_dual_mov_b32 v11, v4
	v_pk_add_f32 v[4:5], v[4:5], v[6:7] neg_lo:[0,1] neg_hi:[0,1]
	s_delay_alu instid0(VALU_DEP_1) | instskip(NEXT) | instid1(VALU_DEP_1)
	v_pk_add_f32 v[4:5], v[4:5], v[10:11] neg_lo:[0,1] neg_hi:[0,1]
	v_add_f32_e32 v4, v4, v5
	s_delay_alu instid0(VALU_DEP_1) | instskip(NEXT) | instid1(VALU_DEP_1)
	v_add_f32_e32 v4, v7, v4
	v_mul_f32_e32 v5, v12, v4
	s_delay_alu instid0(VALU_DEP_1) | instskip(NEXT) | instid1(VALU_DEP_1)
	v_add_f32_e32 v4, v13, v5
	v_dual_sub_f32 v6, v4, v13 :: v_dual_mul_f32 v7, v4, v4
	s_delay_alu instid0(VALU_DEP_1) | instskip(NEXT) | instid1(VALU_DEP_1)
	v_dual_sub_f32 v18, v5, v6 :: v_dual_fma_f32 v5, v4, v4, -v7
	v_add_f32_e32 v6, v18, v18
	s_delay_alu instid0(VALU_DEP_1) | instskip(NEXT) | instid1(VALU_DEP_1)
	v_fmac_f32_e32 v5, v4, v6
	v_add_f32_e32 v6, v7, v5
	s_delay_alu instid0(VALU_DEP_1) | instskip(SKIP_1) | instid1(VALU_DEP_2)
	v_dual_fmaak_f32 v10, s4, v6, 0x3e91f4c4 :: v_dual_sub_f32 v7, v6, v7
	v_cmp_eq_f32_e64 s4, 0, v3
	v_fmaak_f32 v12, v6, v10, 0x3ecccdef
	v_cvt_f64_f32_e64 v[10:11], |v3|
	s_delay_alu instid0(VALU_DEP_2) | instskip(NEXT) | instid1(VALU_DEP_1)
	v_dual_sub_f32 v16, v5, v7 :: v_dual_mul_f32 v13, v6, v12
	v_fma_f32 v5, v6, v12, -v13
	s_delay_alu instid0(VALU_DEP_1) | instskip(NEXT) | instid1(VALU_DEP_1)
	v_fmac_f32_e32 v5, v16, v12
	v_add_f32_e32 v7, v13, v5
	s_delay_alu instid0(VALU_DEP_1) | instskip(NEXT) | instid1(VALU_DEP_1)
	v_dual_sub_f32 v12, v7, v13 :: v_dual_add_f32 v13, 0x3f2aaaaa, v7
	v_dual_sub_f32 v5, v5, v12 :: v_dual_add_f32 v12, 0xbf2aaaaa, v13
	v_frexp_exp_i32_f64_e32 v17, v[10:11]
	s_delay_alu instid0(VALU_DEP_2) | instskip(NEXT) | instid1(VALU_DEP_3)
	v_add_f32_e32 v5, 0x31739010, v5
	v_sub_f32_e32 v7, v7, v12
	s_delay_alu instid0(VALU_DEP_1) | instskip(NEXT) | instid1(VALU_DEP_1)
	v_pk_mul_f32 v[10:11], v[4:5], v[6:7]
	v_fma_f32 v12, v6, v4, -v10
	s_delay_alu instid0(VALU_DEP_1) | instskip(NEXT) | instid1(VALU_DEP_1)
	v_fmac_f32_e32 v12, v6, v18
	v_fmac_f32_e32 v12, v16, v4
	v_pk_add_f32 v[14:15], v[4:5], v[6:7]
	s_delay_alu instid0(VALU_DEP_1) | instskip(SKIP_1) | instid1(VALU_DEP_2)
	v_mov_b32_e32 v11, v15
	v_subrev_co_ci_u32_e64 v5, null, 0, v17, vcc_lo
	v_pk_add_f32 v[6:7], v[10:11], v[12:13]
	s_delay_alu instid0(VALU_DEP_2) | instskip(NEXT) | instid1(VALU_DEP_2)
	v_cvt_f32_i32_e32 v5, v5
	v_dual_mov_b32 v14, v7 :: v_dual_sub_f32 v11, v13, v7
	s_delay_alu instid0(VALU_DEP_3) | instskip(NEXT) | instid1(VALU_DEP_2)
	v_sub_f32_e32 v13, v6, v10
	v_pk_mul_f32 v[16:17], v[6:7], v[14:15]
	s_delay_alu instid0(VALU_DEP_3) | instskip(NEXT) | instid1(VALU_DEP_2)
	v_dual_add_f32 v11, v15, v11 :: v_dual_mul_f32 v14, 0x3f317218, v5
	v_dual_sub_f32 v12, v12, v13 :: v_dual_fma_f32 v10, v6, v7, -v16
	s_delay_alu instid0(VALU_DEP_1) | instskip(NEXT) | instid1(VALU_DEP_3)
	v_fmac_f32_e32 v10, v6, v11
	v_fma_f32 v6, 0x3f317218, v5, -v14
	s_delay_alu instid0(VALU_DEP_2) | instskip(NEXT) | instid1(VALU_DEP_2)
	v_fmac_f32_e32 v10, v12, v7
	v_fmamk_f32 v6, v5, 0xb102e308, v6
	v_ldexp_f32 v7, v4, 1
	s_delay_alu instid0(VALU_DEP_1) | instskip(NEXT) | instid1(VALU_DEP_1)
	v_dual_add_f32 v15, v16, v10 :: v_dual_mov_b32 v17, v7
	v_pk_add_f32 v[4:5], v[14:15], v[6:7]
	v_mov_b32_e32 v12, v15
	v_ldexp_f32 v7, v18, 1
	s_delay_alu instid0(VALU_DEP_3) | instskip(SKIP_1) | instid1(VALU_DEP_2)
	v_dual_mov_b32 v11, v15 :: v_dual_mov_b32 v13, v5
	v_mov_b32_e32 v20, v5
	v_pk_add_f32 v[12:13], v[12:13], v[16:17] neg_lo:[0,1] neg_hi:[0,1]
	s_delay_alu instid0(VALU_DEP_1) | instskip(NEXT) | instid1(VALU_DEP_1)
	v_pk_add_f32 v[10:11], v[10:11], v[12:13] neg_lo:[0,1] neg_hi:[0,1]
	v_add_f32_e32 v7, v7, v10
	s_delay_alu instid0(VALU_DEP_1) | instskip(NEXT) | instid1(VALU_DEP_1)
	v_dual_add_f32 v15, v7, v11 :: v_dual_mov_b32 v7, v4
	v_pk_add_f32 v[10:11], v[4:5], v[14:15]
	v_pk_add_f32 v[12:13], v[4:5], v[14:15] neg_lo:[0,1] neg_hi:[0,1]
	s_delay_alu instid0(VALU_DEP_2) | instskip(NEXT) | instid1(VALU_DEP_1)
	v_mov_b32_e32 v13, v11
	v_pk_add_f32 v[16:17], v[6:7], v[12:13]
	v_pk_add_f32 v[6:7], v[6:7], v[12:13] neg_lo:[0,1] neg_hi:[0,1]
	s_delay_alu instid0(VALU_DEP_2) | instskip(NEXT) | instid1(VALU_DEP_1)
	v_dual_mov_b32 v14, v17 :: v_dual_mov_b32 v7, v17
	v_pk_add_f32 v[18:19], v[14:15], v[4:5] neg_lo:[0,1] neg_hi:[0,1]
	v_dual_mov_b32 v16, v11 :: v_dual_mov_b32 v5, v4
	s_delay_alu instid0(VALU_DEP_2) | instskip(SKIP_1) | instid1(VALU_DEP_2)
	v_dual_mov_b32 v4, v15 :: v_dual_mov_b32 v21, v18
	v_mov_b32_e32 v15, v18
	v_pk_add_f32 v[12:13], v[16:17], v[20:21] neg_lo:[0,1] neg_hi:[0,1]
	s_delay_alu instid0(VALU_DEP_2) | instskip(SKIP_1) | instid1(VALU_DEP_3)
	v_pk_add_f32 v[10:11], v[10:11], v[14:15] neg_lo:[0,1] neg_hi:[0,1]
	v_mov_b32_e32 v10, v6
	v_pk_add_f32 v[4:5], v[4:5], v[12:13] neg_lo:[0,1] neg_hi:[0,1]
	s_delay_alu instid0(VALU_DEP_1) | instskip(NEXT) | instid1(VALU_DEP_1)
	v_pk_add_f32 v[10:11], v[10:11], v[4:5]
	v_mov_b32_e32 v12, v11
	s_delay_alu instid0(VALU_DEP_1) | instskip(NEXT) | instid1(VALU_DEP_1)
	v_pk_add_f32 v[12:13], v[10:11], v[12:13]
	v_pk_add_f32 v[14:15], v[14:15], v[12:13]
	s_delay_alu instid0(VALU_DEP_1) | instskip(NEXT) | instid1(VALU_DEP_1)
	v_dual_mov_b32 v5, v12 :: v_dual_mov_b32 v11, v14
	v_pk_add_f32 v[16:17], v[10:11], v[6:7] neg_lo:[0,1] neg_hi:[0,1]
	s_delay_alu instid0(VALU_DEP_1) | instskip(SKIP_1) | instid1(VALU_DEP_1)
	v_pk_add_f32 v[4:5], v[4:5], v[16:17] neg_lo:[0,1] neg_hi:[0,1]
	v_sub_f32_e32 v7, v10, v16
	v_sub_f32_e32 v6, v6, v7
	s_delay_alu instid0(VALU_DEP_1) | instskip(NEXT) | instid1(VALU_DEP_1)
	v_add_f32_e32 v4, v4, v6
	v_add_f32_e32 v4, v4, v5
	s_delay_alu instid0(VALU_DEP_1) | instskip(NEXT) | instid1(VALU_DEP_1)
	v_add_f32_e32 v5, v14, v4
	v_sub_f32_e32 v6, v5, v14
	s_delay_alu instid0(VALU_DEP_1) | instskip(NEXT) | instid1(VALU_DEP_1)
	v_dual_sub_f32 v4, v4, v6 :: v_dual_mul_f32 v7, v9, v5
	v_fma_f32 v5, v9, v5, -v7
	s_delay_alu instid0(VALU_DEP_1) | instskip(SKIP_1) | instid1(VALU_DEP_2)
	v_fmac_f32_e32 v5, v9, v4
	v_cmp_class_f32_e64 vcc_lo, v7, 0x204
	v_add_f32_e32 v4, v7, v5
	s_delay_alu instid0(VALU_DEP_1) | instskip(NEXT) | instid1(VALU_DEP_1)
	v_dual_cndmask_b32 v6, v4, v7, vcc_lo :: v_dual_sub_f32 v4, v4, v7
	v_cmp_eq_f32_e32 vcc_lo, 0x42b17218, v6
	s_delay_alu instid0(VALU_DEP_2) | instskip(SKIP_2) | instid1(VALU_DEP_2)
	v_sub_f32_e32 v4, v5, v4
	v_cndmask_b32_e64 v10, 0, 0x37000000, vcc_lo
	v_cmp_neq_f32_e64 vcc_lo, 0x7f800000, |v6|
	v_dual_sub_f32 v11, v6, v10 :: v_dual_cndmask_b32 v4, 0, v4
	v_trunc_f32_e32 v6, v9
	s_delay_alu instid0(VALU_DEP_2) | instskip(NEXT) | instid1(VALU_DEP_1)
	v_mul_f32_e32 v12, 0x3fb8aa3b, v11
	v_fma_f32 v13, 0x3fb8aa3b, v11, -v12
	v_rndne_f32_e32 v14, v12
	s_delay_alu instid0(VALU_DEP_1) | instskip(NEXT) | instid1(VALU_DEP_1)
	v_dual_fmamk_f32 v13, v11, 0x32a5705f, v13 :: v_dual_sub_f32 v12, v12, v14
	v_add_f32_e32 v12, v12, v13
	v_cmp_ngt_f32_e32 vcc_lo, 0xc2ce8ed0, v11
	s_delay_alu instid0(VALU_DEP_2)
	v_exp_f32_e32 v7, v12
	v_nop
	v_cvt_i32_f32_e32 v12, v14
	s_delay_alu instid0(TRANS32_DEP_1) | instid1(VALU_DEP_1)
	v_ldexp_f32 v5, v7, v12
	v_mul_f32_e32 v7, 0.5, v9
	s_delay_alu instid0(VALU_DEP_2) | instskip(NEXT) | instid1(VALU_DEP_2)
	v_cndmask_b32_e32 v5, 0, v5, vcc_lo
	v_trunc_f32_e32 v12, v7
	v_cmp_nlt_f32_e32 vcc_lo, 0x42b17218, v11
	s_wait_xcnt 0x0
	s_delay_alu instid0(VALU_DEP_2) | instskip(SKIP_2) | instid1(VALU_DEP_2)
	v_cmp_neq_f32_e64 s2, v12, v7
	v_cndmask_b32_e32 v5, 0x7f800000, v5, vcc_lo
	v_cmp_eq_f32_e32 vcc_lo, v6, v9
	v_cmp_class_f32_e64 s3, v5, 0x204
	s_and_b32 s2, vcc_lo, s2
	s_delay_alu instid0(SALU_CYCLE_1) | instskip(SKIP_2) | instid1(VALU_DEP_3)
	v_dual_cndmask_b32 v6, 1.0, v3, s2 :: v_dual_add_f32 v4, v10, v4
	v_cndmask_b32_e64 v10, 0, v3, s2
	v_cmp_class_f32_e64 s2, v3, 0x204
	v_fma_f32 v4, v5, v4, v5
	s_delay_alu instid0(VALU_DEP_1) | instskip(SKIP_2) | instid1(VALU_DEP_3)
	v_cndmask_b32_e64 v4, v4, v5, s3
	v_cndmask_b32_e64 v5, 0x7f800000, 0, s5
	v_cmp_gt_f32_e64 s3, 0, v9
	v_bfi_b32 v4, 0x7fffffff, v4, v6
	s_xor_b32 s3, s3, s4
	s_delay_alu instid0(SALU_CYCLE_1) | instskip(NEXT) | instid1(VALU_DEP_2)
	v_cndmask_b32_e64 v6, 0x7f800000, 0, s3
	v_cndmask_b32_e32 v7, 0x7fc00000, v4, vcc_lo
	v_cmp_neq_f32_e64 vcc_lo, |v3|, 1.0
	s_delay_alu instid0(VALU_DEP_3) | instskip(SKIP_4) | instid1(VALU_DEP_2)
	v_bfi_b32 v6, 0x7fffffff, v6, v10
	v_cndmask_b32_e32 v5, 1.0, v5, vcc_lo
	v_cmp_gt_f32_e32 vcc_lo, 0, v3
	v_cndmask_b32_e32 v4, v4, v7, vcc_lo
	v_cmp_class_f32_e64 vcc_lo, v9, 0x204
	v_cndmask_b32_e32 v4, v4, v5, vcc_lo
	s_or_b32 vcc_lo, s4, s2
	s_wait_loadcnt 0x0
	v_cvt_f32_i32_e32 v5, v8
	s_load_b128 s[4:7], s[0:1], 0x40
	v_cndmask_b32_e32 v4, v4, v6, vcc_lo
	v_cmp_o_f32_e32 vcc_lo, v3, v3
	s_delay_alu instid0(VALU_DEP_2) | instskip(NEXT) | instid1(VALU_DEP_1)
	v_cndmask_b32_e32 v3, 0x7fc00000, v4, vcc_lo
	v_mul_f32_e32 v3, v3, v5
	s_delay_alu instid0(VALU_DEP_1) | instskip(SKIP_3) | instid1(VALU_DEP_2)
	v_div_scale_f32 v4, null, v22, v22, v3
	v_div_scale_f32 v7, vcc_lo, v3, v22, v3
	s_wait_kmcnt 0x0
	s_cmp_eq_f32 s5, 0
	v_rcp_f32_e32 v5, v4
	v_nop
	s_delay_alu instid0(TRANS32_DEP_1) | instskip(NEXT) | instid1(VALU_DEP_1)
	v_fma_f32 v6, -v4, v5, 1.0
	v_fmac_f32_e32 v5, v6, v5
	s_delay_alu instid0(VALU_DEP_1) | instskip(NEXT) | instid1(VALU_DEP_1)
	v_mul_f32_e32 v6, v7, v5
	v_fma_f32 v8, -v4, v6, v7
	s_delay_alu instid0(VALU_DEP_1) | instskip(NEXT) | instid1(VALU_DEP_1)
	v_fmac_f32_e32 v6, v8, v5
	v_fma_f32 v4, -v4, v6, v7
	s_delay_alu instid0(VALU_DEP_1) | instskip(NEXT) | instid1(VALU_DEP_1)
	v_div_fmas_f32 v4, v4, v5, v6
	v_div_fixup_f32 v4, v4, v22, v3
	s_delay_alu instid0(VALU_DEP_1)
	v_mul_f32_e32 v5, s4, v4
	s_cbranch_scc1 .LBB5_9
; %bb.8:
	v_cvt_f32_i32_e32 v1, v1
	s_sub_f32 s0, s8, s7
	v_div_scale_f32 v6, null, s4, s4, 1.0
	s_delay_alu instid0(SALU_CYCLE_2) | instskip(SKIP_4) | instid1(VALU_DEP_3)
	s_max_num_f32 s1, s0, 0x3a83126f
	v_subrev_f32_e32 v1, s7, v1
	v_rcp_f32_e32 v8, v6
	v_nop
	v_xor_b32_e32 v6, 0x80000000, v6
	v_div_scale_f32 v3, null, s1, s1, v1
	s_delay_alu instid0(TRANS32_DEP_1) | instid1(VALU_DEP_2)
	v_fma_f32 v10, v6, v8, 1.0
	s_delay_alu instid0(VALU_DEP_2) | instskip(SKIP_1) | instid1(TRANS32_DEP_1)
	v_rcp_f32_e32 v7, v3
	v_nop
	v_fma_f32 v9, -v3, v7, 1.0
	s_delay_alu instid0(VALU_DEP_1) | instskip(SKIP_2) | instid1(VALU_DEP_2)
	v_fmac_f32_e32 v7, v9, v7
	v_div_scale_f32 v11, vcc_lo, v1, s1, v1
	v_div_scale_f32 v9, s0, 1.0, s4, 1.0
	v_dual_fmac_f32 v8, v10, v8 :: v_dual_mul_f32 v10, v11, v7
	s_delay_alu instid0(VALU_DEP_1) | instskip(NEXT) | instid1(VALU_DEP_1)
	v_dual_mul_f32 v12, v9, v8 :: v_dual_fma_f32 v13, -v3, v10, v11
	v_dual_fma_f32 v14, v6, v12, v9 :: v_dual_fmac_f32 v10, v13, v7
	s_delay_alu instid0(VALU_DEP_1) | instskip(NEXT) | instid1(VALU_DEP_1)
	v_dual_fmac_f32 v12, v14, v8 :: v_dual_fma_f32 v3, -v3, v10, v11
	v_fmac_f32_e32 v9, v6, v12
	s_delay_alu instid0(VALU_DEP_2) | instskip(SKIP_1) | instid1(VALU_DEP_2)
	v_div_fmas_f32 v3, v3, v7, v10
	s_mov_b32 vcc_lo, s0
	v_div_fmas_f32 v6, v9, v8, v12
	s_delay_alu instid0(VALU_DEP_2) | instskip(NEXT) | instid1(VALU_DEP_2)
	v_div_fixup_f32 v1, v3, s1, v1 clamp
	v_div_fixup_f32 v6, v6, s4, 1.0
	s_delay_alu instid0(VALU_DEP_1) | instskip(SKIP_2) | instid1(SALU_CYCLE_1)
	v_readfirstlane_b32 s0, v6
	s_cmp_lt_f32 s0, 0x800000
	s_cselect_b32 s0, 0x4f800000, 1.0
	v_mul_f32_e32 v6, s0, v6
	s_cselect_b32 s0, 0x41b17218, 0
	s_delay_alu instid0(VALU_DEP_1) | instskip(SKIP_1) | instid1(TRANS32_DEP_1)
	v_log_f32_e32 v6, v6
	v_nop
	v_and_b32_e32 v3, 0x7fffffff, v6
	s_delay_alu instid0(VALU_DEP_1) | instskip(SKIP_2) | instid1(VALU_DEP_1)
	v_cmp_gt_f32_e32 vcc_lo, 0x7f800000, v3
	v_sub_f32_e32 v1, 1.0, v1
	v_mul_f32_e32 v7, 0x3f317217, v6
	v_xor_b32_e32 v7, 0x80000000, v7
	s_delay_alu instid0(VALU_DEP_1) | instskip(NEXT) | instid1(VALU_DEP_1)
	v_fmac_f32_e32 v7, 0x3f317217, v6
	v_fmamk_f32 v7, v6, 0x3377d1cf, v7
	s_delay_alu instid0(VALU_DEP_1) | instskip(NEXT) | instid1(VALU_DEP_1)
	v_fmac_f32_e32 v7, 0x3f317217, v6
	v_dual_cndmask_b32 v3, v6, v7 :: v_dual_mul_f32 v6, s5, v1
	v_fma_f32 v7, -s5, v1, 1.0
	s_delay_alu instid0(VALU_DEP_2) | instskip(NEXT) | instid1(VALU_DEP_2)
	v_dual_mov_b32 v1, 1.0 :: v_dual_subrev_f32 v3, s0, v3
	v_pk_mul_f32 v[4:5], v[6:7], v[4:5]
	s_delay_alu instid0(VALU_DEP_2) | instskip(NEXT) | instid1(VALU_DEP_2)
	v_fmamk_f32 v1, v3, 0x3dcccccd, v1
	v_add_f32_e32 v5, v4, v5
	s_delay_alu instid0(VALU_DEP_2)
	v_mul_f32_e32 v6, s6, v1
	s_branch .LBB5_10
.LBB5_9:
	v_mov_b32_e32 v6, s6
.LBB5_10:
	s_delay_alu instid0(VALU_DEP_2) | instskip(SKIP_1) | instid1(VALU_DEP_2)
	v_and_b32_e32 v1, 0x7fffffff, v5
	v_cmp_ngt_f32_e64 s2, 0x48000000, |v5|
                                        ; implicit-def: $vgpr7
                                        ; implicit-def: $vgpr4
	v_lshrrev_b32_e32 v3, 23, v1
	s_and_saveexec_b32 s0, s2
	s_delay_alu instid0(SALU_CYCLE_1)
	s_xor_b32 s3, exec_lo, s0
	s_cbranch_execz .LBB5_12
; %bb.11:
	s_mov_b32 s0, 0x7fffff
	v_mov_b32_e32 v9, 0
	v_and_or_b32 v8, v1, s0, 0x800000
	s_mov_b64 s[0:1], 0xfe5163ab
	s_delay_alu instid0(VALU_DEP_1) | instid1(SALU_CYCLE_1)
	v_mul_u64_e32 v[10:11], s[0:1], v[8:9]
	s_delay_alu instid0(VALU_DEP_1) | instskip(SKIP_2) | instid1(VALU_DEP_3)
	v_dual_mov_b32 v12, v11 :: v_dual_mov_b32 v13, v9
	v_dual_mov_b32 v15, v9 :: v_dual_mov_b32 v17, v9
	v_dual_mov_b32 v19, v9 :: v_dual_mov_b32 v21, v9
	v_mad_nc_u64_u32 v[12:13], 0x3c439041, v8, v[12:13]
	s_delay_alu instid0(VALU_DEP_1) | instskip(NEXT) | instid1(VALU_DEP_1)
	v_dual_mov_b32 v23, v9 :: v_dual_mov_b32 v14, v13
	v_mad_nc_u64_u32 v[14:15], 0xdb629599, v8, v[14:15]
	s_delay_alu instid0(VALU_DEP_1) | instskip(NEXT) | instid1(VALU_DEP_1)
	v_mov_b32_e32 v16, v15
	v_mad_nc_u64_u32 v[16:17], 0xf534ddc0, v8, v[16:17]
	s_delay_alu instid0(VALU_DEP_1) | instskip(NEXT) | instid1(VALU_DEP_1)
	v_mov_b32_e32 v18, v17
	;; [unrolled: 3-line block ×3, first 2 shown]
	v_mad_nc_u64_u32 v[20:21], 0x4e441529, v8, v[20:21]
	v_add_nc_u32_e32 v4, 0xffffff88, v3
	s_delay_alu instid0(VALU_DEP_1) | instskip(SKIP_1) | instid1(VALU_DEP_4)
	v_cmp_lt_u32_e32 vcc_lo, 63, v4
	v_cndmask_b32_e64 v7, 0, 0xffffffc0, vcc_lo
	v_dual_cndmask_b32 v11, v20, v16 :: v_dual_mov_b32 v22, v21
	s_delay_alu instid0(VALU_DEP_2) | instskip(NEXT) | instid1(VALU_DEP_2)
	v_dual_cndmask_b32 v13, v18, v14 :: v_dual_add_nc_u32 v4, v7, v4
	v_mad_nc_u64_u32 v[8:9], 0xa2f9836e, v8, v[22:23]
	s_delay_alu instid0(VALU_DEP_2) | instskip(NEXT) | instid1(VALU_DEP_1)
	v_cmp_lt_u32_e64 s0, 31, v4
	v_cndmask_b32_e64 v7, 0, 0xffffffe0, s0
	s_delay_alu instid0(VALU_DEP_3) | instskip(NEXT) | instid1(VALU_DEP_2)
	v_dual_cndmask_b32 v8, v8, v18 :: v_dual_cndmask_b32 v9, v9, v20
	v_add_nc_u32_e32 v4, v7, v4
	s_delay_alu instid0(VALU_DEP_1) | instskip(NEXT) | instid1(VALU_DEP_1)
	v_cmp_lt_u32_e64 s1, 31, v4
	v_cndmask_b32_e64 v7, 0, 0xffffffe0, s1
	s_delay_alu instid0(VALU_DEP_1) | instskip(SKIP_2) | instid1(VALU_DEP_3)
	v_add_nc_u32_e32 v4, v7, v4
	v_cndmask_b32_e32 v7, v16, v12, vcc_lo
	v_dual_cndmask_b32 v12, v8, v11, s0 :: v_dual_cndmask_b32 v8, v9, v8, s0
	v_dual_cndmask_b32 v9, v11, v13, s0 :: v_dual_sub_nc_u32 v11, 32, v4
	s_delay_alu instid0(VALU_DEP_2) | instskip(NEXT) | instid1(VALU_DEP_2)
	v_dual_cndmask_b32 v13, v13, v7, s0 :: v_dual_cndmask_b32 v8, v8, v12, s1
	v_cndmask_b32_e64 v12, v12, v9, s1
	s_delay_alu instid0(VALU_DEP_2) | instskip(NEXT) | instid1(VALU_DEP_2)
	v_cndmask_b32_e64 v9, v9, v13, s1
	v_alignbit_b32 v15, v8, v12, v11
	v_cndmask_b32_e32 v10, v14, v10, vcc_lo
	v_cmp_eq_u32_e32 vcc_lo, 0, v4
	s_delay_alu instid0(VALU_DEP_4) | instskip(NEXT) | instid1(VALU_DEP_4)
	v_alignbit_b32 v14, v12, v9, v11
	v_cndmask_b32_e32 v4, v15, v8, vcc_lo
	s_delay_alu instid0(VALU_DEP_2) | instskip(NEXT) | instid1(VALU_DEP_2)
	v_dual_cndmask_b32 v7, v7, v10, s0 :: v_dual_cndmask_b32 v8, v14, v12, vcc_lo
	v_bfe_u32 v10, v4, 29, 1
	s_delay_alu instid0(VALU_DEP_2) | instskip(NEXT) | instid1(VALU_DEP_3)
	v_cndmask_b32_e64 v7, v13, v7, s1
	v_alignbit_b32 v12, v4, v8, 30
	s_delay_alu instid0(VALU_DEP_3) | instskip(NEXT) | instid1(VALU_DEP_3)
	v_sub_nc_u32_e32 v13, 0, v10
	v_alignbit_b32 v11, v9, v7, v11
	s_delay_alu instid0(VALU_DEP_2) | instskip(NEXT) | instid1(VALU_DEP_2)
	v_xor_b32_e32 v12, v12, v13
	v_cndmask_b32_e32 v9, v11, v9, vcc_lo
	s_delay_alu instid0(VALU_DEP_2) | instskip(NEXT) | instid1(VALU_DEP_2)
	v_clz_i32_u32_e32 v11, v12
	v_alignbit_b32 v8, v8, v9, 30
	v_alignbit_b32 v7, v9, v7, 30
	s_delay_alu instid0(VALU_DEP_3) | instskip(NEXT) | instid1(VALU_DEP_3)
	v_min_u32_e32 v11, 32, v11
	v_xor_b32_e32 v8, v8, v13
	s_delay_alu instid0(VALU_DEP_3) | instskip(NEXT) | instid1(VALU_DEP_3)
	v_dual_lshrrev_b32 v13, 29, v4 :: v_dual_bitop2_b32 v7, v7, v13 bitop3:0x14
	v_dual_sub_nc_u32 v9, 31, v11 :: v_dual_lshlrev_b32 v14, 23, v11
	s_delay_alu instid0(VALU_DEP_1) | instskip(NEXT) | instid1(VALU_DEP_3)
	v_alignbit_b32 v12, v12, v8, v9
	v_alignbit_b32 v7, v8, v7, v9
	s_delay_alu instid0(VALU_DEP_4) | instskip(NEXT) | instid1(VALU_DEP_2)
	v_lshlrev_b32_e32 v8, 31, v13
	v_alignbit_b32 v9, v12, v7, 9
	s_delay_alu instid0(VALU_DEP_2) | instskip(SKIP_2) | instid1(VALU_DEP_4)
	v_or_b32_e32 v13, 0.5, v8
	v_lshrrev_b32_e32 v12, 9, v12
	v_or_b32_e32 v8, 0x33000000, v8
	v_clz_i32_u32_e32 v15, v9
	s_delay_alu instid0(VALU_DEP_4) | instskip(NEXT) | instid1(VALU_DEP_2)
	v_sub_nc_u32_e32 v13, v13, v14
	v_min_u32_e32 v14, 32, v15
	s_delay_alu instid0(VALU_DEP_2) | instskip(NEXT) | instid1(VALU_DEP_2)
	v_or_b32_e32 v12, v12, v13
	v_not_b32_e32 v13, v14
	v_add_lshl_u32 v11, v14, v11, 23
	s_delay_alu instid0(VALU_DEP_2) | instskip(NEXT) | instid1(VALU_DEP_2)
	v_alignbit_b32 v7, v9, v7, v13
	v_sub_nc_u32_e32 v8, v8, v11
	s_delay_alu instid0(VALU_DEP_2) | instskip(SKIP_1) | instid1(VALU_DEP_2)
	v_lshrrev_b32_e32 v7, 9, v7
	v_mul_f32_e32 v15, 0x3fc90fda, v12
	v_or_b32_e32 v7, v8, v7
	s_delay_alu instid0(VALU_DEP_2) | instskip(NEXT) | instid1(VALU_DEP_1)
	v_fma_f32 v9, 0x3fc90fda, v12, -v15
	v_fmamk_f32 v9, v12, 0x33a22168, v9
	s_delay_alu instid0(VALU_DEP_1) | instskip(NEXT) | instid1(VALU_DEP_1)
	v_fmac_f32_e32 v9, 0x3fc90fda, v7
	v_dual_add_f32 v4, v15, v9 :: v_dual_lshrrev_b32 v7, 30, v4
	s_delay_alu instid0(VALU_DEP_1)
	v_add_nc_u32_e32 v7, v10, v7
	s_or_saveexec_b32 s0, s3
	v_mul_f32_e64 v10, 0x3f22f983, |v5|
	s_xor_b32 exec_lo, exec_lo, s0
	s_branch .LBB5_13
.LBB5_12:
	s_or_saveexec_b32 s0, s3
	v_mul_f32_e64 v10, 0x3f22f983, |v5|
	s_xor_b32 exec_lo, exec_lo, s0
.LBB5_13:
	s_delay_alu instid0(VALU_DEP_1) | instskip(NEXT) | instid1(VALU_DEP_1)
	v_rndne_f32_e32 v7, v10
	v_fma_f32 v4, 0xbfc90fda, v7, |v5|
	s_delay_alu instid0(VALU_DEP_1) | instskip(NEXT) | instid1(VALU_DEP_1)
	v_fmamk_f32 v4, v7, 0xb3a22168, v4
	v_fmamk_f32 v4, v7, 0xa7c234c4, v4
	v_cvt_i32_f32_e32 v7, v7
; %bb.14:
	s_or_b32 exec_lo, exec_lo, s0
                                        ; implicit-def: $vgpr9
                                        ; implicit-def: $vgpr8
	s_and_saveexec_b32 s0, s2
	s_delay_alu instid0(SALU_CYCLE_1)
	s_xor_b32 s2, exec_lo, s0
	s_cbranch_execz .LBB5_16
; %bb.15:
	s_mov_b32 s0, 0x7fffff
	v_mov_b32_e32 v9, 0
	v_and_or_b32 v8, v1, s0, 0x800000
	s_mov_b64 s[0:1], 0xfe5163ab
	v_add_nc_u32_e32 v3, 0xffffff88, v3
	s_delay_alu instid0(VALU_DEP_2) | instskip(NEXT) | instid1(VALU_DEP_2)
	v_mul_u64_e32 v[10:11], s[0:1], v[8:9]
	v_cmp_lt_u32_e32 vcc_lo, 63, v3
	s_delay_alu instid0(VALU_DEP_2) | instskip(SKIP_2) | instid1(VALU_DEP_3)
	v_dual_mov_b32 v12, v11 :: v_dual_mov_b32 v13, v9
	v_dual_mov_b32 v15, v9 :: v_dual_mov_b32 v17, v9
	;; [unrolled: 1-line block ×3, first 2 shown]
	v_mad_nc_u64_u32 v[12:13], 0x3c439041, v8, v[12:13]
	v_cndmask_b32_e64 v11, 0, 0xffffffc0, vcc_lo
	s_delay_alu instid0(VALU_DEP_1) | instskip(NEXT) | instid1(VALU_DEP_3)
	v_dual_mov_b32 v23, v9 :: v_dual_add_nc_u32 v3, v11, v3
	v_mov_b32_e32 v14, v13
	s_delay_alu instid0(VALU_DEP_2) | instskip(NEXT) | instid1(VALU_DEP_2)
	v_cmp_lt_u32_e64 s0, 31, v3
	v_mad_nc_u64_u32 v[14:15], 0xdb629599, v8, v[14:15]
	s_delay_alu instid0(VALU_DEP_2) | instskip(NEXT) | instid1(VALU_DEP_1)
	v_cndmask_b32_e64 v11, 0, 0xffffffe0, s0
	v_add_nc_u32_e32 v3, v11, v3
	s_delay_alu instid0(VALU_DEP_3) | instskip(NEXT) | instid1(VALU_DEP_2)
	v_mov_b32_e32 v16, v15
	v_cmp_lt_u32_e64 s1, 31, v3
	v_cndmask_b32_e32 v10, v14, v10, vcc_lo
	s_delay_alu instid0(VALU_DEP_3) | instskip(NEXT) | instid1(VALU_DEP_3)
	v_mad_nc_u64_u32 v[16:17], 0xf534ddc0, v8, v[16:17]
	v_cndmask_b32_e64 v11, 0, 0xffffffe0, s1
	s_delay_alu instid0(VALU_DEP_1) | instskip(NEXT) | instid1(VALU_DEP_3)
	v_dual_add_nc_u32 v3, v11, v3 :: v_dual_cndmask_b32 v11, v16, v12, vcc_lo
	v_mov_b32_e32 v18, v17
	s_delay_alu instid0(VALU_DEP_1) | instskip(NEXT) | instid1(VALU_DEP_1)
	v_mad_nc_u64_u32 v[18:19], 0xfc2757d1, v8, v[18:19]
	v_dual_mov_b32 v20, v19 :: v_dual_cndmask_b32 v15, v18, v14
	s_delay_alu instid0(VALU_DEP_1) | instskip(NEXT) | instid1(VALU_DEP_1)
	v_mad_nc_u64_u32 v[20:21], 0x4e441529, v8, v[20:21]
	v_dual_mov_b32 v22, v21 :: v_dual_cndmask_b32 v13, v20, v16
	s_delay_alu instid0(VALU_DEP_1) | instskip(NEXT) | instid1(VALU_DEP_1)
	v_mad_nc_u64_u32 v[8:9], 0xa2f9836e, v8, v[22:23]
	v_dual_cndmask_b32 v8, v8, v18 :: v_dual_cndmask_b32 v9, v9, v20
	v_cmp_eq_u32_e32 vcc_lo, 0, v3
	s_delay_alu instid0(VALU_DEP_2) | instskip(SKIP_2) | instid1(VALU_DEP_3)
	v_dual_cndmask_b32 v12, v8, v13, s0 :: v_dual_cndmask_b32 v8, v9, v8, s0
	v_cndmask_b32_e64 v9, v13, v15, s0
	v_sub_nc_u32_e32 v13, 32, v3
	v_dual_cndmask_b32 v15, v15, v11, s0 :: v_dual_cndmask_b32 v8, v8, v12, s1
	s_delay_alu instid0(VALU_DEP_3) | instskip(NEXT) | instid1(VALU_DEP_1)
	v_cndmask_b32_e64 v12, v12, v9, s1
	v_alignbit_b32 v16, v8, v12, v13
	s_delay_alu instid0(VALU_DEP_1) | instskip(NEXT) | instid1(VALU_DEP_1)
	v_dual_cndmask_b32 v9, v9, v15, s1 :: v_dual_cndmask_b32 v3, v16, v8, vcc_lo
	v_alignbit_b32 v14, v12, v9, v13
	v_cndmask_b32_e64 v8, v11, v10, s0
	s_delay_alu instid0(VALU_DEP_3) | instskip(NEXT) | instid1(VALU_DEP_3)
	v_bfe_u32 v11, v3, 29, 1
	v_cndmask_b32_e32 v10, v14, v12, vcc_lo
	s_delay_alu instid0(VALU_DEP_2) | instskip(NEXT) | instid1(VALU_DEP_2)
	v_dual_cndmask_b32 v8, v15, v8, s1 :: v_dual_sub_nc_u32 v14, 0, v11
	v_alignbit_b32 v12, v3, v10, 30
	s_delay_alu instid0(VALU_DEP_2) | instskip(NEXT) | instid1(VALU_DEP_1)
	v_alignbit_b32 v13, v9, v8, v13
	v_dual_cndmask_b32 v9, v13, v9, vcc_lo :: v_dual_bitop2_b32 v12, v12, v14 bitop3:0x14
	s_delay_alu instid0(VALU_DEP_1) | instskip(NEXT) | instid1(VALU_DEP_2)
	v_clz_i32_u32_e32 v13, v12
	v_alignbit_b32 v10, v10, v9, 30
	v_alignbit_b32 v8, v9, v8, 30
	s_delay_alu instid0(VALU_DEP_3) | instskip(NEXT) | instid1(VALU_DEP_3)
	v_min_u32_e32 v13, 32, v13
	v_xor_b32_e32 v9, v10, v14
	s_delay_alu instid0(VALU_DEP_3) | instskip(NEXT) | instid1(VALU_DEP_3)
	v_dual_lshrrev_b32 v14, 29, v3 :: v_dual_bitop2_b32 v8, v8, v14 bitop3:0x14
	v_dual_lshrrev_b32 v3, 30, v3 :: v_dual_sub_nc_u32 v10, 31, v13
	v_lshlrev_b32_e32 v15, 23, v13
	s_delay_alu instid0(VALU_DEP_2) | instskip(NEXT) | instid1(VALU_DEP_4)
	v_alignbit_b32 v12, v12, v9, v10
	v_alignbit_b32 v8, v9, v8, v10
	v_lshlrev_b32_e32 v9, 31, v14
	s_delay_alu instid0(VALU_DEP_2) | instskip(NEXT) | instid1(VALU_DEP_2)
	v_alignbit_b32 v10, v12, v8, 9
	v_dual_lshrrev_b32 v12, 9, v12 :: v_dual_bitop2_b32 v14, 0.5, v9 bitop3:0x54
	v_or_b32_e32 v9, 0x33000000, v9
	s_delay_alu instid0(VALU_DEP_3) | instskip(NEXT) | instid1(VALU_DEP_3)
	v_clz_i32_u32_e32 v16, v10
	v_sub_nc_u32_e32 v14, v14, v15
	s_delay_alu instid0(VALU_DEP_2) | instskip(NEXT) | instid1(VALU_DEP_1)
	v_min_u32_e32 v15, 32, v16
	v_add_lshl_u32 v13, v15, v13, 23
	s_delay_alu instid0(VALU_DEP_1) | instskip(SKIP_1) | instid1(VALU_DEP_1)
	v_dual_sub_nc_u32 v9, v9, v13 :: v_dual_bitop2_b32 v12, v12, v14 bitop3:0x54
	v_not_b32_e32 v14, v15
	v_alignbit_b32 v8, v10, v8, v14
	s_delay_alu instid0(VALU_DEP_1) | instskip(NEXT) | instid1(VALU_DEP_4)
	v_lshrrev_b32_e32 v8, 9, v8
	v_mul_f32_e32 v16, 0x3fc90fda, v12
	s_delay_alu instid0(VALU_DEP_2) | instskip(NEXT) | instid1(VALU_DEP_2)
	v_or_b32_e32 v8, v9, v8
	v_fma_f32 v10, 0x3fc90fda, v12, -v16
	s_delay_alu instid0(VALU_DEP_1) | instskip(NEXT) | instid1(VALU_DEP_1)
	v_dual_fmamk_f32 v10, v12, 0x33a22168, v10 :: v_dual_add_nc_u32 v9, v11, v3
	v_fmac_f32_e32 v10, 0x3fc90fda, v8
	s_delay_alu instid0(VALU_DEP_1)
	v_add_f32_e32 v8, v16, v10
                                        ; implicit-def: $vgpr10
	s_and_not1_saveexec_b32 s0, s2
	s_cbranch_execnz .LBB5_17
	s_branch .LBB5_18
.LBB5_16:
	s_and_not1_saveexec_b32 s0, s2
.LBB5_17:
	v_rndne_f32_e32 v3, v10
	s_delay_alu instid0(VALU_DEP_1) | instskip(SKIP_1) | instid1(VALU_DEP_2)
	v_fma_f32 v8, 0xbfc90fda, v3, |v5|
	v_cvt_i32_f32_e32 v9, v3
	v_fmamk_f32 v8, v3, 0xb3a22168, v8
	s_delay_alu instid0(VALU_DEP_1)
	v_fmamk_f32 v8, v3, 0xa7c234c4, v8
.LBB5_18:
	s_or_b32 exec_lo, exec_lo, s0
	v_ashrrev_i32_e32 v3, 31, v2
	s_lshr_b32 s0, s21, 31
	s_mov_b32 s2, 0xb94c1982
	s_add_co_i32 s0, s21, s0
	s_mov_b32 s3, 0x37d75334
	s_ashr_i32 s0, s0, 1
	v_lshl_add_u64 v[10:11], v[2:3], 1, s[12:13]
	s_ashr_i32 s1, s0, 31
	v_mul_f32_e32 v3, v8, v8
	s_lshl_b64 s[0:1], s[0:1], 1
	s_delay_alu instid0(VALU_DEP_2) | instid1(SALU_CYCLE_1)
	v_add_nc_u64_e32 v[10:11], s[0:1], v[10:11]
	s_clause 0x1
	global_load_u16 v12, v[10:11], off
	global_load_u16 v13, v2, s[12:13] scale_offset
	s_wait_xcnt 0x0
	v_dual_mul_f32 v2, v4, v4 :: v_dual_bitop2_b32 v10, 1, v7 bitop3:0x40
	v_fmaak_f32 v15, s2, v3, 0x3c0881c4
	v_lshlrev_b32_e32 v7, 30, v7
	v_fmaak_f32 v16, s3, v3, 0xbab64f3b
	s_delay_alu instid0(VALU_DEP_4) | instskip(SKIP_2) | instid1(VALU_DEP_1)
	v_fmaak_f32 v14, s3, v2, 0xbab64f3b
	v_cmp_eq_u32_e32 vcc_lo, 0, v10
	v_fmaak_f32 v15, v3, v15, 0xbe2aaa9d
	v_dual_fmaak_f32 v14, v2, v14, 0x3d2aabf7 :: v_dual_mul_f32 v15, v3, v15
	s_delay_alu instid0(VALU_DEP_1) | instskip(NEXT) | instid1(VALU_DEP_1)
	v_dual_fmaak_f32 v11, s2, v2, 0x3c0881c4 :: v_dual_fmac_f32 v8, v8, v15
	v_fmaak_f32 v11, v2, v11, 0xbe2aaa9d
	v_dual_lshlrev_b32 v9, 30, v9 :: v_dual_bitop2_b32 v17, 1, v9 bitop3:0x40
	s_delay_alu instid0(VALU_DEP_2) | instskip(SKIP_1) | instid1(VALU_DEP_3)
	v_dual_fmaak_f32 v16, v3, v16, 0x3d2aabf7 :: v_dual_mul_f32 v11, v2, v11
	v_xor_b32_e32 v1, v1, v5
	v_and_b32_e32 v9, 0x80000000, v9
	s_delay_alu instid0(VALU_DEP_3) | instskip(NEXT) | instid1(VALU_DEP_4)
	v_fmaak_f32 v16, v3, v16, 0xbf000004
	v_fmac_f32_e32 v4, v4, v11
	s_delay_alu instid0(VALU_DEP_2) | instskip(SKIP_1) | instid1(VALU_DEP_1)
	v_fma_f32 v3, v3, v16, 1.0
	v_fmaak_f32 v14, v2, v14, 0xbf000004
	v_fma_f32 v2, v2, v14, 1.0
	s_delay_alu instid0(VALU_DEP_1) | instskip(SKIP_1) | instid1(VALU_DEP_2)
	v_cndmask_b32_e64 v2, -v4, v2, vcc_lo
	v_cmp_eq_u32_e32 vcc_lo, 0, v17
	v_bitop3_b32 v2, v7, v2, 0x80000000 bitop3:0x6c
	v_cndmask_b32_e32 v3, v3, v8, vcc_lo
	v_cmp_class_f32_e64 vcc_lo, v5, 0x1f8
	s_delay_alu instid0(VALU_DEP_2)
	v_xor3_b32 v1, v1, v9, v3
	s_wait_loadcnt 0x1
	v_cvt_f32_f16_e32 v7, v12
	s_wait_loadcnt 0x0
	v_cvt_f32_f16_e32 v8, v13
	v_cndmask_b32_e32 v4, 0x7fc00000, v2, vcc_lo
	v_dual_cndmask_b32 v2, 0x7fc00000, v1 :: v_dual_ashrrev_i32 v1, 31, v0
	s_delay_alu instid0(VALU_DEP_1) | instskip(NEXT) | instid1(VALU_DEP_2)
	v_mul_f32_e32 v5, v6, v2
	v_lshl_add_u64 v[2:3], v[0:1], 1, s[14:15]
	s_delay_alu instid0(VALU_DEP_2) | instskip(SKIP_1) | instid1(VALU_DEP_3)
	v_dual_mul_f32 v1, v6, v4 :: v_dual_mul_f32 v4, v5, v7
	v_mul_f32_e32 v5, v5, v8
	v_add_nc_u64_e32 v[2:3], s[0:1], v[2:3]
	s_delay_alu instid0(VALU_DEP_3) | instskip(NEXT) | instid1(VALU_DEP_3)
	v_fma_mixlo_f16 v4, v1, v13, -v4 op_sel_hi:[0,1,0]
	v_fma_mixlo_f16 v1, v1, v12, v5 op_sel_hi:[0,1,0]
	s_clause 0x1
	global_store_b16 v0, v4, s[14:15] scale_offset
	global_store_b16 v[2:3], v1, off
.LBB5_19:
	s_endpgm
	.section	.rodata,"a",@progbits
	.p2align	6, 0x0
	.amdhsa_kernel _ZL9rope_neoxILb1ELb1E6__halfS0_EvPKT1_PT2_iiiiiiiiiiPKifff14rope_corr_dimsfPKfPKli
		.amdhsa_group_segment_fixed_size 0
		.amdhsa_private_segment_fixed_size 0
		.amdhsa_kernarg_size 368
		.amdhsa_user_sgpr_count 2
		.amdhsa_user_sgpr_dispatch_ptr 0
		.amdhsa_user_sgpr_queue_ptr 0
		.amdhsa_user_sgpr_kernarg_segment_ptr 1
		.amdhsa_user_sgpr_dispatch_id 0
		.amdhsa_user_sgpr_kernarg_preload_length 0
		.amdhsa_user_sgpr_kernarg_preload_offset 0
		.amdhsa_user_sgpr_private_segment_size 0
		.amdhsa_wavefront_size32 1
		.amdhsa_uses_dynamic_stack 0
		.amdhsa_enable_private_segment 0
		.amdhsa_system_sgpr_workgroup_id_x 1
		.amdhsa_system_sgpr_workgroup_id_y 1
		.amdhsa_system_sgpr_workgroup_id_z 0
		.amdhsa_system_sgpr_workgroup_info 0
		.amdhsa_system_vgpr_workitem_id 1
		.amdhsa_next_free_vgpr 24
		.amdhsa_next_free_sgpr 22
		.amdhsa_named_barrier_count 0
		.amdhsa_reserve_vcc 1
		.amdhsa_float_round_mode_32 0
		.amdhsa_float_round_mode_16_64 0
		.amdhsa_float_denorm_mode_32 3
		.amdhsa_float_denorm_mode_16_64 3
		.amdhsa_fp16_overflow 0
		.amdhsa_memory_ordered 1
		.amdhsa_forward_progress 1
		.amdhsa_inst_pref_size 38
		.amdhsa_round_robin_scheduling 0
		.amdhsa_exception_fp_ieee_invalid_op 0
		.amdhsa_exception_fp_denorm_src 0
		.amdhsa_exception_fp_ieee_div_zero 0
		.amdhsa_exception_fp_ieee_overflow 0
		.amdhsa_exception_fp_ieee_underflow 0
		.amdhsa_exception_fp_ieee_inexact 0
		.amdhsa_exception_int_div_zero 0
	.end_amdhsa_kernel
	.section	.text._ZL9rope_neoxILb1ELb1E6__halfS0_EvPKT1_PT2_iiiiiiiiiiPKifff14rope_corr_dimsfPKfPKli,"axG",@progbits,_ZL9rope_neoxILb1ELb1E6__halfS0_EvPKT1_PT2_iiiiiiiiiiPKifff14rope_corr_dimsfPKfPKli,comdat
.Lfunc_end5:
	.size	_ZL9rope_neoxILb1ELb1E6__halfS0_EvPKT1_PT2_iiiiiiiiiiPKifff14rope_corr_dimsfPKfPKli, .Lfunc_end5-_ZL9rope_neoxILb1ELb1E6__halfS0_EvPKT1_PT2_iiiiiiiiiiPKifff14rope_corr_dimsfPKfPKli
                                        ; -- End function
	.set _ZL9rope_neoxILb1ELb1E6__halfS0_EvPKT1_PT2_iiiiiiiiiiPKifff14rope_corr_dimsfPKfPKli.num_vgpr, 24
	.set _ZL9rope_neoxILb1ELb1E6__halfS0_EvPKT1_PT2_iiiiiiiiiiPKifff14rope_corr_dimsfPKfPKli.num_agpr, 0
	.set _ZL9rope_neoxILb1ELb1E6__halfS0_EvPKT1_PT2_iiiiiiiiiiPKifff14rope_corr_dimsfPKfPKli.numbered_sgpr, 22
	.set _ZL9rope_neoxILb1ELb1E6__halfS0_EvPKT1_PT2_iiiiiiiiiiPKifff14rope_corr_dimsfPKfPKli.num_named_barrier, 0
	.set _ZL9rope_neoxILb1ELb1E6__halfS0_EvPKT1_PT2_iiiiiiiiiiPKifff14rope_corr_dimsfPKfPKli.private_seg_size, 0
	.set _ZL9rope_neoxILb1ELb1E6__halfS0_EvPKT1_PT2_iiiiiiiiiiPKifff14rope_corr_dimsfPKfPKli.uses_vcc, 1
	.set _ZL9rope_neoxILb1ELb1E6__halfS0_EvPKT1_PT2_iiiiiiiiiiPKifff14rope_corr_dimsfPKfPKli.uses_flat_scratch, 0
	.set _ZL9rope_neoxILb1ELb1E6__halfS0_EvPKT1_PT2_iiiiiiiiiiPKifff14rope_corr_dimsfPKfPKli.has_dyn_sized_stack, 0
	.set _ZL9rope_neoxILb1ELb1E6__halfS0_EvPKT1_PT2_iiiiiiiiiiPKifff14rope_corr_dimsfPKfPKli.has_recursion, 0
	.set _ZL9rope_neoxILb1ELb1E6__halfS0_EvPKT1_PT2_iiiiiiiiiiPKifff14rope_corr_dimsfPKfPKli.has_indirect_call, 0
	.section	.AMDGPU.csdata,"",@progbits
; Kernel info:
; codeLenInByte = 4800
; TotalNumSgprs: 24
; NumVgprs: 24
; ScratchSize: 0
; MemoryBound: 0
; FloatMode: 240
; IeeeMode: 1
; LDSByteSize: 0 bytes/workgroup (compile time only)
; SGPRBlocks: 0
; VGPRBlocks: 1
; NumSGPRsForWavesPerEU: 24
; NumVGPRsForWavesPerEU: 24
; NamedBarCnt: 0
; Occupancy: 16
; WaveLimiterHint : 0
; COMPUTE_PGM_RSRC2:SCRATCH_EN: 0
; COMPUTE_PGM_RSRC2:USER_SGPR: 2
; COMPUTE_PGM_RSRC2:TRAP_HANDLER: 0
; COMPUTE_PGM_RSRC2:TGID_X_EN: 1
; COMPUTE_PGM_RSRC2:TGID_Y_EN: 1
; COMPUTE_PGM_RSRC2:TGID_Z_EN: 0
; COMPUTE_PGM_RSRC2:TIDIG_COMP_CNT: 1
	.section	.text._ZL10rope_multiILb1ELb0EfEvPKT1_PS0_iiiiiiiiiiPKifff14rope_corr_dimsfPKf14mrope_sectionsb,"axG",@progbits,_ZL10rope_multiILb1ELb0EfEvPKT1_PS0_iiiiiiiiiiPKifff14rope_corr_dimsfPKf14mrope_sectionsb,comdat
	.globl	_ZL10rope_multiILb1ELb0EfEvPKT1_PS0_iiiiiiiiiiPKifff14rope_corr_dimsfPKf14mrope_sectionsb ; -- Begin function _ZL10rope_multiILb1ELb0EfEvPKT1_PS0_iiiiiiiiiiPKifff14rope_corr_dimsfPKf14mrope_sectionsb
	.p2align	8
	.type	_ZL10rope_multiILb1ELb0EfEvPKT1_PS0_iiiiiiiiiiPKifff14rope_corr_dimsfPKf14mrope_sectionsb,@function
_ZL10rope_multiILb1ELb0EfEvPKT1_PS0_iiiiiiiiiiPKifff14rope_corr_dimsfPKf14mrope_sectionsb: ; @_ZL10rope_multiILb1ELb0EfEvPKT1_PS0_iiiiiiiiiiPKifff14rope_corr_dimsfPKf14mrope_sectionsb
; %bb.0:
	s_clause 0x1
	s_load_u16 s3, s[0:1], 0x86
	s_load_b256 s[4:11], s[0:1], 0x10
	s_bfe_u32 s2, ttmp6, 0x40010
	s_bfe_u32 s13, ttmp6, 0x40004
	s_add_co_i32 s2, s2, 1
	v_bfe_u32 v1, v0, 10, 10
	s_mul_i32 s12, ttmp7, s2
	s_getreg_b32 s2, hwreg(HW_REG_IB_STS2, 6, 4)
	s_add_co_i32 s13, s13, s12
	s_cmp_eq_u32 s2, 0
	s_cselect_b32 s12, ttmp7, s13
	s_wait_kmcnt 0x0
	s_mul_i32 s12, s12, s3
	s_mov_b32 s3, exec_lo
	v_add_lshl_u32 v4, s12, v1, 1
	s_delay_alu instid0(VALU_DEP_1)
	v_cmpx_gt_i32_e64 s4, v4
	s_cbranch_execz .LBB6_44
; %bb.1:
	s_add_nc_u64 s[12:13], s[0:1], 0x78
	s_bfe_u32 s4, ttmp6, 0x4000c
	s_load_b32 s3, s[12:13], 0xc
	s_add_co_i32 s4, s4, 1
	s_wait_xcnt 0x0
	s_and_b32 s12, ttmp6, 15
	s_mul_i32 s4, ttmp9, s4
	v_and_b32_e32 v0, 0x3ff, v0
	s_add_co_i32 s12, s12, s4
	s_wait_kmcnt 0x0
	s_and_b32 s3, s3, 0xffff
	s_cmp_eq_u32 s2, 0
	s_mul_i32 s2, s6, s5
	s_cselect_b32 s4, ttmp9, s12
	s_abs_i32 s12, s2
	v_mad_u32 v0, s4, s3, v0
	s_cvt_f32_u32 s13, s12
	s_sub_co_i32 s4, 0, s12
	s_delay_alu instid0(SALU_CYCLE_2) | instskip(SKIP_1) | instid1(TRANS32_DEP_1)
	v_rcp_iflag_f32_e32 v1, s13
	v_nop
	v_readfirstlane_b32 s3, v1
	s_delay_alu instid0(VALU_DEP_3) | instskip(SKIP_1) | instid1(VALU_DEP_1)
	v_sub_nc_u32_e32 v1, 0, v0
	s_mul_f32 s3, s3, 0x4f7ffffe
	v_max_i32_e32 v1, v0, v1
	s_delay_alu instid0(SALU_CYCLE_2) | instskip(NEXT) | instid1(SALU_CYCLE_3)
	s_cvt_u32_f32 s3, s3
	s_mul_i32 s4, s4, s3
	s_delay_alu instid0(SALU_CYCLE_1) | instskip(NEXT) | instid1(SALU_CYCLE_1)
	s_mul_hi_u32 s4, s3, s4
	s_add_co_i32 s3, s3, s4
	s_delay_alu instid0(SALU_CYCLE_1) | instskip(SKIP_1) | instid1(VALU_DEP_1)
	v_mul_hi_u32 v2, v1, s3
	s_cvt_f32_u32 s3, s5
	v_mul_lo_u32 v3, v2, s12
	s_delay_alu instid0(VALU_DEP_1) | instskip(NEXT) | instid1(VALU_DEP_1)
	v_dual_sub_nc_u32 v1, v1, v3 :: v_dual_add_nc_u32 v3, 1, v2
	v_cmp_le_u32_e32 vcc_lo, s12, v1
	s_delay_alu instid0(VALU_DEP_2) | instskip(SKIP_1) | instid1(VALU_DEP_1)
	v_dual_cndmask_b32 v2, v2, v3, vcc_lo :: v_dual_bitop2_b32 v3, s2, v0 bitop3:0x14
	v_subrev_nc_u32_e32 v5, s12, v1
	v_dual_cndmask_b32 v1, v1, v5, vcc_lo :: v_dual_add_nc_u32 v5, 1, v2
	s_delay_alu instid0(VALU_DEP_1) | instskip(NEXT) | instid1(VALU_DEP_4)
	v_cmp_le_u32_e32 vcc_lo, s12, v1
	v_ashrrev_i32_e32 v3, 31, v3
	s_load_b128 s[12:15], s[0:1], 0x0
	s_delay_alu instid0(VALU_DEP_3) | instskip(SKIP_1) | instid1(VALU_DEP_1)
	v_cndmask_b32_e32 v1, v2, v5, vcc_lo
	v_rcp_iflag_f32_e32 v2, s3
	v_xor_b32_e32 v1, v1, v3
	s_delay_alu instid0(TRANS32_DEP_1) | instskip(NEXT) | instid1(VALU_DEP_2)
	v_readfirstlane_b32 s3, v2
	v_sub_nc_u32_e32 v3, v1, v3
	s_delay_alu instid0(VALU_DEP_1) | instskip(SKIP_2) | instid1(SALU_CYCLE_2)
	v_mul_lo_u32 v1, s2, v3
	s_mul_f32 s2, s3, 0x4f7ffffe
	s_sub_co_i32 s3, 0, s5
	s_cvt_u32_f32 s2, s2
	s_delay_alu instid0(SALU_CYCLE_3) | instskip(NEXT) | instid1(VALU_DEP_1)
	s_mul_i32 s3, s3, s2
	v_sub_nc_u32_e32 v0, v0, v1
	s_mul_hi_u32 s3, s2, s3
	s_delay_alu instid0(SALU_CYCLE_1)
	s_add_co_i32 s2, s2, s3
	s_delay_alu instid0(VALU_DEP_1) | instid1(SALU_CYCLE_1)
	v_mul_hi_u32 v1, v0, s2
	s_load_b64 s[2:3], s[0:1], 0x30
	s_delay_alu instid0(VALU_DEP_1) | instskip(NEXT) | instid1(VALU_DEP_1)
	v_mul_lo_u32 v2, v1, s5
	v_dual_add_nc_u32 v5, 1, v1 :: v_dual_sub_nc_u32 v2, v0, v2
	s_delay_alu instid0(VALU_DEP_1) | instskip(SKIP_1) | instid1(VALU_DEP_2)
	v_subrev_nc_u32_e32 v6, s5, v2
	v_cmp_le_u32_e32 vcc_lo, s5, v2
	v_dual_cndmask_b32 v5, v1, v5 :: v_dual_cndmask_b32 v2, v2, v6
	s_delay_alu instid0(VALU_DEP_1) | instskip(NEXT) | instid1(VALU_DEP_2)
	v_dual_ashrrev_i32 v1, 1, v4 :: v_dual_add_nc_u32 v6, 1, v5
	v_cmp_le_u32_e32 vcc_lo, s5, v2
	s_wait_kmcnt 0x0
	s_delay_alu instid0(VALU_DEP_2) | instskip(SKIP_3) | instid1(VALU_DEP_1)
	v_mad_u32 v7, v3, s2, v1
	v_mad_u32 v8, v3, s9, v1
	s_mov_b32 s2, exec_lo
	v_cndmask_b32_e32 v3, v5, v6, vcc_lo
	v_mul_lo_u32 v2, v3, s5
	s_delay_alu instid0(VALU_DEP_4) | instskip(NEXT) | instid1(VALU_DEP_4)
	v_mad_u32 v5, v3, s11, v7
	v_mad_u32 v6, v3, s8, v8
	s_delay_alu instid0(VALU_DEP_3) | instskip(NEXT) | instid1(VALU_DEP_1)
	v_sub_nc_u32_e32 v2, v0, v2
	v_mad_u32 v0, v2, s10, v5
	s_delay_alu instid0(VALU_DEP_3)
	v_mad_u32 v2, v2, s7, v6
	v_cmpx_le_i32_e64 s3, v4
	s_xor_b32 s2, exec_lo, s2
	s_cbranch_execz .LBB6_3
; %bb.2:
	s_delay_alu instid0(VALU_DEP_2)
	v_dual_add_nc_u32 v2, v2, v1 :: v_dual_add_nc_u32 v0, v0, v1
                                        ; implicit-def: $vgpr4
	global_load_b32 v3, v2, s[12:13] scale_offset
	s_wait_loadcnt 0x0
	global_store_b32 v0, v3, s[14:15] scale_offset
	global_load_b32 v1, v2, s[12:13] offset:4 scale_offset
                                        ; implicit-def: $vgpr2
                                        ; implicit-def: $vgpr3
	s_wait_loadcnt 0x0
	global_store_b32 v0, v1, s[14:15] offset:4 scale_offset
                                        ; implicit-def: $vgpr0
                                        ; implicit-def: $vgpr1
.LBB6_3:
	s_wait_xcnt 0x0
	s_and_not1_saveexec_b32 s2, s2
	s_cbranch_execz .LBB6_44
; %bb.4:
	s_load_b128 s[16:19], s[0:1], 0x60
	v_ashrrev_i32_e32 v7, 31, v1
	s_wait_kmcnt 0x0
	s_add_co_i32 s2, s17, s16
	s_delay_alu instid0(SALU_CYCLE_1) | instskip(NEXT) | instid1(SALU_CYCLE_1)
	s_add_co_i32 s22, s2, s18
	s_add_co_i32 s4, s22, s19
	s_load_b32 s19, s[0:1], 0x70
	s_abs_i32 s7, s4
	s_delay_alu instid0(SALU_CYCLE_1) | instskip(SKIP_1) | instid1(SALU_CYCLE_2)
	s_cvt_f32_u32 s4, s7
	s_sub_co_i32 s5, 0, s7
	v_rcp_iflag_f32_e32 v5, s4
	v_nop
	s_delay_alu instid0(TRANS32_DEP_1) | instskip(SKIP_2) | instid1(VALU_DEP_1)
	v_readfirstlane_b32 s4, v5
	v_sub_nc_u32_e32 v5, 0, v1
	s_mul_f32 s4, s4, 0x4f7ffffe
	v_max_i32_e32 v5, v1, v5
	s_delay_alu instid0(SALU_CYCLE_2) | instskip(NEXT) | instid1(SALU_CYCLE_3)
	s_cvt_u32_f32 s4, s4
	s_mul_i32 s5, s5, s4
	s_delay_alu instid0(SALU_CYCLE_1) | instskip(NEXT) | instid1(SALU_CYCLE_1)
	s_mul_hi_u32 s5, s4, s5
	s_add_co_i32 s4, s4, s5
	s_delay_alu instid0(SALU_CYCLE_1)
	v_mul_hi_u32 v6, v5, s4
	s_clause 0x2
	s_load_b64 s[4:5], s[0:1], 0x50
	s_load_b64 s[20:21], s[0:1], 0x38
	s_load_b128 s[8:11], s[0:1], 0x40
	s_wait_kmcnt 0x0
	s_and_b32 s0, s19, 1
	s_delay_alu instid0(SALU_CYCLE_1) | instskip(NEXT) | instid1(VALU_DEP_1)
	s_cmp_eq_u32 s0, 0
	v_mul_lo_u32 v6, v6, s7
	s_delay_alu instid0(VALU_DEP_1) | instskip(NEXT) | instid1(VALU_DEP_1)
	v_sub_nc_u32_e32 v5, v5, v6
	v_subrev_nc_u32_e32 v6, s7, v5
	v_cmp_le_u32_e32 vcc_lo, s7, v5
	s_delay_alu instid0(VALU_DEP_2) | instskip(NEXT) | instid1(VALU_DEP_1)
	v_cndmask_b32_e32 v5, v5, v6, vcc_lo
	v_subrev_nc_u32_e32 v6, s7, v5
	v_cmp_le_u32_e32 vcc_lo, s7, v5
	s_delay_alu instid0(VALU_DEP_2) | instskip(NEXT) | instid1(VALU_DEP_1)
	v_cndmask_b32_e32 v5, v5, v6, vcc_lo
	v_xor_b32_e32 v5, v5, v7
	s_delay_alu instid0(VALU_DEP_1)
	v_sub_nc_u32_e32 v5, v5, v7
	s_cbranch_scc0 .LBB6_20
; %bb.5:
                                        ; implicit-def: $vgpr6
	s_mov_b32 s0, exec_lo
	s_delay_alu instid0(VALU_DEP_1)
	v_cmpx_le_i32_e64 s16, v5
	s_xor_b32 s7, exec_lo, s0
	s_cbranch_execz .LBB6_15
; %bb.6:
                                        ; implicit-def: $vgpr6
	s_mov_b32 s0, exec_lo
	v_cmpx_le_i32_e64 s2, v5
	s_xor_b32 s19, exec_lo, s0
	s_cbranch_execz .LBB6_12
; %bb.7:
	v_cvt_f32_i32_e32 v6, v4
	s_cmp_neq_f32 s5, 1.0
	s_mov_b32 s0, 0x3e76c4e1
	s_cselect_b32 vcc_lo, -1, 0
	s_delay_alu instid0(VALU_DEP_1) | instskip(NEXT) | instid1(VALU_DEP_1)
	v_mul_f32_e32 v6, 0.5, v6
	v_cndmask_b32_e32 v7, 1.0, v6, vcc_lo
	s_delay_alu instid0(VALU_DEP_1) | instskip(SKIP_1) | instid1(VALU_DEP_1)
	v_cmp_neq_f32_e32 vcc_lo, 0, v7
	v_cndmask_b32_e64 v6, 1.0, s5, vcc_lo
	v_frexp_mant_f32_e64 v8, |v6|
	v_cmp_lt_f32_e64 s24, |v6|, 1.0
	v_cmp_eq_f32_e64 s2, 0, v6
	s_delay_alu instid0(VALU_DEP_3) | instskip(SKIP_1) | instid1(VALU_DEP_1)
	v_cmp_gt_f32_e32 vcc_lo, 0x3f2aaaab, v8
	v_cndmask_b32_e64 v9, 1.0, 2.0, vcc_lo
	v_mul_f32_e32 v8, v8, v9
	s_delay_alu instid0(VALU_DEP_1) | instskip(SKIP_1) | instid1(VALU_DEP_2)
	v_dual_add_f32 v11, 1.0, v8 :: v_dual_add_f32 v9, -1.0, v8
	v_cmp_neq_f32_e64 s23, v7, |v7|
	v_rcp_f32_e32 v14, v11
	v_add_f32_e32 v12, -1.0, v11
	s_xor_b32 s23, s23, s24
	s_delay_alu instid0(TRANS32_DEP_1) | instid1(VALU_DEP_1)
	v_dual_sub_f32 v8, v8, v12 :: v_dual_mul_f32 v15, v9, v14
	s_delay_alu instid0(VALU_DEP_1) | instskip(NEXT) | instid1(VALU_DEP_1)
	v_mul_f32_e32 v10, v11, v15
	v_fma_f32 v12, v15, v11, -v10
	s_delay_alu instid0(VALU_DEP_1) | instskip(NEXT) | instid1(VALU_DEP_1)
	v_fmac_f32_e32 v12, v15, v8
	v_add_f32_e32 v8, v10, v12
	s_delay_alu instid0(VALU_DEP_1) | instskip(NEXT) | instid1(VALU_DEP_1)
	v_dual_sub_f32 v11, v9, v8 :: v_dual_mov_b32 v13, v8
	v_pk_add_f32 v[8:9], v[8:9], v[10:11] neg_lo:[0,1] neg_hi:[0,1]
	s_delay_alu instid0(VALU_DEP_1) | instskip(NEXT) | instid1(VALU_DEP_1)
	v_pk_add_f32 v[8:9], v[8:9], v[12:13] neg_lo:[0,1] neg_hi:[0,1]
	v_add_f32_e32 v8, v8, v9
	s_delay_alu instid0(VALU_DEP_1) | instskip(NEXT) | instid1(VALU_DEP_1)
	v_add_f32_e32 v8, v11, v8
	v_mul_f32_e32 v9, v14, v8
	s_delay_alu instid0(VALU_DEP_1) | instskip(NEXT) | instid1(VALU_DEP_1)
	v_add_f32_e32 v8, v15, v9
	v_sub_f32_e32 v10, v8, v15
	s_delay_alu instid0(VALU_DEP_1) | instskip(NEXT) | instid1(VALU_DEP_1)
	v_sub_f32_e32 v20, v9, v10
	v_add_f32_e32 v10, v20, v20
	v_mul_f32_e32 v11, v8, v8
	s_delay_alu instid0(VALU_DEP_1) | instskip(NEXT) | instid1(VALU_DEP_1)
	v_fma_f32 v9, v8, v8, -v11
	v_fmac_f32_e32 v9, v8, v10
	s_delay_alu instid0(VALU_DEP_1) | instskip(NEXT) | instid1(VALU_DEP_1)
	v_add_f32_e32 v10, v11, v9
	v_dual_fmaak_f32 v12, s0, v10, 0x3e91f4c4 :: v_dual_sub_f32 v11, v10, v11
	s_delay_alu instid0(VALU_DEP_1) | instskip(SKIP_1) | instid1(VALU_DEP_2)
	v_fmaak_f32 v14, v10, v12, 0x3ecccdef
	v_cvt_f64_f32_e64 v[12:13], |v6|
	v_dual_sub_f32 v18, v9, v11 :: v_dual_mul_f32 v15, v10, v14
	s_delay_alu instid0(VALU_DEP_1) | instskip(NEXT) | instid1(VALU_DEP_1)
	v_fma_f32 v9, v10, v14, -v15
	v_fmac_f32_e32 v9, v18, v14
	s_delay_alu instid0(VALU_DEP_1) | instskip(NEXT) | instid1(VALU_DEP_1)
	v_add_f32_e32 v11, v15, v9
	v_sub_f32_e32 v14, v11, v15
	v_add_f32_e32 v15, 0x3f2aaaaa, v11
	s_delay_alu instid0(VALU_DEP_1) | instskip(SKIP_1) | instid1(VALU_DEP_2)
	v_dual_sub_f32 v9, v9, v14 :: v_dual_add_f32 v14, 0xbf2aaaaa, v15
	v_frexp_exp_i32_f64_e32 v19, v[12:13]
	v_sub_f32_e32 v11, v11, v14
	s_delay_alu instid0(VALU_DEP_3) | instskip(NEXT) | instid1(VALU_DEP_1)
	v_add_f32_e32 v9, 0x31739010, v9
	v_pk_mul_f32 v[12:13], v[8:9], v[10:11]
	s_delay_alu instid0(VALU_DEP_1) | instskip(NEXT) | instid1(VALU_DEP_1)
	v_fma_f32 v14, v10, v8, -v12
	v_fmac_f32_e32 v14, v10, v20
	s_delay_alu instid0(VALU_DEP_1) | instskip(SKIP_1) | instid1(VALU_DEP_1)
	v_fmac_f32_e32 v14, v18, v8
	v_pk_add_f32 v[16:17], v[8:9], v[10:11]
	v_mov_b32_e32 v13, v17
	v_subrev_co_ci_u32_e64 v9, null, 0, v19, vcc_lo
	s_delay_alu instid0(VALU_DEP_2) | instskip(NEXT) | instid1(VALU_DEP_2)
	v_pk_add_f32 v[10:11], v[12:13], v[14:15]
	v_cvt_f32_i32_e32 v9, v9
	s_delay_alu instid0(VALU_DEP_2) | instskip(NEXT) | instid1(VALU_DEP_3)
	v_mov_b32_e32 v16, v11
	v_dual_sub_f32 v13, v15, v11 :: v_dual_sub_f32 v15, v10, v12
	s_delay_alu instid0(VALU_DEP_2) | instskip(NEXT) | instid1(VALU_DEP_2)
	v_pk_mul_f32 v[18:19], v[10:11], v[16:17]
	v_dual_add_f32 v13, v17, v13 :: v_dual_sub_f32 v14, v14, v15
	s_delay_alu instid0(VALU_DEP_2) | instskip(NEXT) | instid1(VALU_DEP_1)
	v_fma_f32 v12, v10, v11, -v18
	v_fmac_f32_e32 v12, v10, v13
	s_delay_alu instid0(VALU_DEP_1) | instskip(SKIP_2) | instid1(VALU_DEP_3)
	v_fmac_f32_e32 v12, v14, v11
	v_mul_f32_e32 v16, 0x3f317218, v9
	v_ldexp_f32 v11, v8, 1
	v_add_f32_e32 v17, v18, v12
	s_delay_alu instid0(VALU_DEP_3) | instskip(NEXT) | instid1(VALU_DEP_2)
	v_fma_f32 v10, 0x3f317218, v9, -v16
	v_dual_mov_b32 v19, v11 :: v_dual_mov_b32 v14, v17
	s_delay_alu instid0(VALU_DEP_2) | instskip(NEXT) | instid1(VALU_DEP_1)
	v_fmamk_f32 v10, v9, 0xb102e308, v10
	v_pk_add_f32 v[8:9], v[16:17], v[10:11]
	v_mov_b32_e32 v13, v17
	v_ldexp_f32 v11, v20, 1
	s_delay_alu instid0(VALU_DEP_3) | instskip(NEXT) | instid1(VALU_DEP_1)
	v_dual_mov_b32 v15, v9 :: v_dual_mov_b32 v22, v9
	v_pk_add_f32 v[14:15], v[14:15], v[18:19] neg_lo:[0,1] neg_hi:[0,1]
	s_delay_alu instid0(VALU_DEP_1) | instskip(NEXT) | instid1(VALU_DEP_1)
	v_pk_add_f32 v[12:13], v[12:13], v[14:15] neg_lo:[0,1] neg_hi:[0,1]
	v_add_f32_e32 v11, v11, v12
	s_delay_alu instid0(VALU_DEP_1) | instskip(NEXT) | instid1(VALU_DEP_1)
	v_dual_add_f32 v17, v11, v13 :: v_dual_mov_b32 v11, v8
	v_pk_add_f32 v[12:13], v[8:9], v[16:17]
	v_pk_add_f32 v[14:15], v[8:9], v[16:17] neg_lo:[0,1] neg_hi:[0,1]
	s_delay_alu instid0(VALU_DEP_2) | instskip(NEXT) | instid1(VALU_DEP_1)
	v_mov_b32_e32 v15, v13
	v_pk_add_f32 v[18:19], v[10:11], v[14:15]
	v_pk_add_f32 v[10:11], v[10:11], v[14:15] neg_lo:[0,1] neg_hi:[0,1]
	s_delay_alu instid0(VALU_DEP_2) | instskip(NEXT) | instid1(VALU_DEP_1)
	v_dual_mov_b32 v16, v19 :: v_dual_mov_b32 v11, v19
	v_pk_add_f32 v[20:21], v[16:17], v[8:9] neg_lo:[0,1] neg_hi:[0,1]
	v_dual_mov_b32 v18, v13 :: v_dual_mov_b32 v9, v8
	s_delay_alu instid0(VALU_DEP_2) | instskip(SKIP_1) | instid1(VALU_DEP_2)
	v_dual_mov_b32 v8, v17 :: v_dual_mov_b32 v23, v20
	v_mov_b32_e32 v17, v20
	v_pk_add_f32 v[14:15], v[18:19], v[22:23] neg_lo:[0,1] neg_hi:[0,1]
	s_delay_alu instid0(VALU_DEP_2) | instskip(SKIP_1) | instid1(VALU_DEP_3)
	v_pk_add_f32 v[12:13], v[12:13], v[16:17] neg_lo:[0,1] neg_hi:[0,1]
	v_mov_b32_e32 v12, v10
	v_pk_add_f32 v[8:9], v[8:9], v[14:15] neg_lo:[0,1] neg_hi:[0,1]
	s_delay_alu instid0(VALU_DEP_1) | instskip(NEXT) | instid1(VALU_DEP_1)
	v_pk_add_f32 v[12:13], v[12:13], v[8:9]
	v_mov_b32_e32 v14, v13
	s_delay_alu instid0(VALU_DEP_1) | instskip(NEXT) | instid1(VALU_DEP_1)
	v_pk_add_f32 v[14:15], v[12:13], v[14:15]
	v_pk_add_f32 v[16:17], v[16:17], v[14:15]
	s_delay_alu instid0(VALU_DEP_1) | instskip(NEXT) | instid1(VALU_DEP_1)
	v_dual_mov_b32 v9, v14 :: v_dual_mov_b32 v13, v16
	v_pk_add_f32 v[18:19], v[12:13], v[10:11] neg_lo:[0,1] neg_hi:[0,1]
	s_delay_alu instid0(VALU_DEP_1) | instskip(NEXT) | instid1(VALU_DEP_2)
	v_sub_f32_e32 v11, v12, v18
	v_pk_add_f32 v[8:9], v[8:9], v[18:19] neg_lo:[0,1] neg_hi:[0,1]
	s_delay_alu instid0(VALU_DEP_2) | instskip(NEXT) | instid1(VALU_DEP_1)
	v_sub_f32_e32 v10, v10, v11
	v_add_f32_e32 v8, v8, v10
	s_delay_alu instid0(VALU_DEP_1) | instskip(NEXT) | instid1(VALU_DEP_1)
	v_add_f32_e32 v8, v8, v9
	v_add_f32_e32 v9, v16, v8
	s_delay_alu instid0(VALU_DEP_1) | instskip(NEXT) | instid1(VALU_DEP_1)
	v_dual_sub_f32 v10, v9, v16 :: v_dual_mul_f32 v11, v7, v9
	v_dual_sub_f32 v8, v8, v10 :: v_dual_fma_f32 v9, v7, v9, -v11
	v_cmp_class_f32_e64 vcc_lo, v11, 0x204
	s_delay_alu instid0(VALU_DEP_2) | instskip(NEXT) | instid1(VALU_DEP_1)
	v_fmac_f32_e32 v9, v7, v8
	v_add_f32_e32 v8, v11, v9
	s_delay_alu instid0(VALU_DEP_1) | instskip(NEXT) | instid1(VALU_DEP_1)
	v_cndmask_b32_e32 v10, v8, v11, vcc_lo
	v_cmp_eq_f32_e32 vcc_lo, 0x42b17218, v10
	v_cndmask_b32_e64 v12, 0, 0x37000000, vcc_lo
	v_cmp_neq_f32_e64 vcc_lo, 0x7f800000, |v10|
	s_delay_alu instid0(VALU_DEP_2) | instskip(SKIP_1) | instid1(VALU_DEP_2)
	v_dual_sub_f32 v13, v10, v12 :: v_dual_sub_f32 v8, v8, v11
	v_trunc_f32_e32 v10, v7
	v_mul_f32_e32 v14, 0x3fb8aa3b, v13
	s_delay_alu instid0(VALU_DEP_3) | instskip(NEXT) | instid1(VALU_DEP_2)
	v_sub_f32_e32 v8, v9, v8
	v_fma_f32 v15, 0x3fb8aa3b, v13, -v14
	v_rndne_f32_e32 v16, v14
	s_delay_alu instid0(VALU_DEP_3) | instskip(SKIP_1) | instid1(VALU_DEP_3)
	v_cndmask_b32_e32 v8, 0, v8, vcc_lo
	v_cmp_ngt_f32_e32 vcc_lo, 0xc2ce8ed0, v13
	v_dual_fmamk_f32 v15, v13, 0x32a5705f, v15 :: v_dual_sub_f32 v14, v14, v16
	s_delay_alu instid0(VALU_DEP_1) | instskip(NEXT) | instid1(VALU_DEP_1)
	v_add_f32_e32 v14, v14, v15
	v_exp_f32_e32 v11, v14
	v_nop
	v_cvt_i32_f32_e32 v14, v16
	s_delay_alu instid0(TRANS32_DEP_1) | instid1(VALU_DEP_1)
	v_ldexp_f32 v9, v11, v14
	s_delay_alu instid0(VALU_DEP_1) | instskip(NEXT) | instid1(VALU_DEP_1)
	v_dual_mul_f32 v11, 0.5, v7 :: v_dual_cndmask_b32 v9, 0, v9, vcc_lo
	v_trunc_f32_e32 v14, v11
	v_cmp_nlt_f32_e32 vcc_lo, 0x42b17218, v13
	v_add_f32_e32 v8, v12, v8
	s_delay_alu instid0(VALU_DEP_3) | instskip(SKIP_2) | instid1(VALU_DEP_2)
	v_cmp_neq_f32_e64 s0, v14, v11
	v_cndmask_b32_e32 v9, 0x7f800000, v9, vcc_lo
	v_cmp_eq_f32_e32 vcc_lo, v10, v7
	v_cmp_class_f32_e64 s1, v9, 0x204
	s_and_b32 s0, vcc_lo, s0
	s_delay_alu instid0(SALU_CYCLE_1) | instskip(NEXT) | instid1(VALU_DEP_1)
	v_dual_fma_f32 v8, v9, v8, v9 :: v_dual_cndmask_b32 v10, 1.0, v6, s0
	v_cndmask_b32_e64 v8, v8, v9, s1
	v_cndmask_b32_e64 v9, 0x7f800000, 0, s23
	v_cmp_gt_f32_e64 s1, 0, v7
	s_delay_alu instid0(VALU_DEP_3) | instskip(SKIP_1) | instid1(SALU_CYCLE_1)
	v_bfi_b32 v8, 0x7fffffff, v8, v10
	s_xor_b32 s1, s1, s2
	v_cndmask_b32_e64 v11, 0x7f800000, 0, s1
	s_delay_alu instid0(VALU_DEP_2) | instskip(SKIP_3) | instid1(VALU_DEP_4)
	v_cndmask_b32_e32 v10, 0x7fc00000, v8, vcc_lo
	v_cmp_neq_f32_e64 vcc_lo, |v6|, 1.0
	v_cndmask_b32_e32 v9, 1.0, v9, vcc_lo
	v_cmp_gt_f32_e32 vcc_lo, 0, v6
	v_cndmask_b32_e32 v8, v8, v10, vcc_lo
	v_cmp_class_f32_e64 vcc_lo, v7, 0x204
	v_cndmask_b32_e64 v10, 0, v6, s0
	v_cmp_class_f32_e64 s0, v6, 0x204
	s_delay_alu instid0(VALU_DEP_4) | instskip(NEXT) | instid1(VALU_DEP_3)
	v_cndmask_b32_e32 v7, v8, v9, vcc_lo
	v_bfi_b32 v8, 0x7fffffff, v11, v10
	s_or_b32 vcc_lo, s2, s0
	v_cmp_o_f32_e64 s0, v6, v6
                                        ; implicit-def: $vgpr6
	s_delay_alu instid0(VALU_DEP_2) | instskip(NEXT) | instid1(VALU_DEP_1)
	v_cndmask_b32_e32 v7, v7, v8, vcc_lo
	v_cndmask_b32_e64 v7, 0x7fc00000, v7, s0
	s_mov_b32 s0, exec_lo
	v_cmpx_le_i32_e64 s22, v5
	s_xor_b32 s0, exec_lo, s0
	s_cbranch_execz .LBB6_9
; %bb.8:
	v_mad_u32 v6, s6, 3, v3
	global_load_b32 v6, v6, s[20:21] scale_offset
	s_wait_loadcnt 0x0
	v_cvt_f32_i32_e32 v6, v6
	s_delay_alu instid0(VALU_DEP_1)
	v_mul_f32_e32 v6, v7, v6
                                        ; implicit-def: $vgpr7
.LBB6_9:
	s_and_not1_saveexec_b32 s0, s0
	s_cbranch_execz .LBB6_11
; %bb.10:
	v_lshl_add_u32 v6, s6, 1, v3
	global_load_b32 v6, v6, s[20:21] scale_offset
	s_wait_loadcnt 0x0
	v_cvt_f32_i32_e32 v6, v6
	s_delay_alu instid0(VALU_DEP_1)
	v_mul_f32_e32 v6, v7, v6
.LBB6_11:
	s_or_b32 exec_lo, exec_lo, s0
.LBB6_12:
	s_and_not1_saveexec_b32 s19, s19
	s_cbranch_execz .LBB6_14
; %bb.13:
	v_cvt_f32_i32_e32 v6, v4
	s_cmp_neq_f32 s5, 1.0
	s_mov_b32 s0, 0x3e76c4e1
	s_cselect_b32 vcc_lo, -1, 0
	s_delay_alu instid0(VALU_DEP_1) | instskip(NEXT) | instid1(VALU_DEP_1)
	v_mul_f32_e32 v6, 0.5, v6
	v_cndmask_b32_e32 v7, 1.0, v6, vcc_lo
	s_delay_alu instid0(VALU_DEP_1) | instskip(SKIP_1) | instid1(VALU_DEP_1)
	v_cmp_neq_f32_e32 vcc_lo, 0, v7
	v_cndmask_b32_e64 v6, 1.0, s5, vcc_lo
	v_frexp_mant_f32_e64 v8, |v6|
	v_cmp_lt_f32_e64 s23, |v6|, 1.0
	v_cmp_eq_f32_e64 s2, 0, v6
	s_delay_alu instid0(VALU_DEP_3) | instskip(SKIP_1) | instid1(VALU_DEP_1)
	v_cmp_gt_f32_e32 vcc_lo, 0x3f2aaaab, v8
	v_cndmask_b32_e64 v9, 1.0, 2.0, vcc_lo
	v_mul_f32_e32 v8, v8, v9
	s_delay_alu instid0(VALU_DEP_1) | instskip(SKIP_1) | instid1(VALU_DEP_2)
	v_dual_add_f32 v11, 1.0, v8 :: v_dual_add_f32 v9, -1.0, v8
	v_cmp_neq_f32_e64 s22, v7, |v7|
	v_rcp_f32_e32 v14, v11
	v_add_f32_e32 v12, -1.0, v11
	s_xor_b32 s22, s22, s23
	s_delay_alu instid0(TRANS32_DEP_1) | instid1(VALU_DEP_1)
	v_dual_sub_f32 v8, v8, v12 :: v_dual_mul_f32 v15, v9, v14
	s_delay_alu instid0(VALU_DEP_1) | instskip(NEXT) | instid1(VALU_DEP_1)
	v_mul_f32_e32 v10, v11, v15
	v_fma_f32 v12, v15, v11, -v10
	s_delay_alu instid0(VALU_DEP_1) | instskip(NEXT) | instid1(VALU_DEP_1)
	v_fmac_f32_e32 v12, v15, v8
	v_add_f32_e32 v8, v10, v12
	s_delay_alu instid0(VALU_DEP_1) | instskip(NEXT) | instid1(VALU_DEP_1)
	v_dual_sub_f32 v11, v9, v8 :: v_dual_mov_b32 v13, v8
	v_pk_add_f32 v[8:9], v[8:9], v[10:11] neg_lo:[0,1] neg_hi:[0,1]
	s_delay_alu instid0(VALU_DEP_1) | instskip(NEXT) | instid1(VALU_DEP_1)
	v_pk_add_f32 v[8:9], v[8:9], v[12:13] neg_lo:[0,1] neg_hi:[0,1]
	v_add_f32_e32 v8, v8, v9
	s_delay_alu instid0(VALU_DEP_1) | instskip(NEXT) | instid1(VALU_DEP_1)
	v_add_f32_e32 v8, v11, v8
	v_mul_f32_e32 v9, v14, v8
	s_delay_alu instid0(VALU_DEP_1) | instskip(NEXT) | instid1(VALU_DEP_1)
	v_add_f32_e32 v8, v15, v9
	v_sub_f32_e32 v10, v8, v15
	s_delay_alu instid0(VALU_DEP_1) | instskip(NEXT) | instid1(VALU_DEP_1)
	v_sub_f32_e32 v20, v9, v10
	v_add_f32_e32 v10, v20, v20
	v_mul_f32_e32 v11, v8, v8
	s_delay_alu instid0(VALU_DEP_1) | instskip(NEXT) | instid1(VALU_DEP_1)
	v_fma_f32 v9, v8, v8, -v11
	v_fmac_f32_e32 v9, v8, v10
	s_delay_alu instid0(VALU_DEP_1) | instskip(NEXT) | instid1(VALU_DEP_1)
	v_add_f32_e32 v10, v11, v9
	v_dual_fmaak_f32 v12, s0, v10, 0x3e91f4c4 :: v_dual_sub_f32 v11, v10, v11
	s_delay_alu instid0(VALU_DEP_1) | instskip(NEXT) | instid1(VALU_DEP_2)
	v_fmaak_f32 v14, v10, v12, 0x3ecccdef
	v_sub_f32_e32 v18, v9, v11
	v_add_nc_u32_e32 v11, s6, v3
	v_cvt_f64_f32_e64 v[12:13], |v6|
	s_delay_alu instid0(VALU_DEP_4) | instskip(SKIP_2) | instid1(VALU_DEP_1)
	v_mul_f32_e32 v15, v10, v14
	global_load_b32 v24, v11, s[20:21] scale_offset
	v_fma_f32 v9, v10, v14, -v15
	v_fmac_f32_e32 v9, v18, v14
	s_wait_xcnt 0x0
	s_delay_alu instid0(VALU_DEP_1) | instskip(NEXT) | instid1(VALU_DEP_1)
	v_add_f32_e32 v11, v15, v9
	v_sub_f32_e32 v14, v11, v15
	v_add_f32_e32 v15, 0x3f2aaaaa, v11
	s_delay_alu instid0(VALU_DEP_1) | instskip(SKIP_1) | instid1(VALU_DEP_2)
	v_dual_sub_f32 v9, v9, v14 :: v_dual_add_f32 v14, 0xbf2aaaaa, v15
	v_frexp_exp_i32_f64_e32 v19, v[12:13]
	v_add_f32_e32 v9, 0x31739010, v9
	s_delay_alu instid0(VALU_DEP_3) | instskip(NEXT) | instid1(VALU_DEP_1)
	v_sub_f32_e32 v11, v11, v14
	v_pk_mul_f32 v[12:13], v[8:9], v[10:11]
	s_delay_alu instid0(VALU_DEP_1) | instskip(NEXT) | instid1(VALU_DEP_1)
	v_fma_f32 v14, v10, v8, -v12
	v_fmac_f32_e32 v14, v10, v20
	s_delay_alu instid0(VALU_DEP_1) | instskip(SKIP_1) | instid1(VALU_DEP_1)
	v_fmac_f32_e32 v14, v18, v8
	v_pk_add_f32 v[16:17], v[8:9], v[10:11]
	v_mov_b32_e32 v13, v17
	v_subrev_co_ci_u32_e64 v9, null, 0, v19, vcc_lo
	s_delay_alu instid0(VALU_DEP_2) | instskip(NEXT) | instid1(VALU_DEP_2)
	v_pk_add_f32 v[10:11], v[12:13], v[14:15]
	v_cvt_f32_i32_e32 v9, v9
	s_delay_alu instid0(VALU_DEP_2) | instskip(NEXT) | instid1(VALU_DEP_3)
	v_mov_b32_e32 v16, v11
	v_dual_sub_f32 v13, v15, v11 :: v_dual_sub_f32 v15, v10, v12
	s_delay_alu instid0(VALU_DEP_2) | instskip(NEXT) | instid1(VALU_DEP_2)
	v_pk_mul_f32 v[18:19], v[10:11], v[16:17]
	v_sub_f32_e32 v14, v14, v15
	s_delay_alu instid0(VALU_DEP_2) | instskip(NEXT) | instid1(VALU_DEP_1)
	v_dual_fma_f32 v12, v10, v11, -v18 :: v_dual_add_f32 v13, v17, v13
	v_fmac_f32_e32 v12, v10, v13
	s_delay_alu instid0(VALU_DEP_1) | instskip(SKIP_2) | instid1(VALU_DEP_3)
	v_fmac_f32_e32 v12, v14, v11
	v_mul_f32_e32 v16, 0x3f317218, v9
	v_ldexp_f32 v11, v8, 1
	v_add_f32_e32 v17, v18, v12
	s_delay_alu instid0(VALU_DEP_3) | instskip(NEXT) | instid1(VALU_DEP_2)
	v_fma_f32 v10, 0x3f317218, v9, -v16
	v_dual_mov_b32 v19, v11 :: v_dual_mov_b32 v14, v17
	s_delay_alu instid0(VALU_DEP_2) | instskip(NEXT) | instid1(VALU_DEP_1)
	v_fmamk_f32 v10, v9, 0xb102e308, v10
	v_pk_add_f32 v[8:9], v[16:17], v[10:11]
	v_ldexp_f32 v11, v20, 1
	s_delay_alu instid0(VALU_DEP_2) | instskip(NEXT) | instid1(VALU_DEP_1)
	v_dual_mov_b32 v13, v17 :: v_dual_mov_b32 v15, v9
	v_pk_add_f32 v[14:15], v[14:15], v[18:19] neg_lo:[0,1] neg_hi:[0,1]
	s_delay_alu instid0(VALU_DEP_1) | instskip(NEXT) | instid1(VALU_DEP_1)
	v_pk_add_f32 v[12:13], v[12:13], v[14:15] neg_lo:[0,1] neg_hi:[0,1]
	v_add_f32_e32 v11, v11, v12
	s_delay_alu instid0(VALU_DEP_1) | instskip(NEXT) | instid1(VALU_DEP_1)
	v_dual_add_f32 v17, v11, v13 :: v_dual_mov_b32 v11, v8
	v_pk_add_f32 v[12:13], v[8:9], v[16:17]
	v_pk_add_f32 v[14:15], v[8:9], v[16:17] neg_lo:[0,1] neg_hi:[0,1]
	s_delay_alu instid0(VALU_DEP_2) | instskip(NEXT) | instid1(VALU_DEP_1)
	v_dual_mov_b32 v22, v9 :: v_dual_mov_b32 v15, v13
	v_pk_add_f32 v[18:19], v[10:11], v[14:15]
	s_delay_alu instid0(VALU_DEP_1) | instskip(SKIP_1) | instid1(VALU_DEP_2)
	v_dual_mov_b32 v18, v13 :: v_dual_mov_b32 v16, v19
	v_pk_add_f32 v[10:11], v[10:11], v[14:15] neg_lo:[0,1] neg_hi:[0,1]
	v_pk_add_f32 v[20:21], v[16:17], v[8:9] neg_lo:[0,1] neg_hi:[0,1]
	v_dual_mov_b32 v9, v8 :: v_dual_mov_b32 v8, v17
	s_delay_alu instid0(VALU_DEP_2) | instskip(NEXT) | instid1(VALU_DEP_1)
	v_dual_mov_b32 v17, v20 :: v_dual_mov_b32 v23, v20
	v_pk_add_f32 v[12:13], v[12:13], v[16:17] neg_lo:[0,1] neg_hi:[0,1]
	s_delay_alu instid0(VALU_DEP_2) | instskip(SKIP_1) | instid1(VALU_DEP_2)
	v_pk_add_f32 v[14:15], v[18:19], v[22:23] neg_lo:[0,1] neg_hi:[0,1]
	v_mov_b32_e32 v12, v10
	v_pk_add_f32 v[8:9], v[8:9], v[14:15] neg_lo:[0,1] neg_hi:[0,1]
	s_delay_alu instid0(VALU_DEP_1) | instskip(NEXT) | instid1(VALU_DEP_1)
	v_pk_add_f32 v[12:13], v[12:13], v[8:9]
	v_mov_b32_e32 v14, v13
	s_delay_alu instid0(VALU_DEP_1) | instskip(NEXT) | instid1(VALU_DEP_1)
	v_pk_add_f32 v[14:15], v[12:13], v[14:15]
	v_pk_add_f32 v[16:17], v[16:17], v[14:15]
	s_delay_alu instid0(VALU_DEP_1) | instskip(NEXT) | instid1(VALU_DEP_1)
	v_dual_mov_b32 v11, v19 :: v_dual_mov_b32 v13, v16
	v_pk_add_f32 v[18:19], v[12:13], v[10:11] neg_lo:[0,1] neg_hi:[0,1]
	s_delay_alu instid0(VALU_DEP_1) | instskip(NEXT) | instid1(VALU_DEP_1)
	v_dual_mov_b32 v9, v14 :: v_dual_sub_f32 v11, v12, v18
	v_pk_add_f32 v[8:9], v[8:9], v[18:19] neg_lo:[0,1] neg_hi:[0,1]
	s_delay_alu instid0(VALU_DEP_2) | instskip(NEXT) | instid1(VALU_DEP_1)
	v_sub_f32_e32 v10, v10, v11
	v_add_f32_e32 v8, v8, v10
	s_delay_alu instid0(VALU_DEP_1) | instskip(NEXT) | instid1(VALU_DEP_1)
	v_add_f32_e32 v8, v8, v9
	v_add_f32_e32 v9, v16, v8
	s_delay_alu instid0(VALU_DEP_1) | instskip(NEXT) | instid1(VALU_DEP_1)
	v_dual_sub_f32 v10, v9, v16 :: v_dual_mul_f32 v11, v7, v9
	v_sub_f32_e32 v8, v8, v10
	s_delay_alu instid0(VALU_DEP_2) | instskip(SKIP_1) | instid1(VALU_DEP_1)
	v_cmp_class_f32_e64 vcc_lo, v11, 0x204
	v_fma_f32 v9, v7, v9, -v11
	v_fmac_f32_e32 v9, v7, v8
	s_delay_alu instid0(VALU_DEP_1) | instskip(NEXT) | instid1(VALU_DEP_1)
	v_add_f32_e32 v8, v11, v9
	v_cndmask_b32_e32 v10, v8, v11, vcc_lo
	s_delay_alu instid0(VALU_DEP_1) | instskip(SKIP_2) | instid1(VALU_DEP_2)
	v_cmp_eq_f32_e32 vcc_lo, 0x42b17218, v10
	v_cndmask_b32_e64 v12, 0, 0x37000000, vcc_lo
	v_cmp_neq_f32_e64 vcc_lo, 0x7f800000, |v10|
	v_dual_sub_f32 v13, v10, v12 :: v_dual_sub_f32 v8, v8, v11
	v_trunc_f32_e32 v10, v7
	s_delay_alu instid0(VALU_DEP_2) | instskip(NEXT) | instid1(VALU_DEP_1)
	v_mul_f32_e32 v14, 0x3fb8aa3b, v13
	v_fma_f32 v15, 0x3fb8aa3b, v13, -v14
	v_rndne_f32_e32 v16, v14
	s_delay_alu instid0(VALU_DEP_1) | instskip(NEXT) | instid1(VALU_DEP_1)
	v_dual_fmamk_f32 v15, v13, 0x32a5705f, v15 :: v_dual_sub_f32 v14, v14, v16
	v_dual_add_f32 v14, v14, v15 :: v_dual_sub_f32 v8, v9, v8
	s_delay_alu instid0(VALU_DEP_1)
	v_exp_f32_e32 v11, v14
	v_nop
	v_cvt_i32_f32_e32 v14, v16
	s_delay_alu instid0(TRANS32_DEP_1) | instid1(VALU_DEP_1)
	v_ldexp_f32 v9, v11, v14
	v_dual_mul_f32 v11, 0.5, v7 :: v_dual_cndmask_b32 v8, 0, v8
	v_cmp_ngt_f32_e32 vcc_lo, 0xc2ce8ed0, v13
	s_delay_alu instid0(VALU_DEP_2) | instskip(NEXT) | instid1(VALU_DEP_4)
	v_trunc_f32_e32 v14, v11
	v_cndmask_b32_e32 v9, 0, v9, vcc_lo
	v_cmp_nlt_f32_e32 vcc_lo, 0x42b17218, v13
	s_delay_alu instid0(VALU_DEP_3) | instskip(NEXT) | instid1(VALU_DEP_3)
	v_cmp_neq_f32_e64 s0, v14, v11
	v_cndmask_b32_e32 v9, 0x7f800000, v9, vcc_lo
	v_cmp_eq_f32_e32 vcc_lo, v10, v7
	s_delay_alu instid0(VALU_DEP_2) | instskip(SKIP_1) | instid1(SALU_CYCLE_1)
	v_cmp_class_f32_e64 s1, v9, 0x204
	s_and_b32 s0, vcc_lo, s0
	v_dual_cndmask_b32 v10, 1.0, v6, s0 :: v_dual_add_f32 v8, v12, v8
	s_delay_alu instid0(VALU_DEP_1) | instskip(NEXT) | instid1(VALU_DEP_1)
	v_fma_f32 v8, v9, v8, v9
	v_cndmask_b32_e64 v8, v8, v9, s1
	v_cndmask_b32_e64 v9, 0x7f800000, 0, s22
	v_cmp_gt_f32_e64 s1, 0, v7
	s_delay_alu instid0(VALU_DEP_3) | instskip(SKIP_1) | instid1(SALU_CYCLE_1)
	v_bfi_b32 v8, 0x7fffffff, v8, v10
	s_xor_b32 s1, s1, s2
	v_cndmask_b32_e64 v11, 0x7f800000, 0, s1
	s_delay_alu instid0(VALU_DEP_2) | instskip(SKIP_3) | instid1(VALU_DEP_4)
	v_cndmask_b32_e32 v10, 0x7fc00000, v8, vcc_lo
	v_cmp_neq_f32_e64 vcc_lo, |v6|, 1.0
	v_cndmask_b32_e32 v9, 1.0, v9, vcc_lo
	v_cmp_gt_f32_e32 vcc_lo, 0, v6
	v_cndmask_b32_e32 v8, v8, v10, vcc_lo
	v_cndmask_b32_e64 v10, 0, v6, s0
	v_cmp_class_f32_e64 vcc_lo, v7, 0x204
	v_cmp_class_f32_e64 s0, v6, 0x204
	s_delay_alu instid0(VALU_DEP_4) | instskip(NEXT) | instid1(VALU_DEP_4)
	v_cndmask_b32_e32 v7, v8, v9, vcc_lo
	v_bfi_b32 v8, 0x7fffffff, v11, v10
	s_or_b32 vcc_lo, s2, s0
	s_delay_alu instid0(VALU_DEP_1) | instskip(SKIP_3) | instid1(VALU_DEP_3)
	v_cndmask_b32_e32 v7, v7, v8, vcc_lo
	v_cmp_o_f32_e32 vcc_lo, v6, v6
	s_wait_loadcnt 0x0
	v_cvt_f32_i32_e32 v8, v24
	v_cndmask_b32_e32 v6, 0x7fc00000, v7, vcc_lo
	s_delay_alu instid0(VALU_DEP_1)
	v_mul_f32_e32 v6, v6, v8
.LBB6_14:
	s_or_b32 exec_lo, exec_lo, s19
.LBB6_15:
	s_and_not1_saveexec_b32 s7, s7
	s_cbranch_execz .LBB6_17
; %bb.16:
	v_cvt_f32_i32_e32 v6, v4
	s_cmp_neq_f32 s5, 1.0
	s_mov_b32 s0, 0x3e76c4e1
	global_load_b32 v24, v3, s[20:21] scale_offset
	s_cselect_b32 vcc_lo, -1, 0
	v_mul_f32_e32 v6, 0.5, v6
	s_delay_alu instid0(VALU_DEP_1) | instskip(NEXT) | instid1(VALU_DEP_1)
	v_cndmask_b32_e32 v7, 1.0, v6, vcc_lo
	v_cmp_neq_f32_e32 vcc_lo, 0, v7
	v_cndmask_b32_e64 v6, 1.0, s5, vcc_lo
	s_delay_alu instid0(VALU_DEP_1) | instskip(SKIP_2) | instid1(VALU_DEP_3)
	v_frexp_mant_f32_e64 v8, |v6|
	v_cmp_lt_f32_e64 s22, |v6|, 1.0
	v_cmp_eq_f32_e64 s2, 0, v6
	v_cmp_gt_f32_e32 vcc_lo, 0x3f2aaaab, v8
	v_cndmask_b32_e64 v9, 1.0, 2.0, vcc_lo
	s_delay_alu instid0(VALU_DEP_1) | instskip(NEXT) | instid1(VALU_DEP_1)
	v_mul_f32_e32 v8, v8, v9
	v_dual_add_f32 v11, 1.0, v8 :: v_dual_add_f32 v9, -1.0, v8
	v_cmp_neq_f32_e64 s19, v7, |v7|
	s_delay_alu instid0(VALU_DEP_2)
	v_rcp_f32_e32 v14, v11
	v_add_f32_e32 v12, -1.0, v11
	s_xor_b32 s19, s19, s22
	s_delay_alu instid0(TRANS32_DEP_1) | instid1(VALU_DEP_1)
	v_dual_sub_f32 v8, v8, v12 :: v_dual_mul_f32 v15, v9, v14
	s_delay_alu instid0(VALU_DEP_1) | instskip(NEXT) | instid1(VALU_DEP_1)
	v_mul_f32_e32 v10, v11, v15
	v_fma_f32 v12, v15, v11, -v10
	s_delay_alu instid0(VALU_DEP_1) | instskip(NEXT) | instid1(VALU_DEP_1)
	v_fmac_f32_e32 v12, v15, v8
	v_add_f32_e32 v8, v10, v12
	s_delay_alu instid0(VALU_DEP_1) | instskip(NEXT) | instid1(VALU_DEP_1)
	v_dual_sub_f32 v11, v9, v8 :: v_dual_mov_b32 v13, v8
	v_pk_add_f32 v[8:9], v[8:9], v[10:11] neg_lo:[0,1] neg_hi:[0,1]
	s_delay_alu instid0(VALU_DEP_1) | instskip(NEXT) | instid1(VALU_DEP_1)
	v_pk_add_f32 v[8:9], v[8:9], v[12:13] neg_lo:[0,1] neg_hi:[0,1]
	v_add_f32_e32 v8, v8, v9
	s_delay_alu instid0(VALU_DEP_1) | instskip(NEXT) | instid1(VALU_DEP_1)
	v_add_f32_e32 v8, v11, v8
	v_mul_f32_e32 v9, v14, v8
	s_delay_alu instid0(VALU_DEP_1) | instskip(NEXT) | instid1(VALU_DEP_1)
	v_add_f32_e32 v8, v15, v9
	v_sub_f32_e32 v10, v8, v15
	s_delay_alu instid0(VALU_DEP_1) | instskip(NEXT) | instid1(VALU_DEP_1)
	v_sub_f32_e32 v20, v9, v10
	v_add_f32_e32 v10, v20, v20
	v_mul_f32_e32 v11, v8, v8
	s_delay_alu instid0(VALU_DEP_1) | instskip(NEXT) | instid1(VALU_DEP_1)
	v_fma_f32 v9, v8, v8, -v11
	v_fmac_f32_e32 v9, v8, v10
	s_delay_alu instid0(VALU_DEP_1) | instskip(NEXT) | instid1(VALU_DEP_1)
	v_add_f32_e32 v10, v11, v9
	v_dual_fmaak_f32 v12, s0, v10, 0x3e91f4c4 :: v_dual_sub_f32 v11, v10, v11
	s_delay_alu instid0(VALU_DEP_1) | instskip(SKIP_1) | instid1(VALU_DEP_2)
	v_fmaak_f32 v14, v10, v12, 0x3ecccdef
	v_cvt_f64_f32_e64 v[12:13], |v6|
	v_dual_sub_f32 v18, v9, v11 :: v_dual_mul_f32 v15, v10, v14
	s_delay_alu instid0(VALU_DEP_1) | instskip(NEXT) | instid1(VALU_DEP_1)
	v_fma_f32 v9, v10, v14, -v15
	v_fmac_f32_e32 v9, v18, v14
	s_delay_alu instid0(VALU_DEP_1) | instskip(NEXT) | instid1(VALU_DEP_1)
	v_add_f32_e32 v11, v15, v9
	v_sub_f32_e32 v14, v11, v15
	v_add_f32_e32 v15, 0x3f2aaaaa, v11
	s_delay_alu instid0(VALU_DEP_1) | instskip(SKIP_1) | instid1(VALU_DEP_2)
	v_dual_sub_f32 v9, v9, v14 :: v_dual_add_f32 v14, 0xbf2aaaaa, v15
	v_frexp_exp_i32_f64_e32 v19, v[12:13]
	v_sub_f32_e32 v11, v11, v14
	s_delay_alu instid0(VALU_DEP_3) | instskip(NEXT) | instid1(VALU_DEP_1)
	v_add_f32_e32 v9, 0x31739010, v9
	v_pk_mul_f32 v[12:13], v[8:9], v[10:11]
	s_delay_alu instid0(VALU_DEP_1) | instskip(NEXT) | instid1(VALU_DEP_1)
	v_fma_f32 v14, v10, v8, -v12
	v_fmac_f32_e32 v14, v10, v20
	s_delay_alu instid0(VALU_DEP_1) | instskip(SKIP_1) | instid1(VALU_DEP_1)
	v_fmac_f32_e32 v14, v18, v8
	v_pk_add_f32 v[16:17], v[8:9], v[10:11]
	v_mov_b32_e32 v13, v17
	v_subrev_co_ci_u32_e64 v9, null, 0, v19, vcc_lo
	s_delay_alu instid0(VALU_DEP_2) | instskip(NEXT) | instid1(VALU_DEP_2)
	v_pk_add_f32 v[10:11], v[12:13], v[14:15]
	v_cvt_f32_i32_e32 v9, v9
	s_delay_alu instid0(VALU_DEP_2) | instskip(NEXT) | instid1(VALU_DEP_3)
	v_mov_b32_e32 v16, v11
	v_dual_sub_f32 v13, v15, v11 :: v_dual_sub_f32 v15, v10, v12
	s_delay_alu instid0(VALU_DEP_2) | instskip(NEXT) | instid1(VALU_DEP_2)
	v_pk_mul_f32 v[18:19], v[10:11], v[16:17]
	v_dual_add_f32 v13, v17, v13 :: v_dual_sub_f32 v14, v14, v15
	s_delay_alu instid0(VALU_DEP_2) | instskip(NEXT) | instid1(VALU_DEP_1)
	v_fma_f32 v12, v10, v11, -v18
	v_fmac_f32_e32 v12, v10, v13
	s_delay_alu instid0(VALU_DEP_1) | instskip(SKIP_2) | instid1(VALU_DEP_3)
	v_fmac_f32_e32 v12, v14, v11
	v_mul_f32_e32 v16, 0x3f317218, v9
	v_ldexp_f32 v11, v8, 1
	v_add_f32_e32 v17, v18, v12
	s_delay_alu instid0(VALU_DEP_3) | instskip(NEXT) | instid1(VALU_DEP_2)
	v_fma_f32 v10, 0x3f317218, v9, -v16
	v_dual_mov_b32 v19, v11 :: v_dual_mov_b32 v14, v17
	s_delay_alu instid0(VALU_DEP_2) | instskip(NEXT) | instid1(VALU_DEP_1)
	v_fmamk_f32 v10, v9, 0xb102e308, v10
	v_pk_add_f32 v[8:9], v[16:17], v[10:11]
	v_mov_b32_e32 v13, v17
	v_ldexp_f32 v11, v20, 1
	s_delay_alu instid0(VALU_DEP_3) | instskip(NEXT) | instid1(VALU_DEP_1)
	v_dual_mov_b32 v15, v9 :: v_dual_mov_b32 v22, v9
	v_pk_add_f32 v[14:15], v[14:15], v[18:19] neg_lo:[0,1] neg_hi:[0,1]
	s_delay_alu instid0(VALU_DEP_1) | instskip(NEXT) | instid1(VALU_DEP_1)
	v_pk_add_f32 v[12:13], v[12:13], v[14:15] neg_lo:[0,1] neg_hi:[0,1]
	v_add_f32_e32 v11, v11, v12
	s_delay_alu instid0(VALU_DEP_1) | instskip(NEXT) | instid1(VALU_DEP_1)
	v_dual_add_f32 v17, v11, v13 :: v_dual_mov_b32 v11, v8
	v_pk_add_f32 v[12:13], v[8:9], v[16:17]
	v_pk_add_f32 v[14:15], v[8:9], v[16:17] neg_lo:[0,1] neg_hi:[0,1]
	s_delay_alu instid0(VALU_DEP_2) | instskip(NEXT) | instid1(VALU_DEP_1)
	v_mov_b32_e32 v15, v13
	v_pk_add_f32 v[18:19], v[10:11], v[14:15]
	v_pk_add_f32 v[10:11], v[10:11], v[14:15] neg_lo:[0,1] neg_hi:[0,1]
	s_delay_alu instid0(VALU_DEP_2) | instskip(NEXT) | instid1(VALU_DEP_1)
	v_dual_mov_b32 v16, v19 :: v_dual_mov_b32 v11, v19
	v_pk_add_f32 v[20:21], v[16:17], v[8:9] neg_lo:[0,1] neg_hi:[0,1]
	v_dual_mov_b32 v18, v13 :: v_dual_mov_b32 v9, v8
	s_delay_alu instid0(VALU_DEP_2) | instskip(SKIP_1) | instid1(VALU_DEP_2)
	v_dual_mov_b32 v8, v17 :: v_dual_mov_b32 v23, v20
	v_mov_b32_e32 v17, v20
	v_pk_add_f32 v[14:15], v[18:19], v[22:23] neg_lo:[0,1] neg_hi:[0,1]
	s_delay_alu instid0(VALU_DEP_2) | instskip(SKIP_1) | instid1(VALU_DEP_3)
	v_pk_add_f32 v[12:13], v[12:13], v[16:17] neg_lo:[0,1] neg_hi:[0,1]
	v_mov_b32_e32 v12, v10
	v_pk_add_f32 v[8:9], v[8:9], v[14:15] neg_lo:[0,1] neg_hi:[0,1]
	s_delay_alu instid0(VALU_DEP_1) | instskip(NEXT) | instid1(VALU_DEP_1)
	v_pk_add_f32 v[12:13], v[12:13], v[8:9]
	v_mov_b32_e32 v14, v13
	s_delay_alu instid0(VALU_DEP_1) | instskip(NEXT) | instid1(VALU_DEP_1)
	v_pk_add_f32 v[14:15], v[12:13], v[14:15]
	v_pk_add_f32 v[16:17], v[16:17], v[14:15]
	s_delay_alu instid0(VALU_DEP_1) | instskip(NEXT) | instid1(VALU_DEP_1)
	v_dual_mov_b32 v9, v14 :: v_dual_mov_b32 v13, v16
	v_pk_add_f32 v[18:19], v[12:13], v[10:11] neg_lo:[0,1] neg_hi:[0,1]
	s_delay_alu instid0(VALU_DEP_1) | instskip(NEXT) | instid1(VALU_DEP_2)
	v_sub_f32_e32 v11, v12, v18
	v_pk_add_f32 v[8:9], v[8:9], v[18:19] neg_lo:[0,1] neg_hi:[0,1]
	s_delay_alu instid0(VALU_DEP_2) | instskip(NEXT) | instid1(VALU_DEP_1)
	v_sub_f32_e32 v10, v10, v11
	v_add_f32_e32 v8, v8, v10
	s_delay_alu instid0(VALU_DEP_1) | instskip(NEXT) | instid1(VALU_DEP_1)
	v_add_f32_e32 v8, v8, v9
	v_add_f32_e32 v9, v16, v8
	s_delay_alu instid0(VALU_DEP_1) | instskip(NEXT) | instid1(VALU_DEP_1)
	v_dual_sub_f32 v10, v9, v16 :: v_dual_mul_f32 v11, v7, v9
	v_dual_sub_f32 v8, v8, v10 :: v_dual_fma_f32 v9, v7, v9, -v11
	v_cmp_class_f32_e64 vcc_lo, v11, 0x204
	s_delay_alu instid0(VALU_DEP_2) | instskip(NEXT) | instid1(VALU_DEP_1)
	v_fmac_f32_e32 v9, v7, v8
	v_add_f32_e32 v8, v11, v9
	s_delay_alu instid0(VALU_DEP_1) | instskip(NEXT) | instid1(VALU_DEP_1)
	v_cndmask_b32_e32 v10, v8, v11, vcc_lo
	v_cmp_eq_f32_e32 vcc_lo, 0x42b17218, v10
	v_cndmask_b32_e64 v12, 0, 0x37000000, vcc_lo
	v_cmp_neq_f32_e64 vcc_lo, 0x7f800000, |v10|
	s_delay_alu instid0(VALU_DEP_2) | instskip(SKIP_1) | instid1(VALU_DEP_2)
	v_dual_sub_f32 v13, v10, v12 :: v_dual_sub_f32 v8, v8, v11
	v_trunc_f32_e32 v10, v7
	v_mul_f32_e32 v14, 0x3fb8aa3b, v13
	s_delay_alu instid0(VALU_DEP_3) | instskip(NEXT) | instid1(VALU_DEP_2)
	v_sub_f32_e32 v8, v9, v8
	v_fma_f32 v15, 0x3fb8aa3b, v13, -v14
	v_rndne_f32_e32 v16, v14
	s_delay_alu instid0(VALU_DEP_3) | instskip(SKIP_1) | instid1(VALU_DEP_3)
	v_cndmask_b32_e32 v8, 0, v8, vcc_lo
	v_cmp_ngt_f32_e32 vcc_lo, 0xc2ce8ed0, v13
	v_dual_fmamk_f32 v15, v13, 0x32a5705f, v15 :: v_dual_sub_f32 v14, v14, v16
	s_delay_alu instid0(VALU_DEP_1) | instskip(NEXT) | instid1(VALU_DEP_1)
	v_add_f32_e32 v14, v14, v15
	v_exp_f32_e32 v11, v14
	v_nop
	v_cvt_i32_f32_e32 v14, v16
	s_delay_alu instid0(TRANS32_DEP_1) | instid1(VALU_DEP_1)
	v_ldexp_f32 v9, v11, v14
	s_delay_alu instid0(VALU_DEP_1) | instskip(NEXT) | instid1(VALU_DEP_1)
	v_dual_mul_f32 v11, 0.5, v7 :: v_dual_cndmask_b32 v9, 0, v9, vcc_lo
	v_trunc_f32_e32 v14, v11
	v_cmp_nlt_f32_e32 vcc_lo, 0x42b17218, v13
	v_add_f32_e32 v8, v12, v8
	s_delay_alu instid0(VALU_DEP_3) | instskip(SKIP_2) | instid1(VALU_DEP_2)
	v_cmp_neq_f32_e64 s0, v14, v11
	v_cndmask_b32_e32 v9, 0x7f800000, v9, vcc_lo
	v_cmp_eq_f32_e32 vcc_lo, v10, v7
	v_cmp_class_f32_e64 s1, v9, 0x204
	s_and_b32 s0, vcc_lo, s0
	s_delay_alu instid0(SALU_CYCLE_1) | instskip(NEXT) | instid1(VALU_DEP_1)
	v_dual_fma_f32 v8, v9, v8, v9 :: v_dual_cndmask_b32 v10, 1.0, v6, s0
	v_cndmask_b32_e64 v8, v8, v9, s1
	v_cndmask_b32_e64 v9, 0x7f800000, 0, s19
	v_cmp_gt_f32_e64 s1, 0, v7
	s_delay_alu instid0(VALU_DEP_3) | instskip(SKIP_1) | instid1(SALU_CYCLE_1)
	v_bfi_b32 v8, 0x7fffffff, v8, v10
	s_xor_b32 s1, s1, s2
	v_cndmask_b32_e64 v11, 0x7f800000, 0, s1
	s_delay_alu instid0(VALU_DEP_2) | instskip(SKIP_3) | instid1(VALU_DEP_4)
	v_cndmask_b32_e32 v10, 0x7fc00000, v8, vcc_lo
	v_cmp_neq_f32_e64 vcc_lo, |v6|, 1.0
	v_cndmask_b32_e32 v9, 1.0, v9, vcc_lo
	v_cmp_gt_f32_e32 vcc_lo, 0, v6
	v_cndmask_b32_e32 v8, v8, v10, vcc_lo
	v_cmp_class_f32_e64 vcc_lo, v7, 0x204
	v_cndmask_b32_e64 v10, 0, v6, s0
	v_cmp_class_f32_e64 s0, v6, 0x204
	s_delay_alu instid0(VALU_DEP_4) | instskip(NEXT) | instid1(VALU_DEP_3)
	v_cndmask_b32_e32 v7, v8, v9, vcc_lo
	v_bfi_b32 v8, 0x7fffffff, v11, v10
	s_or_b32 vcc_lo, s2, s0
	s_delay_alu instid0(VALU_DEP_1) | instskip(SKIP_3) | instid1(VALU_DEP_3)
	v_cndmask_b32_e32 v7, v7, v8, vcc_lo
	v_cmp_o_f32_e32 vcc_lo, v6, v6
	s_wait_loadcnt 0x0
	v_cvt_f32_i32_e32 v8, v24
	v_cndmask_b32_e32 v6, 0x7fc00000, v7, vcc_lo
	s_delay_alu instid0(VALU_DEP_1)
	v_mul_f32_e32 v6, v6, v8
.LBB6_17:
	s_wait_xcnt 0x0
	s_or_b32 exec_lo, exec_lo, s7
	s_cbranch_execz .LBB6_21
; %bb.18:
	s_delay_alu instid0(VALU_DEP_1)
	v_mul_f32_e32 v4, s8, v6
	s_cmp_eq_f32 s9, 0
	s_cbranch_scc1 .LBB6_34
.LBB6_19:
	v_cvt_f32_i32_e32 v1, v1
	s_sub_f32 s0, s4, s11
	v_div_scale_f32 v5, null, s8, s8, 1.0
	s_delay_alu instid0(SALU_CYCLE_2) | instskip(SKIP_4) | instid1(VALU_DEP_3)
	s_max_num_f32 s1, s0, 0x3a83126f
	v_subrev_f32_e32 v1, s11, v1
	v_rcp_f32_e32 v8, v5
	v_nop
	v_xor_b32_e32 v5, 0x80000000, v5
	v_div_scale_f32 v3, null, s1, s1, v1
	s_delay_alu instid0(TRANS32_DEP_1) | instid1(VALU_DEP_2)
	v_fma_f32 v10, v5, v8, 1.0
	s_delay_alu instid0(VALU_DEP_2) | instskip(SKIP_1) | instid1(TRANS32_DEP_1)
	v_rcp_f32_e32 v7, v3
	v_nop
	v_fma_f32 v9, -v3, v7, 1.0
	s_delay_alu instid0(VALU_DEP_1) | instskip(SKIP_2) | instid1(VALU_DEP_2)
	v_fmac_f32_e32 v7, v9, v7
	v_div_scale_f32 v11, vcc_lo, v1, s1, v1
	v_div_scale_f32 v9, s0, 1.0, s8, 1.0
	v_dual_fmac_f32 v8, v10, v8 :: v_dual_mul_f32 v10, v11, v7
	s_delay_alu instid0(VALU_DEP_1) | instskip(NEXT) | instid1(VALU_DEP_1)
	v_dual_mul_f32 v12, v9, v8 :: v_dual_fma_f32 v13, -v3, v10, v11
	v_fmac_f32_e32 v10, v13, v7
	s_delay_alu instid0(VALU_DEP_1) | instskip(NEXT) | instid1(VALU_DEP_1)
	v_dual_fma_f32 v14, v5, v12, v9 :: v_dual_fma_f32 v3, -v3, v10, v11
	v_fmac_f32_e32 v12, v14, v8
	s_delay_alu instid0(VALU_DEP_2) | instskip(NEXT) | instid1(VALU_DEP_2)
	v_div_fmas_f32 v3, v3, v7, v10
	v_fmac_f32_e32 v9, v5, v12
	s_mov_b32 vcc_lo, s0
	s_delay_alu instid0(VALU_DEP_2) | instskip(NEXT) | instid1(VALU_DEP_2)
	v_div_fixup_f32 v1, v3, s1, v1 clamp
	v_div_fmas_f32 v5, v9, v8, v12
	s_delay_alu instid0(VALU_DEP_1) | instskip(NEXT) | instid1(VALU_DEP_1)
	v_div_fixup_f32 v5, v5, s8, 1.0
	v_readfirstlane_b32 s0, v5
	s_cmp_lt_f32 s0, 0x800000
	s_cselect_b32 s0, 0x4f800000, 1.0
	s_delay_alu instid0(SALU_CYCLE_1) | instskip(SKIP_1) | instid1(VALU_DEP_1)
	v_mul_f32_e32 v5, s0, v5
	s_cselect_b32 s0, 0x41b17218, 0
	v_log_f32_e32 v5, v5
	v_nop
	s_delay_alu instid0(TRANS32_DEP_1) | instskip(SKIP_1) | instid1(VALU_DEP_2)
	v_mul_f32_e32 v7, 0x3f317217, v5
	v_and_b32_e32 v3, 0x7fffffff, v5
	v_xor_b32_e32 v7, 0x80000000, v7
	s_delay_alu instid0(VALU_DEP_2) | instskip(NEXT) | instid1(VALU_DEP_2)
	v_cmp_gt_f32_e32 vcc_lo, 0x7f800000, v3
	v_fmac_f32_e32 v7, 0x3f317217, v5
	s_delay_alu instid0(VALU_DEP_1) | instskip(NEXT) | instid1(VALU_DEP_1)
	v_fmamk_f32 v7, v5, 0x3377d1cf, v7
	v_fmac_f32_e32 v7, 0x3f317217, v5
	s_delay_alu instid0(VALU_DEP_1) | instskip(NEXT) | instid1(VALU_DEP_1)
	v_dual_sub_f32 v1, 1.0, v1 :: v_dual_cndmask_b32 v3, v5, v7, vcc_lo
	v_fma_f32 v5, -s9, v1, 1.0
	s_delay_alu instid0(VALU_DEP_2) | instskip(NEXT) | instid1(VALU_DEP_1)
	v_dual_mov_b32 v7, 1.0 :: v_dual_subrev_f32 v3, s0, v3
	v_dual_mul_f32 v4, v5, v4 :: v_dual_fmamk_f32 v3, v3, 0x3dcccccd, v7
	s_delay_alu instid0(VALU_DEP_1) | instskip(NEXT) | instid1(VALU_DEP_1)
	v_dual_mul_f32 v1, s9, v1 :: v_dual_mul_f32 v5, s10, v3
	v_fmac_f32_e32 v4, v1, v6
	s_branch .LBB6_35
.LBB6_20:
                                        ; implicit-def: $vgpr6
.LBB6_21:
	s_delay_alu instid0(VALU_DEP_1) | instskip(SKIP_1) | instid1(SALU_CYCLE_1)
	v_mul_hi_i32 v6, 0x55555556, v5
	s_mul_i32 s0, s17, 3
	v_cmp_le_i32_e64 s0, s0, v5
	s_delay_alu instid0(VALU_DEP_2) | instskip(NEXT) | instid1(VALU_DEP_1)
	v_lshrrev_b32_e32 v7, 31, v6
	v_add_nc_u32_e32 v6, v6, v7
	s_delay_alu instid0(VALU_DEP_1) | instskip(NEXT) | instid1(VALU_DEP_1)
	v_lshl_add_u32 v6, v6, 1, v6
	v_sub_nc_u32_e32 v7, v5, v6
                                        ; implicit-def: $vgpr6
	s_delay_alu instid0(VALU_DEP_1) | instskip(SKIP_1) | instid1(SALU_CYCLE_1)
	v_cmp_ne_u32_e32 vcc_lo, 1, v7
	s_or_b32 s0, vcc_lo, s0
	s_and_saveexec_b32 s1, s0
	s_delay_alu instid0(SALU_CYCLE_1)
	s_xor_b32 s7, exec_lo, s1
	s_cbranch_execz .LBB6_31
; %bb.22:
	s_mul_i32 s0, s18, 3
	v_cmp_ne_u32_e32 vcc_lo, 2, v7
	v_cmp_le_i32_e64 s0, s0, v5
                                        ; implicit-def: $vgpr6
	s_or_b32 s0, vcc_lo, s0
	s_delay_alu instid0(SALU_CYCLE_1) | instskip(NEXT) | instid1(SALU_CYCLE_1)
	s_and_saveexec_b32 s1, s0
	s_xor_b32 s17, exec_lo, s1
	s_cbranch_execz .LBB6_28
; %bb.23:
	s_mul_i32 s0, s16, 3
	v_cmp_ne_u32_e32 vcc_lo, 0, v7
	v_cmp_le_i32_e64 s0, s0, v5
                                        ; implicit-def: $vgpr6
	s_or_b32 s0, vcc_lo, s0
	s_delay_alu instid0(SALU_CYCLE_1) | instskip(NEXT) | instid1(SALU_CYCLE_1)
	s_and_saveexec_b32 s1, s0
	s_xor_b32 s16, exec_lo, s1
	s_cbranch_execz .LBB6_25
; %bb.24:
	v_cvt_f32_i32_e32 v4, v4
	s_cmp_neq_f32 s5, 1.0
	s_mov_b32 s0, 0x3e76c4e1
	v_mad_u32 v3, s6, 3, v3
	s_cselect_b32 vcc_lo, -1, 0
	v_mul_f32_e32 v4, 0.5, v4
	s_delay_alu instid0(VALU_DEP_1) | instskip(SKIP_3) | instid1(VALU_DEP_1)
	v_cndmask_b32_e32 v5, 1.0, v4, vcc_lo
	global_load_b32 v22, v3, s[20:21] scale_offset
	v_cmp_neq_f32_e32 vcc_lo, 0, v5
	v_cndmask_b32_e64 v4, 1.0, s5, vcc_lo
	v_frexp_mant_f32_e64 v6, |v4|
	v_cmp_lt_f32_e64 s19, |v4|, 1.0
	v_cmp_eq_f32_e64 s2, 0, v4
	s_delay_alu instid0(VALU_DEP_3) | instskip(SKIP_1) | instid1(VALU_DEP_1)
	v_cmp_gt_f32_e32 vcc_lo, 0x3f2aaaab, v6
	v_cndmask_b32_e64 v7, 1.0, 2.0, vcc_lo
	v_mul_f32_e32 v6, v6, v7
	s_delay_alu instid0(VALU_DEP_1) | instskip(SKIP_1) | instid1(VALU_DEP_2)
	v_dual_add_f32 v9, 1.0, v6 :: v_dual_add_f32 v7, -1.0, v6
	v_cmp_neq_f32_e64 s18, v5, |v5|
	v_rcp_f32_e32 v12, v9
	v_add_f32_e32 v10, -1.0, v9
	s_xor_b32 s18, s18, s19
	s_delay_alu instid0(TRANS32_DEP_1) | instid1(VALU_DEP_1)
	v_dual_sub_f32 v6, v6, v10 :: v_dual_mul_f32 v13, v7, v12
	s_delay_alu instid0(VALU_DEP_1) | instskip(NEXT) | instid1(VALU_DEP_1)
	v_mul_f32_e32 v8, v9, v13
	v_fma_f32 v10, v13, v9, -v8
	s_delay_alu instid0(VALU_DEP_1) | instskip(NEXT) | instid1(VALU_DEP_1)
	v_fmac_f32_e32 v10, v13, v6
	v_add_f32_e32 v6, v8, v10
	s_delay_alu instid0(VALU_DEP_1) | instskip(NEXT) | instid1(VALU_DEP_1)
	v_dual_sub_f32 v9, v7, v6 :: v_dual_mov_b32 v11, v6
	v_pk_add_f32 v[6:7], v[6:7], v[8:9] neg_lo:[0,1] neg_hi:[0,1]
	s_delay_alu instid0(VALU_DEP_1) | instskip(NEXT) | instid1(VALU_DEP_1)
	v_pk_add_f32 v[6:7], v[6:7], v[10:11] neg_lo:[0,1] neg_hi:[0,1]
	v_add_f32_e32 v6, v6, v7
	s_delay_alu instid0(VALU_DEP_1) | instskip(NEXT) | instid1(VALU_DEP_1)
	v_add_f32_e32 v6, v9, v6
	v_mul_f32_e32 v7, v12, v6
	s_delay_alu instid0(VALU_DEP_1) | instskip(NEXT) | instid1(VALU_DEP_1)
	v_add_f32_e32 v6, v13, v7
	v_sub_f32_e32 v8, v6, v13
	s_delay_alu instid0(VALU_DEP_1) | instskip(NEXT) | instid1(VALU_DEP_1)
	v_sub_f32_e32 v18, v7, v8
	v_add_f32_e32 v8, v18, v18
	v_mul_f32_e32 v9, v6, v6
	s_delay_alu instid0(VALU_DEP_1) | instskip(NEXT) | instid1(VALU_DEP_1)
	v_fma_f32 v7, v6, v6, -v9
	v_fmac_f32_e32 v7, v6, v8
	s_delay_alu instid0(VALU_DEP_1) | instskip(NEXT) | instid1(VALU_DEP_1)
	v_add_f32_e32 v8, v9, v7
	v_dual_fmaak_f32 v10, s0, v8, 0x3e91f4c4 :: v_dual_sub_f32 v9, v8, v9
	s_delay_alu instid0(VALU_DEP_1) | instskip(SKIP_1) | instid1(VALU_DEP_2)
	v_fmaak_f32 v12, v8, v10, 0x3ecccdef
	v_cvt_f64_f32_e64 v[10:11], |v4|
	v_dual_sub_f32 v16, v7, v9 :: v_dual_mul_f32 v13, v8, v12
	s_delay_alu instid0(VALU_DEP_1) | instskip(NEXT) | instid1(VALU_DEP_1)
	v_fma_f32 v7, v8, v12, -v13
	v_fmac_f32_e32 v7, v16, v12
	s_wait_xcnt 0x0
	s_delay_alu instid0(VALU_DEP_1) | instskip(NEXT) | instid1(VALU_DEP_1)
	v_add_f32_e32 v3, v13, v7
	v_sub_f32_e32 v9, v3, v13
	v_add_f32_e32 v13, 0x3f2aaaaa, v3
	s_delay_alu instid0(VALU_DEP_2) | instskip(NEXT) | instid1(VALU_DEP_2)
	v_sub_f32_e32 v7, v7, v9
	v_add_f32_e32 v9, 0xbf2aaaaa, v13
	v_frexp_exp_i32_f64_e32 v17, v[10:11]
	s_delay_alu instid0(VALU_DEP_3) | instskip(NEXT) | instid1(VALU_DEP_3)
	v_add_f32_e32 v7, 0x31739010, v7
	v_sub_f32_e32 v9, v3, v9
	s_delay_alu instid0(VALU_DEP_1) | instskip(SKIP_1) | instid1(VALU_DEP_1)
	v_pk_mul_f32 v[10:11], v[6:7], v[8:9]
	v_pk_add_f32 v[14:15], v[6:7], v[8:9]
	v_dual_fma_f32 v12, v8, v6, -v10 :: v_dual_mov_b32 v11, v15
	s_delay_alu instid0(VALU_DEP_1) | instskip(NEXT) | instid1(VALU_DEP_1)
	v_fmac_f32_e32 v12, v8, v18
	v_fmac_f32_e32 v12, v16, v6
	s_delay_alu instid0(VALU_DEP_1) | instskip(SKIP_1) | instid1(VALU_DEP_2)
	v_pk_add_f32 v[8:9], v[10:11], v[12:13]
	v_subrev_co_ci_u32_e64 v3, null, 0, v17, vcc_lo
	v_mov_b32_e32 v14, v9
	s_delay_alu instid0(VALU_DEP_3) | instskip(NEXT) | instid1(VALU_DEP_3)
	v_dual_sub_f32 v7, v13, v9 :: v_dual_sub_f32 v11, v8, v10
	v_cvt_f32_i32_e32 v3, v3
	s_delay_alu instid0(VALU_DEP_3) | instskip(NEXT) | instid1(VALU_DEP_3)
	v_pk_mul_f32 v[16:17], v[8:9], v[14:15]
	v_add_f32_e32 v7, v15, v7
	s_delay_alu instid0(VALU_DEP_4) | instskip(NEXT) | instid1(VALU_DEP_3)
	v_sub_f32_e32 v11, v12, v11
	v_fma_f32 v10, v8, v9, -v16
	s_delay_alu instid0(VALU_DEP_1) | instskip(NEXT) | instid1(VALU_DEP_1)
	v_fmac_f32_e32 v10, v8, v7
	v_fmac_f32_e32 v10, v11, v9
	v_mul_f32_e32 v14, 0x3f317218, v3
	v_ldexp_f32 v9, v6, 1
	s_delay_alu instid0(VALU_DEP_3) | instskip(NEXT) | instid1(VALU_DEP_3)
	v_add_f32_e32 v15, v16, v10
	v_fma_f32 v7, 0x3f317218, v3, -v14
	s_delay_alu instid0(VALU_DEP_2) | instskip(NEXT) | instid1(VALU_DEP_2)
	v_dual_mov_b32 v17, v9 :: v_dual_mov_b32 v11, v15
	v_fmamk_f32 v8, v3, 0xb102e308, v7
	v_ldexp_f32 v3, v18, 1
	s_delay_alu instid0(VALU_DEP_2) | instskip(NEXT) | instid1(VALU_DEP_1)
	v_pk_add_f32 v[6:7], v[14:15], v[8:9]
	v_dual_mov_b32 v12, v15 :: v_dual_mov_b32 v13, v7
	s_delay_alu instid0(VALU_DEP_2) | instskip(NEXT) | instid1(VALU_DEP_2)
	v_dual_mov_b32 v9, v6 :: v_dual_mov_b32 v20, v7
	v_pk_add_f32 v[12:13], v[12:13], v[16:17] neg_lo:[0,1] neg_hi:[0,1]
	s_delay_alu instid0(VALU_DEP_1) | instskip(NEXT) | instid1(VALU_DEP_1)
	v_pk_add_f32 v[10:11], v[10:11], v[12:13] neg_lo:[0,1] neg_hi:[0,1]
	v_add_f32_e32 v3, v3, v10
	s_delay_alu instid0(VALU_DEP_1) | instskip(NEXT) | instid1(VALU_DEP_1)
	v_add_f32_e32 v15, v3, v11
	v_pk_add_f32 v[10:11], v[6:7], v[14:15]
	v_pk_add_f32 v[12:13], v[6:7], v[14:15] neg_lo:[0,1] neg_hi:[0,1]
	s_delay_alu instid0(VALU_DEP_2) | instskip(NEXT) | instid1(VALU_DEP_1)
	v_mov_b32_e32 v13, v11
	v_pk_add_f32 v[16:17], v[8:9], v[12:13]
	v_mov_b32_e32 v16, v11
	v_pk_add_f32 v[8:9], v[8:9], v[12:13] neg_lo:[0,1] neg_hi:[0,1]
	s_delay_alu instid0(VALU_DEP_3) | instskip(NEXT) | instid1(VALU_DEP_1)
	v_dual_mov_b32 v14, v17 :: v_dual_mov_b32 v9, v17
	v_pk_add_f32 v[18:19], v[14:15], v[6:7] neg_lo:[0,1] neg_hi:[0,1]
	v_dual_mov_b32 v7, v6 :: v_dual_mov_b32 v6, v15
	s_delay_alu instid0(VALU_DEP_2) | instskip(NEXT) | instid1(VALU_DEP_1)
	v_dual_mov_b32 v21, v18 :: v_dual_mov_b32 v3, v18
	v_pk_add_f32 v[12:13], v[16:17], v[20:21] neg_lo:[0,1] neg_hi:[0,1]
	s_delay_alu instid0(VALU_DEP_2) | instskip(SKIP_1) | instid1(VALU_DEP_3)
	v_pk_add_f32 v[10:11], v[10:11], v[2:3] neg_lo:[0,1] neg_hi:[0,1]
	v_mov_b32_e32 v10, v8
	v_pk_add_f32 v[6:7], v[6:7], v[12:13] neg_lo:[0,1] neg_hi:[0,1]
	s_delay_alu instid0(VALU_DEP_1) | instskip(NEXT) | instid1(VALU_DEP_1)
	v_pk_add_f32 v[10:11], v[10:11], v[6:7]
	v_mov_b32_e32 v12, v11
	s_delay_alu instid0(VALU_DEP_1) | instskip(NEXT) | instid1(VALU_DEP_1)
	v_pk_add_f32 v[12:13], v[10:11], v[12:13]
	v_pk_add_f32 v[14:15], v[14:15], v[12:13]
	s_delay_alu instid0(VALU_DEP_1) | instskip(NEXT) | instid1(VALU_DEP_1)
	v_dual_mov_b32 v7, v12 :: v_dual_mov_b32 v11, v14
	v_pk_add_f32 v[16:17], v[10:11], v[8:9] neg_lo:[0,1] neg_hi:[0,1]
	s_delay_alu instid0(VALU_DEP_1) | instskip(NEXT) | instid1(VALU_DEP_2)
	v_sub_f32_e32 v3, v10, v16
	v_pk_add_f32 v[6:7], v[6:7], v[16:17] neg_lo:[0,1] neg_hi:[0,1]
	s_delay_alu instid0(VALU_DEP_2) | instskip(NEXT) | instid1(VALU_DEP_1)
	v_sub_f32_e32 v3, v8, v3
	v_add_f32_e32 v3, v6, v3
	s_delay_alu instid0(VALU_DEP_1) | instskip(NEXT) | instid1(VALU_DEP_1)
	v_add_f32_e32 v3, v3, v7
	v_add_f32_e32 v6, v14, v3
	s_delay_alu instid0(VALU_DEP_1) | instskip(NEXT) | instid1(VALU_DEP_1)
	v_sub_f32_e32 v7, v6, v14
	v_dual_mul_f32 v8, v5, v6 :: v_dual_sub_f32 v3, v3, v7
	s_delay_alu instid0(VALU_DEP_1) | instskip(SKIP_1) | instid1(VALU_DEP_2)
	v_fma_f32 v6, v5, v6, -v8
	v_cmp_class_f32_e64 vcc_lo, v8, 0x204
	v_fmac_f32_e32 v6, v5, v3
	s_delay_alu instid0(VALU_DEP_1) | instskip(NEXT) | instid1(VALU_DEP_1)
	v_add_f32_e32 v3, v8, v6
	v_cndmask_b32_e32 v7, v3, v8, vcc_lo
	s_delay_alu instid0(VALU_DEP_1) | instskip(SKIP_2) | instid1(VALU_DEP_2)
	v_cmp_eq_f32_e32 vcc_lo, 0x42b17218, v7
	v_cndmask_b32_e64 v9, 0, 0x37000000, vcc_lo
	v_cmp_neq_f32_e64 vcc_lo, 0x7f800000, |v7|
	v_sub_f32_e32 v10, v7, v9
	v_trunc_f32_e32 v7, v5
	s_delay_alu instid0(VALU_DEP_2) | instskip(NEXT) | instid1(VALU_DEP_1)
	v_mul_f32_e32 v11, 0x3fb8aa3b, v10
	v_fma_f32 v12, 0x3fb8aa3b, v10, -v11
	v_rndne_f32_e32 v13, v11
	s_delay_alu instid0(VALU_DEP_1) | instskip(SKIP_1) | instid1(VALU_DEP_1)
	v_dual_fmamk_f32 v12, v10, 0x32a5705f, v12 :: v_dual_sub_f32 v11, v11, v13
	v_sub_f32_e32 v3, v3, v8
	v_dual_add_f32 v11, v11, v12 :: v_dual_sub_f32 v3, v6, v3
	s_delay_alu instid0(VALU_DEP_1) | instskip(SKIP_2) | instid1(VALU_DEP_3)
	v_exp_f32_e32 v8, v11
	v_nop
	v_cvt_i32_f32_e32 v11, v13
	v_cndmask_b32_e32 v3, 0, v3, vcc_lo
	v_cmp_ngt_f32_e32 vcc_lo, 0xc2ce8ed0, v10
	s_delay_alu instid0(TRANS32_DEP_1) | instid1(VALU_DEP_3)
	v_ldexp_f32 v6, v8, v11
	s_delay_alu instid0(VALU_DEP_1) | instskip(NEXT) | instid1(VALU_DEP_1)
	v_dual_mul_f32 v8, 0.5, v5 :: v_dual_cndmask_b32 v6, 0, v6, vcc_lo
	v_trunc_f32_e32 v11, v8
	v_cmp_nlt_f32_e32 vcc_lo, 0x42b17218, v10
	s_delay_alu instid0(VALU_DEP_2) | instskip(NEXT) | instid1(VALU_DEP_4)
	v_cmp_neq_f32_e64 s0, v11, v8
	v_cndmask_b32_e32 v6, 0x7f800000, v6, vcc_lo
	v_cmp_eq_f32_e32 vcc_lo, v7, v5
	s_delay_alu instid0(VALU_DEP_2) | instskip(SKIP_1) | instid1(SALU_CYCLE_1)
	v_cmp_class_f32_e64 s1, v6, 0x204
	s_and_b32 s0, vcc_lo, s0
	v_dual_cndmask_b32 v7, 1.0, v4, s0 :: v_dual_add_f32 v3, v9, v3
	s_delay_alu instid0(VALU_DEP_1) | instskip(NEXT) | instid1(VALU_DEP_1)
	v_fma_f32 v3, v6, v3, v6
	v_cndmask_b32_e64 v3, v3, v6, s1
	v_cndmask_b32_e64 v6, 0x7f800000, 0, s18
	v_cmp_gt_f32_e64 s1, 0, v5
	s_delay_alu instid0(VALU_DEP_3) | instskip(SKIP_1) | instid1(SALU_CYCLE_1)
	v_bfi_b32 v3, 0x7fffffff, v3, v7
	s_xor_b32 s1, s1, s2
	v_cndmask_b32_e64 v8, 0x7f800000, 0, s1
	s_delay_alu instid0(VALU_DEP_2) | instskip(SKIP_3) | instid1(VALU_DEP_3)
	v_cndmask_b32_e32 v7, 0x7fc00000, v3, vcc_lo
	v_cmp_neq_f32_e64 vcc_lo, |v4|, 1.0
	v_cndmask_b32_e32 v6, 1.0, v6, vcc_lo
	v_cmp_gt_f32_e32 vcc_lo, 0, v4
	v_dual_cndmask_b32 v3, v3, v7, vcc_lo :: v_dual_cndmask_b32 v7, 0, v4, s0
	v_cmp_class_f32_e64 vcc_lo, v5, 0x204
	v_cmp_class_f32_e64 s0, v4, 0x204
	s_delay_alu instid0(VALU_DEP_3) | instskip(NEXT) | instid1(VALU_DEP_4)
	v_bfi_b32 v5, 0x7fffffff, v8, v7
	v_cndmask_b32_e32 v3, v3, v6, vcc_lo
	s_or_b32 vcc_lo, s2, s0
	s_delay_alu instid0(VALU_DEP_1) | instskip(SKIP_3) | instid1(VALU_DEP_3)
	v_cndmask_b32_e32 v3, v3, v5, vcc_lo
	v_cmp_o_f32_e32 vcc_lo, v4, v4
	s_wait_loadcnt 0x0
	v_cvt_f32_i32_e32 v5, v22
                                        ; implicit-def: $vgpr4
	v_cndmask_b32_e32 v3, 0x7fc00000, v3, vcc_lo
	s_delay_alu instid0(VALU_DEP_1)
	v_mul_f32_e32 v6, v3, v5
                                        ; implicit-def: $vgpr3
.LBB6_25:
	s_and_not1_saveexec_b32 s16, s16
	s_cbranch_execz .LBB6_27
; %bb.26:
	v_cvt_f32_i32_e32 v4, v4
	s_cmp_neq_f32 s5, 1.0
	s_mov_b32 s0, 0x3e76c4e1
	global_load_b32 v22, v3, s[20:21] scale_offset
	s_cselect_b32 vcc_lo, -1, 0
	v_mul_f32_e32 v4, 0.5, v4
	s_delay_alu instid0(VALU_DEP_1) | instskip(NEXT) | instid1(VALU_DEP_1)
	v_cndmask_b32_e32 v5, 1.0, v4, vcc_lo
	v_cmp_neq_f32_e32 vcc_lo, 0, v5
	v_cndmask_b32_e64 v4, 1.0, s5, vcc_lo
	s_delay_alu instid0(VALU_DEP_1) | instskip(SKIP_2) | instid1(VALU_DEP_3)
	v_frexp_mant_f32_e64 v6, |v4|
	v_cmp_lt_f32_e64 s19, |v4|, 1.0
	v_cmp_eq_f32_e64 s2, 0, v4
	v_cmp_gt_f32_e32 vcc_lo, 0x3f2aaaab, v6
	v_cndmask_b32_e64 v7, 1.0, 2.0, vcc_lo
	s_delay_alu instid0(VALU_DEP_1) | instskip(NEXT) | instid1(VALU_DEP_1)
	v_mul_f32_e32 v6, v6, v7
	v_dual_add_f32 v9, 1.0, v6 :: v_dual_add_f32 v7, -1.0, v6
	v_cmp_neq_f32_e64 s18, v5, |v5|
	s_delay_alu instid0(VALU_DEP_2)
	v_rcp_f32_e32 v12, v9
	v_add_f32_e32 v10, -1.0, v9
	s_xor_b32 s18, s18, s19
	s_delay_alu instid0(TRANS32_DEP_1) | instid1(VALU_DEP_1)
	v_dual_sub_f32 v6, v6, v10 :: v_dual_mul_f32 v13, v7, v12
	s_delay_alu instid0(VALU_DEP_1) | instskip(NEXT) | instid1(VALU_DEP_1)
	v_mul_f32_e32 v8, v9, v13
	v_fma_f32 v10, v13, v9, -v8
	s_delay_alu instid0(VALU_DEP_1) | instskip(NEXT) | instid1(VALU_DEP_1)
	v_fmac_f32_e32 v10, v13, v6
	v_add_f32_e32 v6, v8, v10
	s_delay_alu instid0(VALU_DEP_1) | instskip(NEXT) | instid1(VALU_DEP_1)
	v_dual_sub_f32 v9, v7, v6 :: v_dual_mov_b32 v11, v6
	v_pk_add_f32 v[6:7], v[6:7], v[8:9] neg_lo:[0,1] neg_hi:[0,1]
	s_delay_alu instid0(VALU_DEP_1) | instskip(NEXT) | instid1(VALU_DEP_1)
	v_pk_add_f32 v[6:7], v[6:7], v[10:11] neg_lo:[0,1] neg_hi:[0,1]
	v_add_f32_e32 v6, v6, v7
	s_delay_alu instid0(VALU_DEP_1) | instskip(NEXT) | instid1(VALU_DEP_1)
	v_add_f32_e32 v6, v9, v6
	v_mul_f32_e32 v7, v12, v6
	s_delay_alu instid0(VALU_DEP_1) | instskip(NEXT) | instid1(VALU_DEP_1)
	v_add_f32_e32 v6, v13, v7
	v_sub_f32_e32 v8, v6, v13
	s_delay_alu instid0(VALU_DEP_1) | instskip(NEXT) | instid1(VALU_DEP_1)
	v_sub_f32_e32 v18, v7, v8
	v_add_f32_e32 v8, v18, v18
	v_mul_f32_e32 v9, v6, v6
	s_delay_alu instid0(VALU_DEP_1) | instskip(NEXT) | instid1(VALU_DEP_1)
	v_fma_f32 v7, v6, v6, -v9
	v_fmac_f32_e32 v7, v6, v8
	s_delay_alu instid0(VALU_DEP_1) | instskip(NEXT) | instid1(VALU_DEP_1)
	v_add_f32_e32 v8, v9, v7
	v_dual_fmaak_f32 v10, s0, v8, 0x3e91f4c4 :: v_dual_sub_f32 v9, v8, v9
	s_delay_alu instid0(VALU_DEP_1) | instskip(SKIP_1) | instid1(VALU_DEP_2)
	v_fmaak_f32 v12, v8, v10, 0x3ecccdef
	v_cvt_f64_f32_e64 v[10:11], |v4|
	v_dual_sub_f32 v16, v7, v9 :: v_dual_mul_f32 v13, v8, v12
	s_delay_alu instid0(VALU_DEP_1) | instskip(NEXT) | instid1(VALU_DEP_1)
	v_fma_f32 v7, v8, v12, -v13
	v_fmac_f32_e32 v7, v16, v12
	s_wait_xcnt 0x0
	s_delay_alu instid0(VALU_DEP_1) | instskip(NEXT) | instid1(VALU_DEP_1)
	v_add_f32_e32 v3, v13, v7
	v_sub_f32_e32 v9, v3, v13
	v_add_f32_e32 v13, 0x3f2aaaaa, v3
	s_delay_alu instid0(VALU_DEP_2) | instskip(NEXT) | instid1(VALU_DEP_2)
	v_sub_f32_e32 v7, v7, v9
	v_add_f32_e32 v9, 0xbf2aaaaa, v13
	v_frexp_exp_i32_f64_e32 v17, v[10:11]
	s_delay_alu instid0(VALU_DEP_3) | instskip(NEXT) | instid1(VALU_DEP_3)
	v_add_f32_e32 v7, 0x31739010, v7
	v_sub_f32_e32 v9, v3, v9
	s_delay_alu instid0(VALU_DEP_1) | instskip(SKIP_1) | instid1(VALU_DEP_1)
	v_pk_mul_f32 v[10:11], v[6:7], v[8:9]
	v_pk_add_f32 v[14:15], v[6:7], v[8:9]
	v_dual_fma_f32 v12, v8, v6, -v10 :: v_dual_mov_b32 v11, v15
	s_delay_alu instid0(VALU_DEP_1) | instskip(NEXT) | instid1(VALU_DEP_1)
	v_fmac_f32_e32 v12, v8, v18
	v_fmac_f32_e32 v12, v16, v6
	s_delay_alu instid0(VALU_DEP_1) | instskip(SKIP_1) | instid1(VALU_DEP_2)
	v_pk_add_f32 v[8:9], v[10:11], v[12:13]
	v_subrev_co_ci_u32_e64 v3, null, 0, v17, vcc_lo
	v_mov_b32_e32 v14, v9
	s_delay_alu instid0(VALU_DEP_3) | instskip(NEXT) | instid1(VALU_DEP_3)
	v_dual_sub_f32 v7, v13, v9 :: v_dual_sub_f32 v11, v8, v10
	v_cvt_f32_i32_e32 v3, v3
	s_delay_alu instid0(VALU_DEP_3) | instskip(NEXT) | instid1(VALU_DEP_3)
	v_pk_mul_f32 v[16:17], v[8:9], v[14:15]
	v_add_f32_e32 v7, v15, v7
	s_delay_alu instid0(VALU_DEP_4) | instskip(NEXT) | instid1(VALU_DEP_3)
	v_sub_f32_e32 v11, v12, v11
	v_fma_f32 v10, v8, v9, -v16
	s_delay_alu instid0(VALU_DEP_1) | instskip(NEXT) | instid1(VALU_DEP_1)
	v_fmac_f32_e32 v10, v8, v7
	v_fmac_f32_e32 v10, v11, v9
	v_mul_f32_e32 v14, 0x3f317218, v3
	v_ldexp_f32 v9, v6, 1
	s_delay_alu instid0(VALU_DEP_3) | instskip(NEXT) | instid1(VALU_DEP_3)
	v_add_f32_e32 v15, v16, v10
	v_fma_f32 v7, 0x3f317218, v3, -v14
	s_delay_alu instid0(VALU_DEP_2) | instskip(NEXT) | instid1(VALU_DEP_2)
	v_dual_mov_b32 v17, v9 :: v_dual_mov_b32 v11, v15
	v_fmamk_f32 v8, v3, 0xb102e308, v7
	v_ldexp_f32 v3, v18, 1
	s_delay_alu instid0(VALU_DEP_2) | instskip(NEXT) | instid1(VALU_DEP_1)
	v_pk_add_f32 v[6:7], v[14:15], v[8:9]
	v_dual_mov_b32 v12, v15 :: v_dual_mov_b32 v13, v7
	s_delay_alu instid0(VALU_DEP_2) | instskip(NEXT) | instid1(VALU_DEP_2)
	v_dual_mov_b32 v9, v6 :: v_dual_mov_b32 v20, v7
	v_pk_add_f32 v[12:13], v[12:13], v[16:17] neg_lo:[0,1] neg_hi:[0,1]
	s_delay_alu instid0(VALU_DEP_1) | instskip(NEXT) | instid1(VALU_DEP_1)
	v_pk_add_f32 v[10:11], v[10:11], v[12:13] neg_lo:[0,1] neg_hi:[0,1]
	v_add_f32_e32 v3, v3, v10
	s_delay_alu instid0(VALU_DEP_1) | instskip(NEXT) | instid1(VALU_DEP_1)
	v_add_f32_e32 v15, v3, v11
	v_pk_add_f32 v[10:11], v[6:7], v[14:15]
	v_pk_add_f32 v[12:13], v[6:7], v[14:15] neg_lo:[0,1] neg_hi:[0,1]
	s_delay_alu instid0(VALU_DEP_2) | instskip(NEXT) | instid1(VALU_DEP_1)
	v_mov_b32_e32 v13, v11
	v_pk_add_f32 v[16:17], v[8:9], v[12:13]
	v_mov_b32_e32 v16, v11
	v_pk_add_f32 v[8:9], v[8:9], v[12:13] neg_lo:[0,1] neg_hi:[0,1]
	s_delay_alu instid0(VALU_DEP_3) | instskip(NEXT) | instid1(VALU_DEP_1)
	v_dual_mov_b32 v14, v17 :: v_dual_mov_b32 v9, v17
	v_pk_add_f32 v[18:19], v[14:15], v[6:7] neg_lo:[0,1] neg_hi:[0,1]
	v_dual_mov_b32 v7, v6 :: v_dual_mov_b32 v6, v15
	s_delay_alu instid0(VALU_DEP_2) | instskip(NEXT) | instid1(VALU_DEP_1)
	v_dual_mov_b32 v21, v18 :: v_dual_mov_b32 v3, v18
	v_pk_add_f32 v[12:13], v[16:17], v[20:21] neg_lo:[0,1] neg_hi:[0,1]
	s_delay_alu instid0(VALU_DEP_2) | instskip(SKIP_1) | instid1(VALU_DEP_3)
	v_pk_add_f32 v[10:11], v[10:11], v[2:3] neg_lo:[0,1] neg_hi:[0,1]
	v_mov_b32_e32 v10, v8
	v_pk_add_f32 v[6:7], v[6:7], v[12:13] neg_lo:[0,1] neg_hi:[0,1]
	s_delay_alu instid0(VALU_DEP_1) | instskip(NEXT) | instid1(VALU_DEP_1)
	v_pk_add_f32 v[10:11], v[10:11], v[6:7]
	v_mov_b32_e32 v12, v11
	s_delay_alu instid0(VALU_DEP_1) | instskip(NEXT) | instid1(VALU_DEP_1)
	v_pk_add_f32 v[12:13], v[10:11], v[12:13]
	v_pk_add_f32 v[14:15], v[14:15], v[12:13]
	s_delay_alu instid0(VALU_DEP_1) | instskip(NEXT) | instid1(VALU_DEP_1)
	v_dual_mov_b32 v7, v12 :: v_dual_mov_b32 v11, v14
	v_pk_add_f32 v[16:17], v[10:11], v[8:9] neg_lo:[0,1] neg_hi:[0,1]
	s_delay_alu instid0(VALU_DEP_1) | instskip(NEXT) | instid1(VALU_DEP_2)
	v_sub_f32_e32 v3, v10, v16
	v_pk_add_f32 v[6:7], v[6:7], v[16:17] neg_lo:[0,1] neg_hi:[0,1]
	s_delay_alu instid0(VALU_DEP_2) | instskip(NEXT) | instid1(VALU_DEP_1)
	v_sub_f32_e32 v3, v8, v3
	v_add_f32_e32 v3, v6, v3
	s_delay_alu instid0(VALU_DEP_1) | instskip(NEXT) | instid1(VALU_DEP_1)
	v_add_f32_e32 v3, v3, v7
	v_add_f32_e32 v6, v14, v3
	s_delay_alu instid0(VALU_DEP_1) | instskip(NEXT) | instid1(VALU_DEP_1)
	v_sub_f32_e32 v7, v6, v14
	v_dual_mul_f32 v8, v5, v6 :: v_dual_sub_f32 v3, v3, v7
	s_delay_alu instid0(VALU_DEP_1) | instskip(SKIP_1) | instid1(VALU_DEP_2)
	v_fma_f32 v6, v5, v6, -v8
	v_cmp_class_f32_e64 vcc_lo, v8, 0x204
	v_fmac_f32_e32 v6, v5, v3
	s_delay_alu instid0(VALU_DEP_1) | instskip(NEXT) | instid1(VALU_DEP_1)
	v_add_f32_e32 v3, v8, v6
	v_cndmask_b32_e32 v7, v3, v8, vcc_lo
	s_delay_alu instid0(VALU_DEP_1) | instskip(SKIP_2) | instid1(VALU_DEP_2)
	v_cmp_eq_f32_e32 vcc_lo, 0x42b17218, v7
	v_cndmask_b32_e64 v9, 0, 0x37000000, vcc_lo
	v_cmp_neq_f32_e64 vcc_lo, 0x7f800000, |v7|
	v_sub_f32_e32 v10, v7, v9
	v_trunc_f32_e32 v7, v5
	s_delay_alu instid0(VALU_DEP_2) | instskip(NEXT) | instid1(VALU_DEP_1)
	v_mul_f32_e32 v11, 0x3fb8aa3b, v10
	v_fma_f32 v12, 0x3fb8aa3b, v10, -v11
	v_rndne_f32_e32 v13, v11
	s_delay_alu instid0(VALU_DEP_1) | instskip(SKIP_1) | instid1(VALU_DEP_1)
	v_dual_fmamk_f32 v12, v10, 0x32a5705f, v12 :: v_dual_sub_f32 v11, v11, v13
	v_sub_f32_e32 v3, v3, v8
	v_dual_add_f32 v11, v11, v12 :: v_dual_sub_f32 v3, v6, v3
	s_delay_alu instid0(VALU_DEP_1) | instskip(SKIP_2) | instid1(VALU_DEP_3)
	v_exp_f32_e32 v8, v11
	v_nop
	v_cvt_i32_f32_e32 v11, v13
	v_cndmask_b32_e32 v3, 0, v3, vcc_lo
	v_cmp_ngt_f32_e32 vcc_lo, 0xc2ce8ed0, v10
	s_delay_alu instid0(TRANS32_DEP_1) | instid1(VALU_DEP_3)
	v_ldexp_f32 v6, v8, v11
	s_delay_alu instid0(VALU_DEP_1) | instskip(NEXT) | instid1(VALU_DEP_1)
	v_dual_mul_f32 v8, 0.5, v5 :: v_dual_cndmask_b32 v6, 0, v6, vcc_lo
	v_trunc_f32_e32 v11, v8
	v_cmp_nlt_f32_e32 vcc_lo, 0x42b17218, v10
	s_delay_alu instid0(VALU_DEP_2) | instskip(NEXT) | instid1(VALU_DEP_4)
	v_cmp_neq_f32_e64 s0, v11, v8
	v_cndmask_b32_e32 v6, 0x7f800000, v6, vcc_lo
	v_cmp_eq_f32_e32 vcc_lo, v7, v5
	s_delay_alu instid0(VALU_DEP_2) | instskip(SKIP_1) | instid1(SALU_CYCLE_1)
	v_cmp_class_f32_e64 s1, v6, 0x204
	s_and_b32 s0, vcc_lo, s0
	v_dual_cndmask_b32 v7, 1.0, v4, s0 :: v_dual_add_f32 v3, v9, v3
	s_delay_alu instid0(VALU_DEP_1) | instskip(NEXT) | instid1(VALU_DEP_1)
	v_fma_f32 v3, v6, v3, v6
	v_cndmask_b32_e64 v3, v3, v6, s1
	v_cndmask_b32_e64 v6, 0x7f800000, 0, s18
	v_cmp_gt_f32_e64 s1, 0, v5
	s_delay_alu instid0(VALU_DEP_3) | instskip(SKIP_1) | instid1(SALU_CYCLE_1)
	v_bfi_b32 v3, 0x7fffffff, v3, v7
	s_xor_b32 s1, s1, s2
	v_cndmask_b32_e64 v8, 0x7f800000, 0, s1
	s_delay_alu instid0(VALU_DEP_2) | instskip(SKIP_3) | instid1(VALU_DEP_3)
	v_cndmask_b32_e32 v7, 0x7fc00000, v3, vcc_lo
	v_cmp_neq_f32_e64 vcc_lo, |v4|, 1.0
	v_cndmask_b32_e32 v6, 1.0, v6, vcc_lo
	v_cmp_gt_f32_e32 vcc_lo, 0, v4
	v_dual_cndmask_b32 v3, v3, v7, vcc_lo :: v_dual_cndmask_b32 v7, 0, v4, s0
	v_cmp_class_f32_e64 vcc_lo, v5, 0x204
	v_cmp_class_f32_e64 s0, v4, 0x204
	s_delay_alu instid0(VALU_DEP_3) | instskip(NEXT) | instid1(VALU_DEP_4)
	v_bfi_b32 v5, 0x7fffffff, v8, v7
	v_cndmask_b32_e32 v3, v3, v6, vcc_lo
	s_or_b32 vcc_lo, s2, s0
	s_delay_alu instid0(VALU_DEP_1) | instskip(SKIP_3) | instid1(VALU_DEP_3)
	v_cndmask_b32_e32 v3, v3, v5, vcc_lo
	v_cmp_o_f32_e32 vcc_lo, v4, v4
	s_wait_loadcnt 0x0
	v_cvt_f32_i32_e32 v5, v22
	v_cndmask_b32_e32 v3, 0x7fc00000, v3, vcc_lo
	s_delay_alu instid0(VALU_DEP_1)
	v_mul_f32_e32 v6, v3, v5
.LBB6_27:
	s_or_b32 exec_lo, exec_lo, s16
                                        ; implicit-def: $vgpr3
                                        ; implicit-def: $vgpr4
.LBB6_28:
	s_and_not1_saveexec_b32 s16, s17
	s_cbranch_execz .LBB6_30
; %bb.29:
	v_cvt_f32_i32_e32 v4, v4
	s_cmp_neq_f32 s5, 1.0
	s_mov_b32 s0, 0x3e76c4e1
	v_lshl_add_u32 v3, s6, 1, v3
	s_cselect_b32 vcc_lo, -1, 0
	v_mul_f32_e32 v4, 0.5, v4
	global_load_b32 v22, v3, s[20:21] scale_offset
	v_cndmask_b32_e32 v5, 1.0, v4, vcc_lo
	s_delay_alu instid0(VALU_DEP_1) | instskip(SKIP_1) | instid1(VALU_DEP_1)
	v_cmp_neq_f32_e32 vcc_lo, 0, v5
	v_cndmask_b32_e64 v4, 1.0, s5, vcc_lo
	v_frexp_mant_f32_e64 v6, |v4|
	v_cmp_lt_f32_e64 s18, |v4|, 1.0
	v_cmp_eq_f32_e64 s2, 0, v4
	s_delay_alu instid0(VALU_DEP_3) | instskip(SKIP_1) | instid1(VALU_DEP_1)
	v_cmp_gt_f32_e32 vcc_lo, 0x3f2aaaab, v6
	v_cndmask_b32_e64 v7, 1.0, 2.0, vcc_lo
	v_mul_f32_e32 v6, v6, v7
	s_delay_alu instid0(VALU_DEP_1) | instskip(SKIP_1) | instid1(VALU_DEP_2)
	v_dual_add_f32 v9, 1.0, v6 :: v_dual_add_f32 v7, -1.0, v6
	v_cmp_neq_f32_e64 s17, v5, |v5|
	v_rcp_f32_e32 v12, v9
	v_add_f32_e32 v10, -1.0, v9
	s_xor_b32 s17, s17, s18
	s_delay_alu instid0(TRANS32_DEP_1) | instid1(VALU_DEP_1)
	v_dual_sub_f32 v6, v6, v10 :: v_dual_mul_f32 v13, v7, v12
	s_delay_alu instid0(VALU_DEP_1) | instskip(NEXT) | instid1(VALU_DEP_1)
	v_mul_f32_e32 v8, v9, v13
	v_fma_f32 v10, v13, v9, -v8
	s_delay_alu instid0(VALU_DEP_1) | instskip(NEXT) | instid1(VALU_DEP_1)
	v_fmac_f32_e32 v10, v13, v6
	v_add_f32_e32 v6, v8, v10
	s_delay_alu instid0(VALU_DEP_1) | instskip(NEXT) | instid1(VALU_DEP_1)
	v_dual_sub_f32 v9, v7, v6 :: v_dual_mov_b32 v11, v6
	v_pk_add_f32 v[6:7], v[6:7], v[8:9] neg_lo:[0,1] neg_hi:[0,1]
	s_delay_alu instid0(VALU_DEP_1) | instskip(NEXT) | instid1(VALU_DEP_1)
	v_pk_add_f32 v[6:7], v[6:7], v[10:11] neg_lo:[0,1] neg_hi:[0,1]
	v_add_f32_e32 v6, v6, v7
	s_delay_alu instid0(VALU_DEP_1) | instskip(NEXT) | instid1(VALU_DEP_1)
	v_add_f32_e32 v6, v9, v6
	v_mul_f32_e32 v7, v12, v6
	s_delay_alu instid0(VALU_DEP_1) | instskip(NEXT) | instid1(VALU_DEP_1)
	v_add_f32_e32 v6, v13, v7
	v_sub_f32_e32 v8, v6, v13
	s_delay_alu instid0(VALU_DEP_1) | instskip(NEXT) | instid1(VALU_DEP_1)
	v_sub_f32_e32 v18, v7, v8
	v_add_f32_e32 v8, v18, v18
	v_mul_f32_e32 v9, v6, v6
	s_delay_alu instid0(VALU_DEP_1) | instskip(NEXT) | instid1(VALU_DEP_1)
	v_fma_f32 v7, v6, v6, -v9
	v_fmac_f32_e32 v7, v6, v8
	s_delay_alu instid0(VALU_DEP_1) | instskip(NEXT) | instid1(VALU_DEP_1)
	v_add_f32_e32 v8, v9, v7
	v_dual_fmaak_f32 v10, s0, v8, 0x3e91f4c4 :: v_dual_sub_f32 v9, v8, v9
	s_delay_alu instid0(VALU_DEP_1) | instskip(SKIP_1) | instid1(VALU_DEP_2)
	v_fmaak_f32 v12, v8, v10, 0x3ecccdef
	v_cvt_f64_f32_e64 v[10:11], |v4|
	v_dual_sub_f32 v16, v7, v9 :: v_dual_mul_f32 v13, v8, v12
	s_delay_alu instid0(VALU_DEP_1) | instskip(NEXT) | instid1(VALU_DEP_1)
	v_fma_f32 v7, v8, v12, -v13
	v_fmac_f32_e32 v7, v16, v12
	s_wait_xcnt 0x0
	s_delay_alu instid0(VALU_DEP_1) | instskip(NEXT) | instid1(VALU_DEP_1)
	v_add_f32_e32 v3, v13, v7
	v_sub_f32_e32 v9, v3, v13
	v_add_f32_e32 v13, 0x3f2aaaaa, v3
	s_delay_alu instid0(VALU_DEP_2) | instskip(NEXT) | instid1(VALU_DEP_2)
	v_sub_f32_e32 v7, v7, v9
	v_add_f32_e32 v9, 0xbf2aaaaa, v13
	v_frexp_exp_i32_f64_e32 v17, v[10:11]
	s_delay_alu instid0(VALU_DEP_3) | instskip(NEXT) | instid1(VALU_DEP_3)
	v_add_f32_e32 v7, 0x31739010, v7
	v_sub_f32_e32 v9, v3, v9
	s_delay_alu instid0(VALU_DEP_1) | instskip(SKIP_1) | instid1(VALU_DEP_1)
	v_pk_mul_f32 v[10:11], v[6:7], v[8:9]
	v_pk_add_f32 v[14:15], v[6:7], v[8:9]
	v_dual_fma_f32 v12, v8, v6, -v10 :: v_dual_mov_b32 v11, v15
	s_delay_alu instid0(VALU_DEP_1) | instskip(NEXT) | instid1(VALU_DEP_1)
	v_fmac_f32_e32 v12, v8, v18
	v_fmac_f32_e32 v12, v16, v6
	s_delay_alu instid0(VALU_DEP_1) | instskip(SKIP_1) | instid1(VALU_DEP_2)
	v_pk_add_f32 v[8:9], v[10:11], v[12:13]
	v_subrev_co_ci_u32_e64 v3, null, 0, v17, vcc_lo
	v_mov_b32_e32 v14, v9
	s_delay_alu instid0(VALU_DEP_3) | instskip(NEXT) | instid1(VALU_DEP_3)
	v_dual_sub_f32 v7, v13, v9 :: v_dual_sub_f32 v11, v8, v10
	v_cvt_f32_i32_e32 v3, v3
	s_delay_alu instid0(VALU_DEP_3) | instskip(NEXT) | instid1(VALU_DEP_3)
	v_pk_mul_f32 v[16:17], v[8:9], v[14:15]
	v_add_f32_e32 v7, v15, v7
	s_delay_alu instid0(VALU_DEP_4) | instskip(NEXT) | instid1(VALU_DEP_3)
	v_sub_f32_e32 v11, v12, v11
	v_fma_f32 v10, v8, v9, -v16
	s_delay_alu instid0(VALU_DEP_1) | instskip(NEXT) | instid1(VALU_DEP_1)
	v_fmac_f32_e32 v10, v8, v7
	v_fmac_f32_e32 v10, v11, v9
	v_mul_f32_e32 v14, 0x3f317218, v3
	v_ldexp_f32 v9, v6, 1
	s_delay_alu instid0(VALU_DEP_3) | instskip(NEXT) | instid1(VALU_DEP_3)
	v_add_f32_e32 v15, v16, v10
	v_fma_f32 v7, 0x3f317218, v3, -v14
	s_delay_alu instid0(VALU_DEP_2) | instskip(NEXT) | instid1(VALU_DEP_2)
	v_dual_mov_b32 v17, v9 :: v_dual_mov_b32 v11, v15
	v_fmamk_f32 v8, v3, 0xb102e308, v7
	v_ldexp_f32 v3, v18, 1
	s_delay_alu instid0(VALU_DEP_2) | instskip(NEXT) | instid1(VALU_DEP_1)
	v_pk_add_f32 v[6:7], v[14:15], v[8:9]
	v_dual_mov_b32 v12, v15 :: v_dual_mov_b32 v13, v7
	s_delay_alu instid0(VALU_DEP_2) | instskip(NEXT) | instid1(VALU_DEP_2)
	v_dual_mov_b32 v9, v6 :: v_dual_mov_b32 v20, v7
	v_pk_add_f32 v[12:13], v[12:13], v[16:17] neg_lo:[0,1] neg_hi:[0,1]
	s_delay_alu instid0(VALU_DEP_1) | instskip(NEXT) | instid1(VALU_DEP_1)
	v_pk_add_f32 v[10:11], v[10:11], v[12:13] neg_lo:[0,1] neg_hi:[0,1]
	v_add_f32_e32 v3, v3, v10
	s_delay_alu instid0(VALU_DEP_1) | instskip(NEXT) | instid1(VALU_DEP_1)
	v_add_f32_e32 v15, v3, v11
	v_pk_add_f32 v[10:11], v[6:7], v[14:15]
	v_pk_add_f32 v[12:13], v[6:7], v[14:15] neg_lo:[0,1] neg_hi:[0,1]
	s_delay_alu instid0(VALU_DEP_2) | instskip(NEXT) | instid1(VALU_DEP_1)
	v_mov_b32_e32 v13, v11
	v_pk_add_f32 v[16:17], v[8:9], v[12:13]
	v_mov_b32_e32 v16, v11
	v_pk_add_f32 v[8:9], v[8:9], v[12:13] neg_lo:[0,1] neg_hi:[0,1]
	s_delay_alu instid0(VALU_DEP_3) | instskip(NEXT) | instid1(VALU_DEP_1)
	v_dual_mov_b32 v14, v17 :: v_dual_mov_b32 v9, v17
	v_pk_add_f32 v[18:19], v[14:15], v[6:7] neg_lo:[0,1] neg_hi:[0,1]
	v_dual_mov_b32 v7, v6 :: v_dual_mov_b32 v6, v15
	s_delay_alu instid0(VALU_DEP_2) | instskip(NEXT) | instid1(VALU_DEP_1)
	v_dual_mov_b32 v21, v18 :: v_dual_mov_b32 v3, v18
	v_pk_add_f32 v[12:13], v[16:17], v[20:21] neg_lo:[0,1] neg_hi:[0,1]
	s_delay_alu instid0(VALU_DEP_2) | instskip(SKIP_1) | instid1(VALU_DEP_3)
	v_pk_add_f32 v[10:11], v[10:11], v[2:3] neg_lo:[0,1] neg_hi:[0,1]
	v_mov_b32_e32 v10, v8
	v_pk_add_f32 v[6:7], v[6:7], v[12:13] neg_lo:[0,1] neg_hi:[0,1]
	s_delay_alu instid0(VALU_DEP_1) | instskip(NEXT) | instid1(VALU_DEP_1)
	v_pk_add_f32 v[10:11], v[10:11], v[6:7]
	v_mov_b32_e32 v12, v11
	s_delay_alu instid0(VALU_DEP_1) | instskip(NEXT) | instid1(VALU_DEP_1)
	v_pk_add_f32 v[12:13], v[10:11], v[12:13]
	v_pk_add_f32 v[14:15], v[14:15], v[12:13]
	s_delay_alu instid0(VALU_DEP_1) | instskip(NEXT) | instid1(VALU_DEP_1)
	v_dual_mov_b32 v7, v12 :: v_dual_mov_b32 v11, v14
	v_pk_add_f32 v[16:17], v[10:11], v[8:9] neg_lo:[0,1] neg_hi:[0,1]
	s_delay_alu instid0(VALU_DEP_1) | instskip(NEXT) | instid1(VALU_DEP_2)
	v_sub_f32_e32 v3, v10, v16
	v_pk_add_f32 v[6:7], v[6:7], v[16:17] neg_lo:[0,1] neg_hi:[0,1]
	s_delay_alu instid0(VALU_DEP_2) | instskip(NEXT) | instid1(VALU_DEP_1)
	v_sub_f32_e32 v3, v8, v3
	v_add_f32_e32 v3, v6, v3
	s_delay_alu instid0(VALU_DEP_1) | instskip(NEXT) | instid1(VALU_DEP_1)
	v_add_f32_e32 v3, v3, v7
	v_add_f32_e32 v6, v14, v3
	s_delay_alu instid0(VALU_DEP_1) | instskip(NEXT) | instid1(VALU_DEP_1)
	v_sub_f32_e32 v7, v6, v14
	v_dual_mul_f32 v8, v5, v6 :: v_dual_sub_f32 v3, v3, v7
	s_delay_alu instid0(VALU_DEP_1) | instskip(SKIP_1) | instid1(VALU_DEP_2)
	v_fma_f32 v6, v5, v6, -v8
	v_cmp_class_f32_e64 vcc_lo, v8, 0x204
	v_fmac_f32_e32 v6, v5, v3
	s_delay_alu instid0(VALU_DEP_1) | instskip(NEXT) | instid1(VALU_DEP_1)
	v_add_f32_e32 v3, v8, v6
	v_cndmask_b32_e32 v7, v3, v8, vcc_lo
	s_delay_alu instid0(VALU_DEP_1) | instskip(SKIP_2) | instid1(VALU_DEP_2)
	v_cmp_eq_f32_e32 vcc_lo, 0x42b17218, v7
	v_cndmask_b32_e64 v9, 0, 0x37000000, vcc_lo
	v_cmp_neq_f32_e64 vcc_lo, 0x7f800000, |v7|
	v_sub_f32_e32 v10, v7, v9
	v_trunc_f32_e32 v7, v5
	s_delay_alu instid0(VALU_DEP_2) | instskip(NEXT) | instid1(VALU_DEP_1)
	v_mul_f32_e32 v11, 0x3fb8aa3b, v10
	v_fma_f32 v12, 0x3fb8aa3b, v10, -v11
	v_rndne_f32_e32 v13, v11
	s_delay_alu instid0(VALU_DEP_1) | instskip(SKIP_1) | instid1(VALU_DEP_1)
	v_dual_fmamk_f32 v12, v10, 0x32a5705f, v12 :: v_dual_sub_f32 v11, v11, v13
	v_sub_f32_e32 v3, v3, v8
	v_dual_add_f32 v11, v11, v12 :: v_dual_sub_f32 v3, v6, v3
	s_delay_alu instid0(VALU_DEP_1) | instskip(SKIP_2) | instid1(VALU_DEP_3)
	v_exp_f32_e32 v8, v11
	v_nop
	v_cvt_i32_f32_e32 v11, v13
	v_cndmask_b32_e32 v3, 0, v3, vcc_lo
	v_cmp_ngt_f32_e32 vcc_lo, 0xc2ce8ed0, v10
	s_delay_alu instid0(TRANS32_DEP_1) | instid1(VALU_DEP_3)
	v_ldexp_f32 v6, v8, v11
	s_delay_alu instid0(VALU_DEP_1) | instskip(NEXT) | instid1(VALU_DEP_1)
	v_dual_mul_f32 v8, 0.5, v5 :: v_dual_cndmask_b32 v6, 0, v6, vcc_lo
	v_trunc_f32_e32 v11, v8
	v_cmp_nlt_f32_e32 vcc_lo, 0x42b17218, v10
	s_delay_alu instid0(VALU_DEP_2) | instskip(NEXT) | instid1(VALU_DEP_4)
	v_cmp_neq_f32_e64 s0, v11, v8
	v_cndmask_b32_e32 v6, 0x7f800000, v6, vcc_lo
	v_cmp_eq_f32_e32 vcc_lo, v7, v5
	s_delay_alu instid0(VALU_DEP_2) | instskip(SKIP_1) | instid1(SALU_CYCLE_1)
	v_cmp_class_f32_e64 s1, v6, 0x204
	s_and_b32 s0, vcc_lo, s0
	v_dual_cndmask_b32 v7, 1.0, v4, s0 :: v_dual_add_f32 v3, v9, v3
	s_delay_alu instid0(VALU_DEP_1) | instskip(NEXT) | instid1(VALU_DEP_1)
	v_fma_f32 v3, v6, v3, v6
	v_cndmask_b32_e64 v3, v3, v6, s1
	v_cndmask_b32_e64 v6, 0x7f800000, 0, s17
	v_cmp_gt_f32_e64 s1, 0, v5
	s_delay_alu instid0(VALU_DEP_3) | instskip(SKIP_1) | instid1(SALU_CYCLE_1)
	v_bfi_b32 v3, 0x7fffffff, v3, v7
	s_xor_b32 s1, s1, s2
	v_cndmask_b32_e64 v8, 0x7f800000, 0, s1
	s_delay_alu instid0(VALU_DEP_2) | instskip(SKIP_3) | instid1(VALU_DEP_3)
	v_cndmask_b32_e32 v7, 0x7fc00000, v3, vcc_lo
	v_cmp_neq_f32_e64 vcc_lo, |v4|, 1.0
	v_cndmask_b32_e32 v6, 1.0, v6, vcc_lo
	v_cmp_gt_f32_e32 vcc_lo, 0, v4
	v_dual_cndmask_b32 v3, v3, v7, vcc_lo :: v_dual_cndmask_b32 v7, 0, v4, s0
	v_cmp_class_f32_e64 vcc_lo, v5, 0x204
	v_cmp_class_f32_e64 s0, v4, 0x204
	s_delay_alu instid0(VALU_DEP_3) | instskip(NEXT) | instid1(VALU_DEP_4)
	v_bfi_b32 v5, 0x7fffffff, v8, v7
	v_cndmask_b32_e32 v3, v3, v6, vcc_lo
	s_or_b32 vcc_lo, s2, s0
	s_delay_alu instid0(VALU_DEP_1) | instskip(SKIP_3) | instid1(VALU_DEP_3)
	v_cndmask_b32_e32 v3, v3, v5, vcc_lo
	v_cmp_o_f32_e32 vcc_lo, v4, v4
	s_wait_loadcnt 0x0
	v_cvt_f32_i32_e32 v5, v22
	v_cndmask_b32_e32 v3, 0x7fc00000, v3, vcc_lo
	s_delay_alu instid0(VALU_DEP_1)
	v_mul_f32_e32 v6, v3, v5
.LBB6_30:
	s_or_b32 exec_lo, exec_lo, s16
                                        ; implicit-def: $vgpr3
                                        ; implicit-def: $vgpr4
.LBB6_31:
	s_and_not1_saveexec_b32 s7, s7
	s_cbranch_execz .LBB6_33
; %bb.32:
	v_cvt_f32_i32_e32 v4, v4
	s_cmp_neq_f32 s5, 1.0
	s_mov_b32 s0, 0x3e76c4e1
	s_delay_alu instid0(VALU_DEP_1) | instskip(SKIP_3) | instid1(VALU_DEP_1)
	v_dual_mul_f32 v4, 0.5, v4 :: v_dual_add_nc_u32 v3, s6, v3
	s_cselect_b32 vcc_lo, -1, 0
	global_load_b32 v22, v3, s[20:21] scale_offset
	v_cndmask_b32_e32 v5, 1.0, v4, vcc_lo
	v_cmp_neq_f32_e32 vcc_lo, 0, v5
	v_cndmask_b32_e64 v4, 1.0, s5, vcc_lo
	s_delay_alu instid0(VALU_DEP_1) | instskip(SKIP_2) | instid1(VALU_DEP_3)
	v_frexp_mant_f32_e64 v6, |v4|
	v_cmp_lt_f32_e64 s6, |v4|, 1.0
	v_cmp_eq_f32_e64 s2, 0, v4
	v_cmp_gt_f32_e32 vcc_lo, 0x3f2aaaab, v6
	v_cndmask_b32_e64 v7, 1.0, 2.0, vcc_lo
	s_delay_alu instid0(VALU_DEP_1) | instskip(NEXT) | instid1(VALU_DEP_1)
	v_mul_f32_e32 v6, v6, v7
	v_dual_add_f32 v9, 1.0, v6 :: v_dual_add_f32 v7, -1.0, v6
	v_cmp_neq_f32_e64 s5, v5, |v5|
	s_delay_alu instid0(VALU_DEP_2)
	v_rcp_f32_e32 v12, v9
	v_add_f32_e32 v10, -1.0, v9
	s_xor_b32 s5, s5, s6
	s_delay_alu instid0(TRANS32_DEP_1) | instid1(VALU_DEP_1)
	v_dual_sub_f32 v6, v6, v10 :: v_dual_mul_f32 v13, v7, v12
	s_delay_alu instid0(VALU_DEP_1) | instskip(NEXT) | instid1(VALU_DEP_1)
	v_mul_f32_e32 v8, v9, v13
	v_fma_f32 v10, v13, v9, -v8
	s_delay_alu instid0(VALU_DEP_1) | instskip(NEXT) | instid1(VALU_DEP_1)
	v_fmac_f32_e32 v10, v13, v6
	v_add_f32_e32 v6, v8, v10
	s_delay_alu instid0(VALU_DEP_1) | instskip(NEXT) | instid1(VALU_DEP_1)
	v_dual_sub_f32 v9, v7, v6 :: v_dual_mov_b32 v11, v6
	v_pk_add_f32 v[6:7], v[6:7], v[8:9] neg_lo:[0,1] neg_hi:[0,1]
	s_delay_alu instid0(VALU_DEP_1) | instskip(NEXT) | instid1(VALU_DEP_1)
	v_pk_add_f32 v[6:7], v[6:7], v[10:11] neg_lo:[0,1] neg_hi:[0,1]
	v_add_f32_e32 v6, v6, v7
	s_delay_alu instid0(VALU_DEP_1) | instskip(NEXT) | instid1(VALU_DEP_1)
	v_add_f32_e32 v6, v9, v6
	v_mul_f32_e32 v7, v12, v6
	s_delay_alu instid0(VALU_DEP_1) | instskip(NEXT) | instid1(VALU_DEP_1)
	v_add_f32_e32 v6, v13, v7
	v_sub_f32_e32 v8, v6, v13
	s_delay_alu instid0(VALU_DEP_1) | instskip(NEXT) | instid1(VALU_DEP_1)
	v_sub_f32_e32 v18, v7, v8
	v_add_f32_e32 v8, v18, v18
	v_mul_f32_e32 v9, v6, v6
	s_delay_alu instid0(VALU_DEP_1) | instskip(NEXT) | instid1(VALU_DEP_1)
	v_fma_f32 v7, v6, v6, -v9
	v_fmac_f32_e32 v7, v6, v8
	s_delay_alu instid0(VALU_DEP_1) | instskip(NEXT) | instid1(VALU_DEP_1)
	v_add_f32_e32 v8, v9, v7
	v_dual_fmaak_f32 v10, s0, v8, 0x3e91f4c4 :: v_dual_sub_f32 v9, v8, v9
	s_delay_alu instid0(VALU_DEP_1) | instskip(SKIP_1) | instid1(VALU_DEP_2)
	v_fmaak_f32 v12, v8, v10, 0x3ecccdef
	v_cvt_f64_f32_e64 v[10:11], |v4|
	v_dual_sub_f32 v16, v7, v9 :: v_dual_mul_f32 v13, v8, v12
	s_delay_alu instid0(VALU_DEP_1) | instskip(NEXT) | instid1(VALU_DEP_1)
	v_fma_f32 v7, v8, v12, -v13
	v_fmac_f32_e32 v7, v16, v12
	s_wait_xcnt 0x0
	s_delay_alu instid0(VALU_DEP_1) | instskip(NEXT) | instid1(VALU_DEP_1)
	v_add_f32_e32 v3, v13, v7
	v_sub_f32_e32 v9, v3, v13
	v_add_f32_e32 v13, 0x3f2aaaaa, v3
	s_delay_alu instid0(VALU_DEP_2) | instskip(NEXT) | instid1(VALU_DEP_2)
	v_sub_f32_e32 v7, v7, v9
	v_add_f32_e32 v9, 0xbf2aaaaa, v13
	v_frexp_exp_i32_f64_e32 v17, v[10:11]
	s_delay_alu instid0(VALU_DEP_3) | instskip(NEXT) | instid1(VALU_DEP_3)
	v_add_f32_e32 v7, 0x31739010, v7
	v_sub_f32_e32 v9, v3, v9
	s_delay_alu instid0(VALU_DEP_1) | instskip(SKIP_1) | instid1(VALU_DEP_2)
	v_pk_mul_f32 v[10:11], v[6:7], v[8:9]
	v_pk_add_f32 v[14:15], v[6:7], v[8:9]
	v_fma_f32 v12, v8, v6, -v10
	s_delay_alu instid0(VALU_DEP_1) | instskip(NEXT) | instid1(VALU_DEP_1)
	v_dual_fmac_f32 v12, v8, v18 :: v_dual_mov_b32 v11, v15
	v_fmac_f32_e32 v12, v16, v6
	s_delay_alu instid0(VALU_DEP_1) | instskip(SKIP_1) | instid1(VALU_DEP_2)
	v_pk_add_f32 v[8:9], v[10:11], v[12:13]
	v_subrev_co_ci_u32_e64 v3, null, 0, v17, vcc_lo
	v_mov_b32_e32 v14, v9
	s_delay_alu instid0(VALU_DEP_3) | instskip(NEXT) | instid1(VALU_DEP_3)
	v_dual_sub_f32 v7, v13, v9 :: v_dual_sub_f32 v11, v8, v10
	v_cvt_f32_i32_e32 v3, v3
	s_delay_alu instid0(VALU_DEP_3) | instskip(NEXT) | instid1(VALU_DEP_3)
	v_pk_mul_f32 v[16:17], v[8:9], v[14:15]
	v_add_f32_e32 v7, v15, v7
	s_delay_alu instid0(VALU_DEP_4) | instskip(NEXT) | instid1(VALU_DEP_3)
	v_sub_f32_e32 v11, v12, v11
	v_fma_f32 v10, v8, v9, -v16
	s_delay_alu instid0(VALU_DEP_1) | instskip(NEXT) | instid1(VALU_DEP_1)
	v_fmac_f32_e32 v10, v8, v7
	v_fmac_f32_e32 v10, v11, v9
	v_mul_f32_e32 v14, 0x3f317218, v3
	v_ldexp_f32 v9, v6, 1
	s_delay_alu instid0(VALU_DEP_3) | instskip(NEXT) | instid1(VALU_DEP_3)
	v_add_f32_e32 v15, v16, v10
	v_fma_f32 v7, 0x3f317218, v3, -v14
	s_delay_alu instid0(VALU_DEP_2) | instskip(NEXT) | instid1(VALU_DEP_2)
	v_dual_mov_b32 v17, v9 :: v_dual_mov_b32 v12, v15
	v_fmamk_f32 v8, v3, 0xb102e308, v7
	v_ldexp_f32 v3, v18, 1
	v_mov_b32_e32 v11, v15
	s_delay_alu instid0(VALU_DEP_3) | instskip(NEXT) | instid1(VALU_DEP_1)
	v_pk_add_f32 v[6:7], v[14:15], v[8:9]
	v_dual_mov_b32 v13, v7 :: v_dual_mov_b32 v9, v6
	v_mov_b32_e32 v20, v7
	s_delay_alu instid0(VALU_DEP_2) | instskip(NEXT) | instid1(VALU_DEP_1)
	v_pk_add_f32 v[12:13], v[12:13], v[16:17] neg_lo:[0,1] neg_hi:[0,1]
	v_pk_add_f32 v[10:11], v[10:11], v[12:13] neg_lo:[0,1] neg_hi:[0,1]
	s_delay_alu instid0(VALU_DEP_1) | instskip(NEXT) | instid1(VALU_DEP_1)
	v_add_f32_e32 v3, v3, v10
	v_add_f32_e32 v15, v3, v11
	s_delay_alu instid0(VALU_DEP_1) | instskip(SKIP_1) | instid1(VALU_DEP_2)
	v_pk_add_f32 v[10:11], v[6:7], v[14:15]
	v_pk_add_f32 v[12:13], v[6:7], v[14:15] neg_lo:[0,1] neg_hi:[0,1]
	v_mov_b32_e32 v13, v11
	s_delay_alu instid0(VALU_DEP_1) | instskip(SKIP_2) | instid1(VALU_DEP_3)
	v_pk_add_f32 v[16:17], v[8:9], v[12:13]
	v_mov_b32_e32 v16, v11
	v_pk_add_f32 v[8:9], v[8:9], v[12:13] neg_lo:[0,1] neg_hi:[0,1]
	v_mov_b32_e32 v14, v17
	s_delay_alu instid0(VALU_DEP_1) | instskip(NEXT) | instid1(VALU_DEP_1)
	v_pk_add_f32 v[18:19], v[14:15], v[6:7] neg_lo:[0,1] neg_hi:[0,1]
	v_dual_mov_b32 v7, v6 :: v_dual_mov_b32 v21, v18
	v_dual_mov_b32 v6, v15 :: v_dual_mov_b32 v3, v18
	s_delay_alu instid0(VALU_DEP_2) | instskip(NEXT) | instid1(VALU_DEP_2)
	v_pk_add_f32 v[12:13], v[16:17], v[20:21] neg_lo:[0,1] neg_hi:[0,1]
	v_pk_add_f32 v[10:11], v[10:11], v[2:3] neg_lo:[0,1] neg_hi:[0,1]
	v_mov_b32_e32 v10, v8
	s_delay_alu instid0(VALU_DEP_3) | instskip(NEXT) | instid1(VALU_DEP_1)
	v_pk_add_f32 v[6:7], v[6:7], v[12:13] neg_lo:[0,1] neg_hi:[0,1]
	v_pk_add_f32 v[10:11], v[10:11], v[6:7]
	s_delay_alu instid0(VALU_DEP_1) | instskip(NEXT) | instid1(VALU_DEP_1)
	v_mov_b32_e32 v12, v11
	v_pk_add_f32 v[12:13], v[10:11], v[12:13]
	s_delay_alu instid0(VALU_DEP_1) | instskip(NEXT) | instid1(VALU_DEP_1)
	v_pk_add_f32 v[14:15], v[14:15], v[12:13]
	v_dual_mov_b32 v9, v17 :: v_dual_mov_b32 v11, v14
	s_delay_alu instid0(VALU_DEP_1) | instskip(NEXT) | instid1(VALU_DEP_1)
	v_pk_add_f32 v[16:17], v[10:11], v[8:9] neg_lo:[0,1] neg_hi:[0,1]
	v_dual_mov_b32 v7, v12 :: v_dual_sub_f32 v3, v10, v16
	s_delay_alu instid0(VALU_DEP_1) | instskip(NEXT) | instid1(VALU_DEP_2)
	v_pk_add_f32 v[6:7], v[6:7], v[16:17] neg_lo:[0,1] neg_hi:[0,1]
	v_sub_f32_e32 v3, v8, v3
	s_delay_alu instid0(VALU_DEP_1) | instskip(NEXT) | instid1(VALU_DEP_1)
	v_add_f32_e32 v3, v6, v3
	v_add_f32_e32 v3, v3, v7
	s_delay_alu instid0(VALU_DEP_1) | instskip(NEXT) | instid1(VALU_DEP_1)
	v_add_f32_e32 v6, v14, v3
	v_sub_f32_e32 v7, v6, v14
	v_mul_f32_e32 v8, v5, v6
	s_delay_alu instid0(VALU_DEP_1) | instskip(SKIP_1) | instid1(VALU_DEP_2)
	v_dual_fma_f32 v6, v5, v6, -v8 :: v_dual_sub_f32 v3, v3, v7
	v_cmp_class_f32_e64 vcc_lo, v8, 0x204
	v_fmac_f32_e32 v6, v5, v3
	s_delay_alu instid0(VALU_DEP_1) | instskip(NEXT) | instid1(VALU_DEP_1)
	v_add_f32_e32 v3, v8, v6
	v_cndmask_b32_e32 v7, v3, v8, vcc_lo
	s_delay_alu instid0(VALU_DEP_1) | instskip(SKIP_2) | instid1(VALU_DEP_2)
	v_cmp_eq_f32_e32 vcc_lo, 0x42b17218, v7
	v_cndmask_b32_e64 v9, 0, 0x37000000, vcc_lo
	v_cmp_neq_f32_e64 vcc_lo, 0x7f800000, |v7|
	v_sub_f32_e32 v10, v7, v9
	v_trunc_f32_e32 v7, v5
	s_delay_alu instid0(VALU_DEP_2) | instskip(NEXT) | instid1(VALU_DEP_1)
	v_mul_f32_e32 v11, 0x3fb8aa3b, v10
	v_fma_f32 v12, 0x3fb8aa3b, v10, -v11
	v_rndne_f32_e32 v13, v11
	s_delay_alu instid0(VALU_DEP_1) | instskip(SKIP_1) | instid1(VALU_DEP_1)
	v_dual_fmamk_f32 v12, v10, 0x32a5705f, v12 :: v_dual_sub_f32 v11, v11, v13
	v_sub_f32_e32 v3, v3, v8
	v_dual_add_f32 v11, v11, v12 :: v_dual_sub_f32 v3, v6, v3
	s_delay_alu instid0(VALU_DEP_1) | instskip(SKIP_2) | instid1(VALU_DEP_3)
	v_exp_f32_e32 v8, v11
	v_nop
	v_cvt_i32_f32_e32 v11, v13
	v_cndmask_b32_e32 v3, 0, v3, vcc_lo
	v_cmp_ngt_f32_e32 vcc_lo, 0xc2ce8ed0, v10
	s_delay_alu instid0(TRANS32_DEP_1) | instid1(VALU_DEP_3)
	v_ldexp_f32 v6, v8, v11
	s_delay_alu instid0(VALU_DEP_1) | instskip(NEXT) | instid1(VALU_DEP_1)
	v_dual_mul_f32 v8, 0.5, v5 :: v_dual_cndmask_b32 v6, 0, v6, vcc_lo
	v_trunc_f32_e32 v11, v8
	v_cmp_nlt_f32_e32 vcc_lo, 0x42b17218, v10
	s_delay_alu instid0(VALU_DEP_2) | instskip(NEXT) | instid1(VALU_DEP_4)
	v_cmp_neq_f32_e64 s0, v11, v8
	v_cndmask_b32_e32 v6, 0x7f800000, v6, vcc_lo
	v_cmp_eq_f32_e32 vcc_lo, v7, v5
	s_delay_alu instid0(VALU_DEP_2) | instskip(SKIP_1) | instid1(SALU_CYCLE_1)
	v_cmp_class_f32_e64 s1, v6, 0x204
	s_and_b32 s0, vcc_lo, s0
	v_dual_cndmask_b32 v7, 1.0, v4, s0 :: v_dual_add_f32 v3, v9, v3
	s_delay_alu instid0(VALU_DEP_1) | instskip(NEXT) | instid1(VALU_DEP_1)
	v_fma_f32 v3, v6, v3, v6
	v_cndmask_b32_e64 v3, v3, v6, s1
	v_cndmask_b32_e64 v6, 0x7f800000, 0, s5
	v_cmp_gt_f32_e64 s1, 0, v5
	s_delay_alu instid0(VALU_DEP_3) | instskip(SKIP_1) | instid1(SALU_CYCLE_1)
	v_bfi_b32 v3, 0x7fffffff, v3, v7
	s_xor_b32 s1, s1, s2
	v_cndmask_b32_e64 v8, 0x7f800000, 0, s1
	s_delay_alu instid0(VALU_DEP_2) | instskip(SKIP_3) | instid1(VALU_DEP_3)
	v_cndmask_b32_e32 v7, 0x7fc00000, v3, vcc_lo
	v_cmp_neq_f32_e64 vcc_lo, |v4|, 1.0
	v_cndmask_b32_e32 v6, 1.0, v6, vcc_lo
	v_cmp_gt_f32_e32 vcc_lo, 0, v4
	v_dual_cndmask_b32 v3, v3, v7, vcc_lo :: v_dual_cndmask_b32 v7, 0, v4, s0
	v_cmp_class_f32_e64 vcc_lo, v5, 0x204
	v_cmp_class_f32_e64 s0, v4, 0x204
	s_delay_alu instid0(VALU_DEP_3) | instskip(NEXT) | instid1(VALU_DEP_4)
	v_bfi_b32 v5, 0x7fffffff, v8, v7
	v_cndmask_b32_e32 v3, v3, v6, vcc_lo
	s_or_b32 vcc_lo, s2, s0
	s_delay_alu instid0(VALU_DEP_1) | instskip(SKIP_3) | instid1(VALU_DEP_3)
	v_cndmask_b32_e32 v3, v3, v5, vcc_lo
	v_cmp_o_f32_e32 vcc_lo, v4, v4
	s_wait_loadcnt 0x0
	v_cvt_f32_i32_e32 v5, v22
	v_cndmask_b32_e32 v3, 0x7fc00000, v3, vcc_lo
	s_delay_alu instid0(VALU_DEP_1)
	v_mul_f32_e32 v6, v3, v5
.LBB6_33:
	s_or_b32 exec_lo, exec_lo, s7
	s_delay_alu instid0(VALU_DEP_1)
	v_mul_f32_e32 v4, s8, v6
	s_cmp_eq_f32 s9, 0
	s_cbranch_scc0 .LBB6_19
.LBB6_34:
	v_mov_b32_e32 v5, s10
.LBB6_35:
	s_delay_alu instid0(VALU_DEP_1) | instskip(SKIP_1) | instid1(VALU_DEP_2)
	v_and_b32_e32 v1, 0x7fffffff, v4
	v_cmp_ngt_f32_e64 s2, 0x48000000, |v4|
                                        ; implicit-def: $vgpr7
                                        ; implicit-def: $vgpr6
	v_lshrrev_b32_e32 v3, 23, v1
	s_and_saveexec_b32 s0, s2
	s_delay_alu instid0(SALU_CYCLE_1)
	s_xor_b32 s4, exec_lo, s0
	s_cbranch_execz .LBB6_37
; %bb.36:
	s_mov_b32 s0, 0x7fffff
	v_mov_b32_e32 v7, 0
	v_and_or_b32 v6, v1, s0, 0x800000
	s_mov_b64 s[0:1], 0xfe5163ab
	s_delay_alu instid0(VALU_DEP_1) | instid1(SALU_CYCLE_1)
	v_mul_u64_e32 v[8:9], s[0:1], v[6:7]
	s_delay_alu instid0(VALU_DEP_1) | instskip(SKIP_2) | instid1(VALU_DEP_3)
	v_dual_mov_b32 v10, v9 :: v_dual_mov_b32 v11, v7
	v_dual_mov_b32 v13, v7 :: v_dual_mov_b32 v15, v7
	;; [unrolled: 1-line block ×3, first 2 shown]
	v_mad_nc_u64_u32 v[10:11], 0x3c439041, v6, v[10:11]
	v_add_nc_u32_e32 v9, 0xffffff88, v3
	s_delay_alu instid0(VALU_DEP_1) | instskip(NEXT) | instid1(VALU_DEP_3)
	v_cmp_lt_u32_e32 vcc_lo, 63, v9
	v_mov_b32_e32 v12, v11
	v_cndmask_b32_e64 v11, 0, 0xffffffc0, vcc_lo
	s_delay_alu instid0(VALU_DEP_2) | instskip(NEXT) | instid1(VALU_DEP_1)
	v_mad_nc_u64_u32 v[12:13], 0xdb629599, v6, v[12:13]
	v_dual_mov_b32 v14, v13 :: v_dual_cndmask_b32 v8, v12, v8, vcc_lo
	s_delay_alu instid0(VALU_DEP_1) | instskip(NEXT) | instid1(VALU_DEP_1)
	v_mad_nc_u64_u32 v[14:15], 0xf534ddc0, v6, v[14:15]
	v_dual_mov_b32 v16, v15 :: v_dual_cndmask_b32 v10, v14, v10, vcc_lo
	s_delay_alu instid0(VALU_DEP_1) | instskip(NEXT) | instid1(VALU_DEP_1)
	v_mad_nc_u64_u32 v[16:17], 0xfc2757d1, v6, v[16:17]
	v_dual_mov_b32 v18, v17 :: v_dual_cndmask_b32 v15, v16, v12
	s_delay_alu instid0(VALU_DEP_1) | instskip(SKIP_1) | instid1(VALU_DEP_2)
	v_mad_nc_u64_u32 v[18:19], 0x4e441529, v6, v[18:19]
	v_add_nc_u32_e32 v9, v11, v9
	v_dual_mov_b32 v21, v7 :: v_dual_mov_b32 v20, v19
	s_delay_alu instid0(VALU_DEP_3) | instskip(NEXT) | instid1(VALU_DEP_3)
	v_cndmask_b32_e32 v13, v18, v14, vcc_lo
	v_cmp_lt_u32_e64 s0, 31, v9
	s_delay_alu instid0(VALU_DEP_3) | instskip(NEXT) | instid1(VALU_DEP_2)
	v_mad_nc_u64_u32 v[6:7], 0xa2f9836e, v6, v[20:21]
	v_cndmask_b32_e64 v11, 0, 0xffffffe0, s0
	s_delay_alu instid0(VALU_DEP_1) | instskip(NEXT) | instid1(VALU_DEP_3)
	v_dual_cndmask_b32 v8, v10, v8, s0 :: v_dual_add_nc_u32 v9, v11, v9
	v_cndmask_b32_e32 v6, v6, v16, vcc_lo
	s_delay_alu instid0(VALU_DEP_2) | instskip(SKIP_1) | instid1(VALU_DEP_2)
	v_cmp_lt_u32_e64 s1, 31, v9
	v_cndmask_b32_e32 v7, v7, v18, vcc_lo
	v_cndmask_b32_e64 v11, 0, 0xffffffe0, s1
	s_delay_alu instid0(VALU_DEP_1) | instskip(NEXT) | instid1(VALU_DEP_3)
	v_add_nc_u32_e32 v9, v11, v9
	v_dual_cndmask_b32 v11, v6, v13, s0 :: v_dual_cndmask_b32 v6, v7, v6, s0
	v_dual_cndmask_b32 v7, v13, v15, s0 :: v_dual_cndmask_b32 v14, v15, v10, s0
	s_delay_alu instid0(VALU_DEP_3) | instskip(SKIP_1) | instid1(VALU_DEP_4)
	v_sub_nc_u32_e32 v13, 32, v9
	v_cmp_eq_u32_e32 vcc_lo, 0, v9
	v_cndmask_b32_e64 v6, v6, v11, s1
	s_delay_alu instid0(VALU_DEP_4) | instskip(SKIP_1) | instid1(VALU_DEP_2)
	v_cndmask_b32_e64 v11, v11, v7, s1
	v_cndmask_b32_e64 v7, v7, v14, s1
	v_alignbit_b32 v15, v6, v11, v13
	s_delay_alu instid0(VALU_DEP_2) | instskip(NEXT) | instid1(VALU_DEP_1)
	v_alignbit_b32 v12, v11, v7, v13
	v_dual_cndmask_b32 v6, v15, v6 :: v_dual_cndmask_b32 v9, v12, v11
	s_delay_alu instid0(VALU_DEP_1) | instskip(SKIP_1) | instid1(VALU_DEP_3)
	v_bfe_u32 v10, v6, 29, 1
	v_cndmask_b32_e64 v8, v14, v8, s1
	v_alignbit_b32 v11, v6, v9, 30
	s_delay_alu instid0(VALU_DEP_3) | instskip(NEXT) | instid1(VALU_DEP_3)
	v_sub_nc_u32_e32 v12, 0, v10
	v_alignbit_b32 v13, v7, v8, v13
	s_delay_alu instid0(VALU_DEP_1) | instskip(NEXT) | instid1(VALU_DEP_1)
	v_dual_cndmask_b32 v7, v13, v7, vcc_lo :: v_dual_bitop2_b32 v11, v11, v12 bitop3:0x14
	v_clz_i32_u32_e32 v13, v11
	s_delay_alu instid0(VALU_DEP_2) | instskip(SKIP_1) | instid1(VALU_DEP_3)
	v_alignbit_b32 v9, v9, v7, 30
	v_alignbit_b32 v7, v7, v8, 30
	v_min_u32_e32 v13, 32, v13
	s_delay_alu instid0(VALU_DEP_3) | instskip(NEXT) | instid1(VALU_DEP_3)
	v_xor_b32_e32 v8, v9, v12
	v_dual_lshrrev_b32 v12, 29, v6 :: v_dual_bitop2_b32 v7, v7, v12 bitop3:0x14
	s_delay_alu instid0(VALU_DEP_3) | instskip(NEXT) | instid1(VALU_DEP_1)
	v_dual_sub_nc_u32 v9, 31, v13 :: v_dual_lshlrev_b32 v14, 23, v13
	v_alignbit_b32 v11, v11, v8, v9
	s_delay_alu instid0(VALU_DEP_3) | instskip(NEXT) | instid1(VALU_DEP_4)
	v_alignbit_b32 v7, v8, v7, v9
	v_lshlrev_b32_e32 v8, 31, v12
	s_delay_alu instid0(VALU_DEP_2) | instskip(NEXT) | instid1(VALU_DEP_2)
	v_alignbit_b32 v9, v11, v7, 9
	v_dual_lshrrev_b32 v11, 9, v11 :: v_dual_bitop2_b32 v12, 0.5, v8 bitop3:0x54
	v_or_b32_e32 v8, 0x33000000, v8
	s_delay_alu instid0(VALU_DEP_3) | instskip(NEXT) | instid1(VALU_DEP_3)
	v_clz_i32_u32_e32 v15, v9
	v_sub_nc_u32_e32 v12, v12, v14
	s_delay_alu instid0(VALU_DEP_2) | instskip(NEXT) | instid1(VALU_DEP_1)
	v_min_u32_e32 v14, 32, v15
	v_add_lshl_u32 v13, v14, v13, 23
	s_delay_alu instid0(VALU_DEP_3) | instskip(SKIP_1) | instid1(VALU_DEP_2)
	v_or_b32_e32 v11, v11, v12
	v_not_b32_e32 v12, v14
	v_dual_mul_f32 v15, 0x3fc90fda, v11 :: v_dual_sub_nc_u32 v8, v8, v13
	s_delay_alu instid0(VALU_DEP_2) | instskip(NEXT) | instid1(VALU_DEP_2)
	v_alignbit_b32 v7, v9, v7, v12
	v_fma_f32 v9, 0x3fc90fda, v11, -v15
	s_delay_alu instid0(VALU_DEP_2) | instskip(NEXT) | instid1(VALU_DEP_2)
	v_lshrrev_b32_e32 v7, 9, v7
	v_fmamk_f32 v9, v11, 0x33a22168, v9
	s_delay_alu instid0(VALU_DEP_2) | instskip(NEXT) | instid1(VALU_DEP_1)
	v_or_b32_e32 v7, v8, v7
	v_fmac_f32_e32 v9, 0x3fc90fda, v7
	s_delay_alu instid0(VALU_DEP_1) | instskip(NEXT) | instid1(VALU_DEP_1)
	v_dual_add_f32 v6, v15, v9 :: v_dual_lshrrev_b32 v7, 30, v6
	v_add_nc_u32_e32 v7, v10, v7
	s_or_saveexec_b32 s0, s4
	v_mul_f32_e64 v10, 0x3f22f983, |v4|
	s_xor_b32 exec_lo, exec_lo, s0
	s_branch .LBB6_38
.LBB6_37:
	s_or_saveexec_b32 s0, s4
	v_mul_f32_e64 v10, 0x3f22f983, |v4|
	s_xor_b32 exec_lo, exec_lo, s0
.LBB6_38:
	s_delay_alu instid0(VALU_DEP_1) | instskip(NEXT) | instid1(VALU_DEP_1)
	v_rndne_f32_e32 v7, v10
	v_fma_f32 v6, 0xbfc90fda, v7, |v4|
	s_delay_alu instid0(VALU_DEP_1) | instskip(NEXT) | instid1(VALU_DEP_1)
	v_fmamk_f32 v6, v7, 0xb3a22168, v6
	v_fmamk_f32 v6, v7, 0xa7c234c4, v6
	v_cvt_i32_f32_e32 v7, v7
; %bb.39:
	s_or_b32 exec_lo, exec_lo, s0
                                        ; implicit-def: $vgpr9
                                        ; implicit-def: $vgpr8
	s_and_saveexec_b32 s0, s2
	s_delay_alu instid0(SALU_CYCLE_1)
	s_xor_b32 s2, exec_lo, s0
	s_cbranch_execz .LBB6_41
; %bb.40:
	s_mov_b32 s0, 0x7fffff
	v_mov_b32_e32 v9, 0
	v_and_or_b32 v8, v1, s0, 0x800000
	s_mov_b64 s[0:1], 0xfe5163ab
	v_add_nc_u32_e32 v3, 0xffffff88, v3
	s_delay_alu instid0(VALU_DEP_2) | instskip(NEXT) | instid1(VALU_DEP_2)
	v_mul_u64_e32 v[10:11], s[0:1], v[8:9]
	v_cmp_lt_u32_e32 vcc_lo, 63, v3
	s_delay_alu instid0(VALU_DEP_2) | instskip(SKIP_2) | instid1(VALU_DEP_3)
	v_dual_mov_b32 v12, v11 :: v_dual_mov_b32 v13, v9
	v_dual_mov_b32 v15, v9 :: v_dual_mov_b32 v17, v9
	;; [unrolled: 1-line block ×3, first 2 shown]
	v_mad_nc_u64_u32 v[12:13], 0x3c439041, v8, v[12:13]
	v_cndmask_b32_e64 v11, 0, 0xffffffc0, vcc_lo
	s_delay_alu instid0(VALU_DEP_1) | instskip(NEXT) | instid1(VALU_DEP_3)
	v_dual_mov_b32 v23, v9 :: v_dual_add_nc_u32 v3, v11, v3
	v_mov_b32_e32 v14, v13
	s_delay_alu instid0(VALU_DEP_2) | instskip(NEXT) | instid1(VALU_DEP_2)
	v_cmp_lt_u32_e64 s0, 31, v3
	v_mad_nc_u64_u32 v[14:15], 0xdb629599, v8, v[14:15]
	s_delay_alu instid0(VALU_DEP_2) | instskip(NEXT) | instid1(VALU_DEP_1)
	v_cndmask_b32_e64 v11, 0, 0xffffffe0, s0
	v_add_nc_u32_e32 v3, v11, v3
	s_delay_alu instid0(VALU_DEP_3) | instskip(NEXT) | instid1(VALU_DEP_2)
	v_mov_b32_e32 v16, v15
	v_cmp_lt_u32_e64 s1, 31, v3
	v_cndmask_b32_e32 v10, v14, v10, vcc_lo
	s_delay_alu instid0(VALU_DEP_3) | instskip(NEXT) | instid1(VALU_DEP_3)
	v_mad_nc_u64_u32 v[16:17], 0xf534ddc0, v8, v[16:17]
	v_cndmask_b32_e64 v11, 0, 0xffffffe0, s1
	s_delay_alu instid0(VALU_DEP_1) | instskip(NEXT) | instid1(VALU_DEP_3)
	v_dual_add_nc_u32 v3, v11, v3 :: v_dual_cndmask_b32 v11, v16, v12, vcc_lo
	v_mov_b32_e32 v18, v17
	s_delay_alu instid0(VALU_DEP_1) | instskip(NEXT) | instid1(VALU_DEP_1)
	v_mad_nc_u64_u32 v[18:19], 0xfc2757d1, v8, v[18:19]
	v_dual_mov_b32 v20, v19 :: v_dual_cndmask_b32 v15, v18, v14
	s_delay_alu instid0(VALU_DEP_1) | instskip(NEXT) | instid1(VALU_DEP_1)
	v_mad_nc_u64_u32 v[20:21], 0x4e441529, v8, v[20:21]
	v_dual_mov_b32 v22, v21 :: v_dual_cndmask_b32 v13, v20, v16
	s_delay_alu instid0(VALU_DEP_1) | instskip(NEXT) | instid1(VALU_DEP_1)
	v_mad_nc_u64_u32 v[8:9], 0xa2f9836e, v8, v[22:23]
	v_dual_cndmask_b32 v8, v8, v18 :: v_dual_cndmask_b32 v9, v9, v20
	v_cmp_eq_u32_e32 vcc_lo, 0, v3
	s_delay_alu instid0(VALU_DEP_2) | instskip(SKIP_2) | instid1(VALU_DEP_3)
	v_dual_cndmask_b32 v12, v8, v13, s0 :: v_dual_cndmask_b32 v8, v9, v8, s0
	v_cndmask_b32_e64 v9, v13, v15, s0
	v_sub_nc_u32_e32 v13, 32, v3
	v_dual_cndmask_b32 v15, v15, v11, s0 :: v_dual_cndmask_b32 v8, v8, v12, s1
	s_delay_alu instid0(VALU_DEP_3) | instskip(NEXT) | instid1(VALU_DEP_1)
	v_cndmask_b32_e64 v12, v12, v9, s1
	v_alignbit_b32 v16, v8, v12, v13
	s_delay_alu instid0(VALU_DEP_1) | instskip(NEXT) | instid1(VALU_DEP_1)
	v_dual_cndmask_b32 v9, v9, v15, s1 :: v_dual_cndmask_b32 v3, v16, v8, vcc_lo
	v_alignbit_b32 v14, v12, v9, v13
	v_cndmask_b32_e64 v8, v11, v10, s0
	s_delay_alu instid0(VALU_DEP_3) | instskip(NEXT) | instid1(VALU_DEP_3)
	v_bfe_u32 v11, v3, 29, 1
	v_cndmask_b32_e32 v10, v14, v12, vcc_lo
	s_delay_alu instid0(VALU_DEP_2) | instskip(NEXT) | instid1(VALU_DEP_2)
	v_dual_cndmask_b32 v8, v15, v8, s1 :: v_dual_sub_nc_u32 v14, 0, v11
	v_alignbit_b32 v12, v3, v10, 30
	s_delay_alu instid0(VALU_DEP_2) | instskip(NEXT) | instid1(VALU_DEP_1)
	v_alignbit_b32 v13, v9, v8, v13
	v_dual_cndmask_b32 v9, v13, v9, vcc_lo :: v_dual_bitop2_b32 v12, v12, v14 bitop3:0x14
	s_delay_alu instid0(VALU_DEP_1) | instskip(NEXT) | instid1(VALU_DEP_2)
	v_clz_i32_u32_e32 v13, v12
	v_alignbit_b32 v10, v10, v9, 30
	v_alignbit_b32 v8, v9, v8, 30
	s_delay_alu instid0(VALU_DEP_3) | instskip(NEXT) | instid1(VALU_DEP_3)
	v_min_u32_e32 v13, 32, v13
	v_xor_b32_e32 v9, v10, v14
	s_delay_alu instid0(VALU_DEP_3) | instskip(NEXT) | instid1(VALU_DEP_3)
	v_dual_lshrrev_b32 v14, 29, v3 :: v_dual_bitop2_b32 v8, v8, v14 bitop3:0x14
	v_dual_lshrrev_b32 v3, 30, v3 :: v_dual_sub_nc_u32 v10, 31, v13
	v_lshlrev_b32_e32 v15, 23, v13
	s_delay_alu instid0(VALU_DEP_2) | instskip(NEXT) | instid1(VALU_DEP_4)
	v_alignbit_b32 v12, v12, v9, v10
	v_alignbit_b32 v8, v9, v8, v10
	v_lshlrev_b32_e32 v9, 31, v14
	s_delay_alu instid0(VALU_DEP_2) | instskip(NEXT) | instid1(VALU_DEP_2)
	v_alignbit_b32 v10, v12, v8, 9
	v_dual_lshrrev_b32 v12, 9, v12 :: v_dual_bitop2_b32 v14, 0.5, v9 bitop3:0x54
	v_or_b32_e32 v9, 0x33000000, v9
	s_delay_alu instid0(VALU_DEP_3) | instskip(NEXT) | instid1(VALU_DEP_3)
	v_clz_i32_u32_e32 v16, v10
	v_sub_nc_u32_e32 v14, v14, v15
	s_delay_alu instid0(VALU_DEP_2) | instskip(NEXT) | instid1(VALU_DEP_1)
	v_min_u32_e32 v15, 32, v16
	v_add_lshl_u32 v13, v15, v13, 23
	s_delay_alu instid0(VALU_DEP_1) | instskip(SKIP_1) | instid1(VALU_DEP_1)
	v_dual_sub_nc_u32 v9, v9, v13 :: v_dual_bitop2_b32 v12, v12, v14 bitop3:0x54
	v_not_b32_e32 v14, v15
	v_alignbit_b32 v8, v10, v8, v14
	s_delay_alu instid0(VALU_DEP_1) | instskip(NEXT) | instid1(VALU_DEP_4)
	v_lshrrev_b32_e32 v8, 9, v8
	v_mul_f32_e32 v16, 0x3fc90fda, v12
	s_delay_alu instid0(VALU_DEP_2) | instskip(NEXT) | instid1(VALU_DEP_2)
	v_or_b32_e32 v8, v9, v8
	v_fma_f32 v10, 0x3fc90fda, v12, -v16
	s_delay_alu instid0(VALU_DEP_1) | instskip(NEXT) | instid1(VALU_DEP_1)
	v_dual_fmamk_f32 v10, v12, 0x33a22168, v10 :: v_dual_add_nc_u32 v9, v11, v3
	v_fmac_f32_e32 v10, 0x3fc90fda, v8
	s_delay_alu instid0(VALU_DEP_1)
	v_add_f32_e32 v8, v16, v10
                                        ; implicit-def: $vgpr10
	s_and_not1_saveexec_b32 s0, s2
	s_cbranch_execnz .LBB6_42
	s_branch .LBB6_43
.LBB6_41:
	s_and_not1_saveexec_b32 s0, s2
.LBB6_42:
	v_rndne_f32_e32 v3, v10
	s_delay_alu instid0(VALU_DEP_1) | instskip(SKIP_1) | instid1(VALU_DEP_2)
	v_fma_f32 v8, 0xbfc90fda, v3, |v4|
	v_cvt_i32_f32_e32 v9, v3
	v_fmamk_f32 v8, v3, 0xb3a22168, v8
	s_delay_alu instid0(VALU_DEP_1)
	v_fmamk_f32 v8, v3, 0xa7c234c4, v8
.LBB6_43:
	s_or_b32 exec_lo, exec_lo, s0
	v_ashrrev_i32_e32 v3, 31, v2
	s_lshr_b32 s0, s3, 31
	s_mov_b32 s2, 0xb94c1982
	s_add_co_i32 s0, s3, s0
	s_mov_b32 s3, 0x37d75334
	s_ashr_i32 s0, s0, 1
	v_lshl_add_u64 v[10:11], v[2:3], 2, s[12:13]
	s_ashr_i32 s1, s0, 31
	v_mul_f32_e32 v3, v8, v8
	s_lshl_b64 s[0:1], s[0:1], 2
	s_delay_alu instid0(VALU_DEP_2) | instid1(SALU_CYCLE_1)
	v_add_nc_u64_e32 v[10:11], s[0:1], v[10:11]
	s_clause 0x1
	global_load_b32 v12, v[10:11], off
	global_load_b32 v13, v2, s[12:13] scale_offset
	s_wait_xcnt 0x0
	v_dual_mul_f32 v2, v6, v6 :: v_dual_bitop2_b32 v10, 1, v7 bitop3:0x40
	v_lshlrev_b32_e32 v7, 30, v7
	v_fmaak_f32 v15, s2, v3, 0x3c0881c4
	v_fmaak_f32 v16, s3, v3, 0xbab64f3b
	s_delay_alu instid0(VALU_DEP_4) | instskip(SKIP_1) | instid1(VALU_DEP_4)
	v_fmaak_f32 v14, s3, v2, 0xbab64f3b
	v_cmp_eq_u32_e32 vcc_lo, 0, v10
	v_fmaak_f32 v15, v3, v15, 0xbe2aaa9d
	s_delay_alu instid0(VALU_DEP_1) | instskip(NEXT) | instid1(VALU_DEP_1)
	v_dual_fmaak_f32 v14, v2, v14, 0x3d2aabf7 :: v_dual_mul_f32 v15, v3, v15
	v_dual_fmaak_f32 v11, s2, v2, 0x3c0881c4 :: v_dual_fmac_f32 v8, v8, v15
	s_delay_alu instid0(VALU_DEP_1) | instskip(SKIP_1) | instid1(VALU_DEP_2)
	v_fmaak_f32 v11, v2, v11, 0xbe2aaa9d
	v_dual_lshlrev_b32 v9, 30, v9 :: v_dual_bitop2_b32 v17, 1, v9 bitop3:0x40
	v_dual_fmaak_f32 v16, v3, v16, 0x3d2aabf7 :: v_dual_mul_f32 v11, v2, v11
	v_xor_b32_e32 v1, v1, v4
	s_delay_alu instid0(VALU_DEP_3) | instskip(NEXT) | instid1(VALU_DEP_3)
	v_and_b32_e32 v9, 0x80000000, v9
	v_fmaak_f32 v16, v3, v16, 0xbf000004
	s_delay_alu instid0(VALU_DEP_4) | instskip(NEXT) | instid1(VALU_DEP_2)
	v_fmac_f32_e32 v6, v6, v11
	v_fma_f32 v3, v3, v16, 1.0
	v_fmaak_f32 v14, v2, v14, 0xbf000004
	s_delay_alu instid0(VALU_DEP_1) | instskip(NEXT) | instid1(VALU_DEP_1)
	v_fma_f32 v2, v2, v14, 1.0
	v_cndmask_b32_e64 v2, -v6, v2, vcc_lo
	v_cmp_eq_u32_e32 vcc_lo, 0, v17
	s_delay_alu instid0(VALU_DEP_2) | instskip(SKIP_2) | instid1(VALU_DEP_2)
	v_bitop3_b32 v2, v7, v2, 0x80000000 bitop3:0x6c
	v_cndmask_b32_e32 v3, v3, v8, vcc_lo
	v_cmp_class_f32_e64 vcc_lo, v4, 0x1f8
	v_xor3_b32 v1, v1, v9, v3
	s_delay_alu instid0(VALU_DEP_4) | instskip(NEXT) | instid1(VALU_DEP_2)
	v_cndmask_b32_e32 v4, 0x7fc00000, v2, vcc_lo
	v_dual_cndmask_b32 v2, 0x7fc00000, v1 :: v_dual_ashrrev_i32 v1, 31, v0
	s_delay_alu instid0(VALU_DEP_1) | instskip(NEXT) | instid1(VALU_DEP_2)
	v_mul_f32_e32 v6, v5, v2
	v_lshl_add_u64 v[2:3], v[0:1], 2, s[14:15]
	s_delay_alu instid0(VALU_DEP_4) | instskip(NEXT) | instid1(VALU_DEP_2)
	v_mul_f32_e32 v1, v5, v4
	v_add_nc_u64_e32 v[2:3], s[0:1], v[2:3]
	s_wait_loadcnt 0x0
	v_dual_mul_f32 v4, v12, v6 :: v_dual_mul_f32 v5, v13, v6
	s_delay_alu instid0(VALU_DEP_1)
	v_dual_fma_f32 v4, v1, v13, -v4 :: v_dual_fmac_f32 v5, v1, v12
	s_clause 0x1
	global_store_b32 v0, v4, s[14:15] scale_offset
	global_store_b32 v[2:3], v5, off
.LBB6_44:
	s_endpgm
	.section	.rodata,"a",@progbits
	.p2align	6, 0x0
	.amdhsa_kernel _ZL10rope_multiILb1ELb0EfEvPKT1_PS0_iiiiiiiiiiPKifff14rope_corr_dimsfPKf14mrope_sectionsb
		.amdhsa_group_segment_fixed_size 0
		.amdhsa_private_segment_fixed_size 0
		.amdhsa_kernarg_size 376
		.amdhsa_user_sgpr_count 2
		.amdhsa_user_sgpr_dispatch_ptr 0
		.amdhsa_user_sgpr_queue_ptr 0
		.amdhsa_user_sgpr_kernarg_segment_ptr 1
		.amdhsa_user_sgpr_dispatch_id 0
		.amdhsa_user_sgpr_kernarg_preload_length 0
		.amdhsa_user_sgpr_kernarg_preload_offset 0
		.amdhsa_user_sgpr_private_segment_size 0
		.amdhsa_wavefront_size32 1
		.amdhsa_uses_dynamic_stack 0
		.amdhsa_enable_private_segment 0
		.amdhsa_system_sgpr_workgroup_id_x 1
		.amdhsa_system_sgpr_workgroup_id_y 1
		.amdhsa_system_sgpr_workgroup_id_z 0
		.amdhsa_system_sgpr_workgroup_info 0
		.amdhsa_system_vgpr_workitem_id 1
		.amdhsa_next_free_vgpr 25
		.amdhsa_next_free_sgpr 25
		.amdhsa_named_barrier_count 0
		.amdhsa_reserve_vcc 1
		.amdhsa_float_round_mode_32 0
		.amdhsa_float_round_mode_16_64 0
		.amdhsa_float_denorm_mode_32 3
		.amdhsa_float_denorm_mode_16_64 3
		.amdhsa_fp16_overflow 0
		.amdhsa_memory_ordered 1
		.amdhsa_forward_progress 1
		.amdhsa_inst_pref_size 105
		.amdhsa_round_robin_scheduling 0
		.amdhsa_exception_fp_ieee_invalid_op 0
		.amdhsa_exception_fp_denorm_src 0
		.amdhsa_exception_fp_ieee_div_zero 0
		.amdhsa_exception_fp_ieee_overflow 0
		.amdhsa_exception_fp_ieee_underflow 0
		.amdhsa_exception_fp_ieee_inexact 0
		.amdhsa_exception_int_div_zero 0
	.end_amdhsa_kernel
	.section	.text._ZL10rope_multiILb1ELb0EfEvPKT1_PS0_iiiiiiiiiiPKifff14rope_corr_dimsfPKf14mrope_sectionsb,"axG",@progbits,_ZL10rope_multiILb1ELb0EfEvPKT1_PS0_iiiiiiiiiiPKifff14rope_corr_dimsfPKf14mrope_sectionsb,comdat
.Lfunc_end6:
	.size	_ZL10rope_multiILb1ELb0EfEvPKT1_PS0_iiiiiiiiiiPKifff14rope_corr_dimsfPKf14mrope_sectionsb, .Lfunc_end6-_ZL10rope_multiILb1ELb0EfEvPKT1_PS0_iiiiiiiiiiPKifff14rope_corr_dimsfPKf14mrope_sectionsb
                                        ; -- End function
	.set _ZL10rope_multiILb1ELb0EfEvPKT1_PS0_iiiiiiiiiiPKifff14rope_corr_dimsfPKf14mrope_sectionsb.num_vgpr, 25
	.set _ZL10rope_multiILb1ELb0EfEvPKT1_PS0_iiiiiiiiiiPKifff14rope_corr_dimsfPKf14mrope_sectionsb.num_agpr, 0
	.set _ZL10rope_multiILb1ELb0EfEvPKT1_PS0_iiiiiiiiiiPKifff14rope_corr_dimsfPKf14mrope_sectionsb.numbered_sgpr, 25
	.set _ZL10rope_multiILb1ELb0EfEvPKT1_PS0_iiiiiiiiiiPKifff14rope_corr_dimsfPKf14mrope_sectionsb.num_named_barrier, 0
	.set _ZL10rope_multiILb1ELb0EfEvPKT1_PS0_iiiiiiiiiiPKifff14rope_corr_dimsfPKf14mrope_sectionsb.private_seg_size, 0
	.set _ZL10rope_multiILb1ELb0EfEvPKT1_PS0_iiiiiiiiiiPKifff14rope_corr_dimsfPKf14mrope_sectionsb.uses_vcc, 1
	.set _ZL10rope_multiILb1ELb0EfEvPKT1_PS0_iiiiiiiiiiPKifff14rope_corr_dimsfPKf14mrope_sectionsb.uses_flat_scratch, 0
	.set _ZL10rope_multiILb1ELb0EfEvPKT1_PS0_iiiiiiiiiiPKifff14rope_corr_dimsfPKf14mrope_sectionsb.has_dyn_sized_stack, 0
	.set _ZL10rope_multiILb1ELb0EfEvPKT1_PS0_iiiiiiiiiiPKifff14rope_corr_dimsfPKf14mrope_sectionsb.has_recursion, 0
	.set _ZL10rope_multiILb1ELb0EfEvPKT1_PS0_iiiiiiiiiiPKifff14rope_corr_dimsfPKf14mrope_sectionsb.has_indirect_call, 0
	.section	.AMDGPU.csdata,"",@progbits
; Kernel info:
; codeLenInByte = 13380
; TotalNumSgprs: 27
; NumVgprs: 25
; ScratchSize: 0
; MemoryBound: 0
; FloatMode: 240
; IeeeMode: 1
; LDSByteSize: 0 bytes/workgroup (compile time only)
; SGPRBlocks: 0
; VGPRBlocks: 1
; NumSGPRsForWavesPerEU: 27
; NumVGPRsForWavesPerEU: 25
; NamedBarCnt: 0
; Occupancy: 16
; WaveLimiterHint : 0
; COMPUTE_PGM_RSRC2:SCRATCH_EN: 0
; COMPUTE_PGM_RSRC2:USER_SGPR: 2
; COMPUTE_PGM_RSRC2:TRAP_HANDLER: 0
; COMPUTE_PGM_RSRC2:TGID_X_EN: 1
; COMPUTE_PGM_RSRC2:TGID_Y_EN: 1
; COMPUTE_PGM_RSRC2:TGID_Z_EN: 0
; COMPUTE_PGM_RSRC2:TIDIG_COMP_CNT: 1
	.section	.text._ZL10rope_multiILb1ELb1EfEvPKT1_PS0_iiiiiiiiiiPKifff14rope_corr_dimsfPKf14mrope_sectionsb,"axG",@progbits,_ZL10rope_multiILb1ELb1EfEvPKT1_PS0_iiiiiiiiiiPKifff14rope_corr_dimsfPKf14mrope_sectionsb,comdat
	.globl	_ZL10rope_multiILb1ELb1EfEvPKT1_PS0_iiiiiiiiiiPKifff14rope_corr_dimsfPKf14mrope_sectionsb ; -- Begin function _ZL10rope_multiILb1ELb1EfEvPKT1_PS0_iiiiiiiiiiPKifff14rope_corr_dimsfPKf14mrope_sectionsb
	.p2align	8
	.type	_ZL10rope_multiILb1ELb1EfEvPKT1_PS0_iiiiiiiiiiPKifff14rope_corr_dimsfPKf14mrope_sectionsb,@function
_ZL10rope_multiILb1ELb1EfEvPKT1_PS0_iiiiiiiiiiPKifff14rope_corr_dimsfPKf14mrope_sectionsb: ; @_ZL10rope_multiILb1ELb1EfEvPKT1_PS0_iiiiiiiiiiPKifff14rope_corr_dimsfPKf14mrope_sectionsb
; %bb.0:
	s_clause 0x1
	s_load_u16 s3, s[0:1], 0x86
	s_load_b256 s[4:11], s[0:1], 0x10
	s_bfe_u32 s2, ttmp6, 0x40010
	s_bfe_u32 s13, ttmp6, 0x40004
	s_add_co_i32 s2, s2, 1
	v_bfe_u32 v1, v0, 10, 10
	s_mul_i32 s12, ttmp7, s2
	s_getreg_b32 s2, hwreg(HW_REG_IB_STS2, 6, 4)
	s_add_co_i32 s13, s13, s12
	s_cmp_eq_u32 s2, 0
	s_cselect_b32 s12, ttmp7, s13
	s_wait_kmcnt 0x0
	s_mul_i32 s12, s12, s3
	s_mov_b32 s3, exec_lo
	v_add_lshl_u32 v4, s12, v1, 1
	s_delay_alu instid0(VALU_DEP_1)
	v_cmpx_gt_i32_e64 s4, v4
	s_cbranch_execz .LBB7_44
; %bb.1:
	s_add_nc_u64 s[12:13], s[0:1], 0x78
	s_bfe_u32 s4, ttmp6, 0x4000c
	s_load_b32 s3, s[12:13], 0xc
	s_add_co_i32 s4, s4, 1
	s_wait_xcnt 0x0
	s_and_b32 s12, ttmp6, 15
	s_mul_i32 s4, ttmp9, s4
	v_and_b32_e32 v0, 0x3ff, v0
	s_add_co_i32 s12, s12, s4
	s_load_b64 s[20:21], s[0:1], 0x30
	s_wait_kmcnt 0x0
	s_and_b32 s3, s3, 0xffff
	s_cmp_eq_u32 s2, 0
	s_mul_i32 s2, s6, s5
	s_cselect_b32 s4, ttmp9, s12
	s_abs_i32 s12, s2
	v_mad_u32 v0, s4, s3, v0
	s_cvt_f32_u32 s13, s12
	s_sub_co_i32 s4, 0, s12
	s_delay_alu instid0(SALU_CYCLE_2) | instskip(SKIP_1) | instid1(TRANS32_DEP_1)
	v_rcp_iflag_f32_e32 v1, s13
	v_nop
	v_readfirstlane_b32 s3, v1
	s_delay_alu instid0(VALU_DEP_3) | instskip(SKIP_1) | instid1(VALU_DEP_1)
	v_sub_nc_u32_e32 v1, 0, v0
	s_mul_f32 s3, s3, 0x4f7ffffe
	v_max_i32_e32 v1, v0, v1
	s_delay_alu instid0(SALU_CYCLE_2) | instskip(NEXT) | instid1(SALU_CYCLE_3)
	s_cvt_u32_f32 s3, s3
	s_mul_i32 s4, s4, s3
	s_delay_alu instid0(SALU_CYCLE_1) | instskip(NEXT) | instid1(SALU_CYCLE_1)
	s_mul_hi_u32 s4, s3, s4
	s_add_co_i32 s3, s3, s4
	s_delay_alu instid0(SALU_CYCLE_1) | instskip(SKIP_1) | instid1(VALU_DEP_1)
	v_mul_hi_u32 v2, v1, s3
	s_cvt_f32_u32 s3, s5
	v_mul_lo_u32 v3, v2, s12
	s_delay_alu instid0(VALU_DEP_1) | instskip(NEXT) | instid1(VALU_DEP_1)
	v_dual_sub_nc_u32 v1, v1, v3 :: v_dual_add_nc_u32 v3, 1, v2
	v_cmp_le_u32_e32 vcc_lo, s12, v1
	s_delay_alu instid0(VALU_DEP_2) | instskip(SKIP_1) | instid1(VALU_DEP_1)
	v_dual_cndmask_b32 v2, v2, v3, vcc_lo :: v_dual_bitop2_b32 v3, s2, v0 bitop3:0x14
	v_subrev_nc_u32_e32 v5, s12, v1
	v_dual_cndmask_b32 v1, v1, v5, vcc_lo :: v_dual_add_nc_u32 v5, 1, v2
	s_delay_alu instid0(VALU_DEP_1) | instskip(NEXT) | instid1(VALU_DEP_4)
	v_cmp_le_u32_e32 vcc_lo, s12, v1
	v_ashrrev_i32_e32 v3, 31, v3
	s_load_b128 s[12:15], s[0:1], 0x0
	s_delay_alu instid0(VALU_DEP_3) | instskip(SKIP_1) | instid1(VALU_DEP_1)
	v_cndmask_b32_e32 v1, v2, v5, vcc_lo
	v_rcp_iflag_f32_e32 v2, s3
	v_xor_b32_e32 v1, v1, v3
	s_delay_alu instid0(TRANS32_DEP_1) | instskip(NEXT) | instid1(VALU_DEP_2)
	v_readfirstlane_b32 s3, v2
	v_sub_nc_u32_e32 v3, v1, v3
	s_delay_alu instid0(VALU_DEP_1) | instskip(SKIP_2) | instid1(SALU_CYCLE_2)
	v_mul_lo_u32 v1, s2, v3
	s_mul_f32 s2, s3, 0x4f7ffffe
	s_sub_co_i32 s3, 0, s5
	s_cvt_u32_f32 s2, s2
	s_delay_alu instid0(SALU_CYCLE_3) | instskip(NEXT) | instid1(VALU_DEP_1)
	s_mul_i32 s3, s3, s2
	v_sub_nc_u32_e32 v0, v0, v1
	s_mul_hi_u32 s3, s2, s3
	s_delay_alu instid0(SALU_CYCLE_1)
	s_add_co_i32 s2, s2, s3
	s_delay_alu instid0(VALU_DEP_1) | instid1(SALU_CYCLE_1)
	v_mul_hi_u32 v1, v0, s2
	s_mov_b32 s2, exec_lo
	s_delay_alu instid0(VALU_DEP_1) | instskip(NEXT) | instid1(VALU_DEP_1)
	v_mul_lo_u32 v2, v1, s5
	v_dual_add_nc_u32 v5, 1, v1 :: v_dual_sub_nc_u32 v2, v0, v2
	s_delay_alu instid0(VALU_DEP_1) | instskip(SKIP_1) | instid1(VALU_DEP_2)
	v_subrev_nc_u32_e32 v6, s5, v2
	v_cmp_le_u32_e32 vcc_lo, s5, v2
	v_dual_cndmask_b32 v5, v1, v5 :: v_dual_cndmask_b32 v2, v2, v6
	s_delay_alu instid0(VALU_DEP_1) | instskip(NEXT) | instid1(VALU_DEP_2)
	v_dual_ashrrev_i32 v1, 1, v4 :: v_dual_add_nc_u32 v6, 1, v5
	v_cmp_le_u32_e32 vcc_lo, s5, v2
	s_delay_alu instid0(VALU_DEP_2) | instskip(SKIP_1) | instid1(VALU_DEP_4)
	v_mad_u32 v7, v3, s20, v1
	v_mad_u32 v8, v3, s9, v1
	v_cndmask_b32_e32 v3, v5, v6, vcc_lo
	s_delay_alu instid0(VALU_DEP_1) | instskip(NEXT) | instid1(VALU_DEP_4)
	v_mul_lo_u32 v2, v3, s5
	v_mad_u32 v5, v3, s11, v7
	s_delay_alu instid0(VALU_DEP_4) | instskip(NEXT) | instid1(VALU_DEP_3)
	v_mad_u32 v6, v3, s8, v8
	v_sub_nc_u32_e32 v2, v0, v2
	s_delay_alu instid0(VALU_DEP_1) | instskip(NEXT) | instid1(VALU_DEP_3)
	v_mad_u32 v0, v2, s10, v5
	v_mad_u32 v2, v2, s7, v6
	v_cmpx_le_i32_e64 s21, v4
	s_xor_b32 s2, exec_lo, s2
	s_cbranch_execz .LBB7_3
; %bb.2:
	s_delay_alu instid0(VALU_DEP_2)
	v_dual_add_nc_u32 v2, v2, v1 :: v_dual_add_nc_u32 v0, v0, v1
                                        ; implicit-def: $vgpr4
	s_wait_kmcnt 0x0
	global_load_b32 v3, v2, s[12:13] scale_offset
	s_wait_loadcnt 0x0
	global_store_b32 v0, v3, s[14:15] scale_offset
	global_load_b32 v1, v2, s[12:13] offset:4 scale_offset
                                        ; implicit-def: $vgpr2
                                        ; implicit-def: $vgpr3
	s_wait_loadcnt 0x0
	global_store_b32 v0, v1, s[14:15] offset:4 scale_offset
                                        ; implicit-def: $vgpr0
                                        ; implicit-def: $vgpr1
.LBB7_3:
	s_wait_xcnt 0x0
	s_and_not1_saveexec_b32 s2, s2
	s_cbranch_execz .LBB7_44
; %bb.4:
	s_clause 0x3
	s_load_b128 s[16:19], s[0:1], 0x60
	s_load_b64 s[22:23], s[0:1], 0x50
	s_load_b64 s[24:25], s[0:1], 0x38
	s_load_b128 s[8:11], s[0:1], 0x40
	v_ashrrev_i32_e32 v7, 31, v1
	s_wait_kmcnt 0x0
	s_add_co_i32 s2, s17, s16
	s_delay_alu instid0(SALU_CYCLE_1) | instskip(NEXT) | instid1(SALU_CYCLE_1)
	s_add_co_i32 s7, s2, s18
	s_add_co_i32 s3, s7, s19
	s_delay_alu instid0(SALU_CYCLE_1) | instskip(NEXT) | instid1(SALU_CYCLE_1)
	s_abs_i32 s3, s3
	s_cvt_f32_u32 s4, s3
	s_sub_co_i32 s5, 0, s3
	s_delay_alu instid0(SALU_CYCLE_2) | instskip(SKIP_1) | instid1(TRANS32_DEP_1)
	v_rcp_iflag_f32_e32 v5, s4
	v_nop
	v_readfirstlane_b32 s4, v5
	v_sub_nc_u32_e32 v5, 0, v1
	s_mul_f32 s4, s4, 0x4f7ffffe
	s_delay_alu instid0(VALU_DEP_1) | instskip(NEXT) | instid1(SALU_CYCLE_2)
	v_max_i32_e32 v5, v1, v5
	s_cvt_u32_f32 s4, s4
	s_delay_alu instid0(SALU_CYCLE_3) | instskip(NEXT) | instid1(SALU_CYCLE_1)
	s_mul_i32 s5, s5, s4
	s_mul_hi_u32 s5, s4, s5
	s_delay_alu instid0(SALU_CYCLE_1) | instskip(NEXT) | instid1(SALU_CYCLE_1)
	s_add_co_i32 s4, s4, s5
	v_mul_hi_u32 v6, v5, s4
	s_load_b32 s4, s[0:1], 0x70
	s_delay_alu instid0(VALU_DEP_1) | instskip(NEXT) | instid1(VALU_DEP_1)
	v_mul_lo_u32 v6, v6, s3
	v_sub_nc_u32_e32 v5, v5, v6
	s_delay_alu instid0(VALU_DEP_1) | instskip(SKIP_1) | instid1(VALU_DEP_2)
	v_subrev_nc_u32_e32 v6, s3, v5
	v_cmp_le_u32_e32 vcc_lo, s3, v5
	v_cndmask_b32_e32 v5, v5, v6, vcc_lo
	s_delay_alu instid0(VALU_DEP_1) | instskip(SKIP_3) | instid1(SALU_CYCLE_1)
	v_subrev_nc_u32_e32 v6, s3, v5
	v_cmp_le_u32_e32 vcc_lo, s3, v5
	s_wait_kmcnt 0x0
	s_and_b32 s3, s4, 1
	s_cmp_eq_u32 s3, 0
	v_cndmask_b32_e32 v5, v5, v6, vcc_lo
	s_delay_alu instid0(VALU_DEP_1) | instskip(NEXT) | instid1(VALU_DEP_1)
	v_xor_b32_e32 v5, v5, v7
	v_sub_nc_u32_e32 v5, v5, v7
	s_cbranch_scc0 .LBB7_18
; %bb.5:
                                        ; implicit-def: $vgpr6
	s_mov_b32 s3, exec_lo
	s_delay_alu instid0(VALU_DEP_1)
	v_cmpx_le_i32_e64 s16, v5
	s_xor_b32 s5, exec_lo, s3
	s_cbranch_execz .LBB7_15
; %bb.6:
	v_cmp_le_i32_e32 vcc_lo, s2, v5
                                        ; implicit-def: $vgpr6
	s_and_saveexec_b32 s2, vcc_lo
	s_delay_alu instid0(SALU_CYCLE_1)
	s_xor_b32 s19, exec_lo, s2
	s_cbranch_execz .LBB7_12
; %bb.7:
	v_cvt_f32_i32_e32 v6, v4
	s_cmp_neq_f32 s23, 1.0
	s_mov_b32 s2, 0x3e76c4e1
	s_cselect_b32 vcc_lo, -1, 0
	s_delay_alu instid0(VALU_DEP_1) | instskip(NEXT) | instid1(VALU_DEP_1)
	v_mul_f32_e32 v6, 0.5, v6
	v_cndmask_b32_e32 v7, 1.0, v6, vcc_lo
	s_delay_alu instid0(VALU_DEP_1) | instskip(SKIP_1) | instid1(VALU_DEP_1)
	v_cmp_neq_f32_e32 vcc_lo, 0, v7
	v_cndmask_b32_e64 v6, 1.0, s23, vcc_lo
	v_frexp_mant_f32_e64 v8, |v6|
	v_cmp_lt_f32_e64 s26, |v6|, 1.0
	v_cmp_eq_f32_e64 s4, 0, v6
	s_delay_alu instid0(VALU_DEP_3) | instskip(SKIP_1) | instid1(VALU_DEP_1)
	v_cmp_gt_f32_e32 vcc_lo, 0x3f2aaaab, v8
	v_cndmask_b32_e64 v9, 1.0, 2.0, vcc_lo
	v_mul_f32_e32 v8, v8, v9
	s_delay_alu instid0(VALU_DEP_1) | instskip(SKIP_1) | instid1(VALU_DEP_2)
	v_dual_add_f32 v11, 1.0, v8 :: v_dual_add_f32 v9, -1.0, v8
	v_cmp_neq_f32_e64 s20, v7, |v7|
	v_rcp_f32_e32 v14, v11
	v_add_f32_e32 v12, -1.0, v11
	s_xor_b32 s20, s20, s26
	s_delay_alu instid0(TRANS32_DEP_1) | instid1(VALU_DEP_1)
	v_dual_sub_f32 v8, v8, v12 :: v_dual_mul_f32 v15, v9, v14
	s_delay_alu instid0(VALU_DEP_1) | instskip(NEXT) | instid1(VALU_DEP_1)
	v_mul_f32_e32 v10, v11, v15
	v_fma_f32 v12, v15, v11, -v10
	s_delay_alu instid0(VALU_DEP_1) | instskip(NEXT) | instid1(VALU_DEP_1)
	v_fmac_f32_e32 v12, v15, v8
	v_add_f32_e32 v8, v10, v12
	s_delay_alu instid0(VALU_DEP_1) | instskip(NEXT) | instid1(VALU_DEP_1)
	v_dual_sub_f32 v11, v9, v8 :: v_dual_mov_b32 v13, v8
	v_pk_add_f32 v[8:9], v[8:9], v[10:11] neg_lo:[0,1] neg_hi:[0,1]
	s_delay_alu instid0(VALU_DEP_1) | instskip(NEXT) | instid1(VALU_DEP_1)
	v_pk_add_f32 v[8:9], v[8:9], v[12:13] neg_lo:[0,1] neg_hi:[0,1]
	v_add_f32_e32 v8, v8, v9
	s_delay_alu instid0(VALU_DEP_1) | instskip(NEXT) | instid1(VALU_DEP_1)
	v_add_f32_e32 v8, v11, v8
	v_mul_f32_e32 v9, v14, v8
	s_delay_alu instid0(VALU_DEP_1) | instskip(NEXT) | instid1(VALU_DEP_1)
	v_add_f32_e32 v8, v15, v9
	v_sub_f32_e32 v10, v8, v15
	s_delay_alu instid0(VALU_DEP_1) | instskip(NEXT) | instid1(VALU_DEP_1)
	v_sub_f32_e32 v20, v9, v10
	v_add_f32_e32 v10, v20, v20
	v_mul_f32_e32 v11, v8, v8
	s_delay_alu instid0(VALU_DEP_1) | instskip(NEXT) | instid1(VALU_DEP_1)
	v_fma_f32 v9, v8, v8, -v11
	v_fmac_f32_e32 v9, v8, v10
	s_delay_alu instid0(VALU_DEP_1) | instskip(NEXT) | instid1(VALU_DEP_1)
	v_add_f32_e32 v10, v11, v9
	v_dual_fmaak_f32 v12, s2, v10, 0x3e91f4c4 :: v_dual_sub_f32 v11, v10, v11
	s_delay_alu instid0(VALU_DEP_1) | instskip(SKIP_1) | instid1(VALU_DEP_2)
	v_fmaak_f32 v14, v10, v12, 0x3ecccdef
	v_cvt_f64_f32_e64 v[12:13], |v6|
	v_dual_sub_f32 v18, v9, v11 :: v_dual_mul_f32 v15, v10, v14
	s_delay_alu instid0(VALU_DEP_1) | instskip(NEXT) | instid1(VALU_DEP_1)
	v_fma_f32 v9, v10, v14, -v15
	v_fmac_f32_e32 v9, v18, v14
	s_delay_alu instid0(VALU_DEP_1) | instskip(NEXT) | instid1(VALU_DEP_1)
	v_add_f32_e32 v11, v15, v9
	v_sub_f32_e32 v14, v11, v15
	v_add_f32_e32 v15, 0x3f2aaaaa, v11
	s_delay_alu instid0(VALU_DEP_1) | instskip(SKIP_1) | instid1(VALU_DEP_2)
	v_dual_sub_f32 v9, v9, v14 :: v_dual_add_f32 v14, 0xbf2aaaaa, v15
	v_frexp_exp_i32_f64_e32 v19, v[12:13]
	v_sub_f32_e32 v11, v11, v14
	s_delay_alu instid0(VALU_DEP_3) | instskip(NEXT) | instid1(VALU_DEP_1)
	v_add_f32_e32 v9, 0x31739010, v9
	v_pk_mul_f32 v[12:13], v[8:9], v[10:11]
	s_delay_alu instid0(VALU_DEP_1) | instskip(NEXT) | instid1(VALU_DEP_1)
	v_fma_f32 v14, v10, v8, -v12
	v_fmac_f32_e32 v14, v10, v20
	s_delay_alu instid0(VALU_DEP_1) | instskip(SKIP_1) | instid1(VALU_DEP_1)
	v_fmac_f32_e32 v14, v18, v8
	v_pk_add_f32 v[16:17], v[8:9], v[10:11]
	v_mov_b32_e32 v13, v17
	v_subrev_co_ci_u32_e64 v9, null, 0, v19, vcc_lo
	s_delay_alu instid0(VALU_DEP_2) | instskip(NEXT) | instid1(VALU_DEP_2)
	v_pk_add_f32 v[10:11], v[12:13], v[14:15]
	v_cvt_f32_i32_e32 v9, v9
	s_delay_alu instid0(VALU_DEP_2) | instskip(NEXT) | instid1(VALU_DEP_3)
	v_mov_b32_e32 v16, v11
	v_dual_sub_f32 v13, v15, v11 :: v_dual_sub_f32 v15, v10, v12
	s_delay_alu instid0(VALU_DEP_2) | instskip(NEXT) | instid1(VALU_DEP_2)
	v_pk_mul_f32 v[18:19], v[10:11], v[16:17]
	v_dual_add_f32 v13, v17, v13 :: v_dual_sub_f32 v14, v14, v15
	s_delay_alu instid0(VALU_DEP_2) | instskip(NEXT) | instid1(VALU_DEP_1)
	v_fma_f32 v12, v10, v11, -v18
	v_fmac_f32_e32 v12, v10, v13
	s_delay_alu instid0(VALU_DEP_1) | instskip(SKIP_2) | instid1(VALU_DEP_3)
	v_fmac_f32_e32 v12, v14, v11
	v_mul_f32_e32 v16, 0x3f317218, v9
	v_ldexp_f32 v11, v8, 1
	v_add_f32_e32 v17, v18, v12
	s_delay_alu instid0(VALU_DEP_3) | instskip(NEXT) | instid1(VALU_DEP_2)
	v_fma_f32 v10, 0x3f317218, v9, -v16
	v_dual_mov_b32 v19, v11 :: v_dual_mov_b32 v14, v17
	s_delay_alu instid0(VALU_DEP_2) | instskip(NEXT) | instid1(VALU_DEP_1)
	v_fmamk_f32 v10, v9, 0xb102e308, v10
	v_pk_add_f32 v[8:9], v[16:17], v[10:11]
	v_mov_b32_e32 v13, v17
	v_ldexp_f32 v11, v20, 1
	s_delay_alu instid0(VALU_DEP_3) | instskip(NEXT) | instid1(VALU_DEP_1)
	v_dual_mov_b32 v15, v9 :: v_dual_mov_b32 v22, v9
	v_pk_add_f32 v[14:15], v[14:15], v[18:19] neg_lo:[0,1] neg_hi:[0,1]
	s_delay_alu instid0(VALU_DEP_1) | instskip(NEXT) | instid1(VALU_DEP_1)
	v_pk_add_f32 v[12:13], v[12:13], v[14:15] neg_lo:[0,1] neg_hi:[0,1]
	v_add_f32_e32 v11, v11, v12
	s_delay_alu instid0(VALU_DEP_1) | instskip(NEXT) | instid1(VALU_DEP_1)
	v_dual_add_f32 v17, v11, v13 :: v_dual_mov_b32 v11, v8
	v_pk_add_f32 v[12:13], v[8:9], v[16:17]
	v_pk_add_f32 v[14:15], v[8:9], v[16:17] neg_lo:[0,1] neg_hi:[0,1]
	s_delay_alu instid0(VALU_DEP_2) | instskip(NEXT) | instid1(VALU_DEP_1)
	v_mov_b32_e32 v15, v13
	v_pk_add_f32 v[18:19], v[10:11], v[14:15]
	v_pk_add_f32 v[10:11], v[10:11], v[14:15] neg_lo:[0,1] neg_hi:[0,1]
	s_delay_alu instid0(VALU_DEP_2) | instskip(NEXT) | instid1(VALU_DEP_1)
	v_dual_mov_b32 v16, v19 :: v_dual_mov_b32 v11, v19
	v_pk_add_f32 v[20:21], v[16:17], v[8:9] neg_lo:[0,1] neg_hi:[0,1]
	v_dual_mov_b32 v18, v13 :: v_dual_mov_b32 v9, v8
	s_delay_alu instid0(VALU_DEP_2) | instskip(SKIP_1) | instid1(VALU_DEP_2)
	v_dual_mov_b32 v8, v17 :: v_dual_mov_b32 v23, v20
	v_mov_b32_e32 v17, v20
	v_pk_add_f32 v[14:15], v[18:19], v[22:23] neg_lo:[0,1] neg_hi:[0,1]
	s_delay_alu instid0(VALU_DEP_2) | instskip(SKIP_1) | instid1(VALU_DEP_3)
	v_pk_add_f32 v[12:13], v[12:13], v[16:17] neg_lo:[0,1] neg_hi:[0,1]
	v_mov_b32_e32 v12, v10
	v_pk_add_f32 v[8:9], v[8:9], v[14:15] neg_lo:[0,1] neg_hi:[0,1]
	s_delay_alu instid0(VALU_DEP_1) | instskip(NEXT) | instid1(VALU_DEP_1)
	v_pk_add_f32 v[12:13], v[12:13], v[8:9]
	v_mov_b32_e32 v14, v13
	s_delay_alu instid0(VALU_DEP_1) | instskip(NEXT) | instid1(VALU_DEP_1)
	v_pk_add_f32 v[14:15], v[12:13], v[14:15]
	v_pk_add_f32 v[16:17], v[16:17], v[14:15]
	s_delay_alu instid0(VALU_DEP_1) | instskip(NEXT) | instid1(VALU_DEP_1)
	v_dual_mov_b32 v9, v14 :: v_dual_mov_b32 v13, v16
	v_pk_add_f32 v[18:19], v[12:13], v[10:11] neg_lo:[0,1] neg_hi:[0,1]
	s_delay_alu instid0(VALU_DEP_1) | instskip(NEXT) | instid1(VALU_DEP_2)
	v_sub_f32_e32 v11, v12, v18
	v_pk_add_f32 v[8:9], v[8:9], v[18:19] neg_lo:[0,1] neg_hi:[0,1]
	s_delay_alu instid0(VALU_DEP_2) | instskip(NEXT) | instid1(VALU_DEP_1)
	v_sub_f32_e32 v10, v10, v11
	v_add_f32_e32 v8, v8, v10
	s_delay_alu instid0(VALU_DEP_1) | instskip(NEXT) | instid1(VALU_DEP_1)
	v_add_f32_e32 v8, v8, v9
	v_add_f32_e32 v9, v16, v8
	s_delay_alu instid0(VALU_DEP_1) | instskip(NEXT) | instid1(VALU_DEP_1)
	v_dual_sub_f32 v10, v9, v16 :: v_dual_mul_f32 v11, v7, v9
	v_dual_sub_f32 v8, v8, v10 :: v_dual_fma_f32 v9, v7, v9, -v11
	v_cmp_class_f32_e64 vcc_lo, v11, 0x204
	s_delay_alu instid0(VALU_DEP_2) | instskip(NEXT) | instid1(VALU_DEP_1)
	v_fmac_f32_e32 v9, v7, v8
	v_add_f32_e32 v8, v11, v9
	s_delay_alu instid0(VALU_DEP_1) | instskip(NEXT) | instid1(VALU_DEP_1)
	v_cndmask_b32_e32 v10, v8, v11, vcc_lo
	v_cmp_eq_f32_e32 vcc_lo, 0x42b17218, v10
	v_cndmask_b32_e64 v12, 0, 0x37000000, vcc_lo
	v_cmp_neq_f32_e64 vcc_lo, 0x7f800000, |v10|
	s_delay_alu instid0(VALU_DEP_2) | instskip(SKIP_1) | instid1(VALU_DEP_2)
	v_dual_sub_f32 v13, v10, v12 :: v_dual_sub_f32 v8, v8, v11
	v_trunc_f32_e32 v10, v7
	v_mul_f32_e32 v14, 0x3fb8aa3b, v13
	s_delay_alu instid0(VALU_DEP_3) | instskip(NEXT) | instid1(VALU_DEP_2)
	v_sub_f32_e32 v8, v9, v8
	v_fma_f32 v15, 0x3fb8aa3b, v13, -v14
	v_rndne_f32_e32 v16, v14
	s_delay_alu instid0(VALU_DEP_3) | instskip(SKIP_1) | instid1(VALU_DEP_3)
	v_cndmask_b32_e32 v8, 0, v8, vcc_lo
	v_cmp_ngt_f32_e32 vcc_lo, 0xc2ce8ed0, v13
	v_dual_fmamk_f32 v15, v13, 0x32a5705f, v15 :: v_dual_sub_f32 v14, v14, v16
	s_delay_alu instid0(VALU_DEP_1) | instskip(NEXT) | instid1(VALU_DEP_1)
	v_add_f32_e32 v14, v14, v15
	v_exp_f32_e32 v11, v14
	v_nop
	v_cvt_i32_f32_e32 v14, v16
	s_delay_alu instid0(TRANS32_DEP_1) | instid1(VALU_DEP_1)
	v_ldexp_f32 v9, v11, v14
	s_delay_alu instid0(VALU_DEP_1) | instskip(NEXT) | instid1(VALU_DEP_1)
	v_dual_mul_f32 v11, 0.5, v7 :: v_dual_cndmask_b32 v9, 0, v9, vcc_lo
	v_trunc_f32_e32 v14, v11
	v_cmp_nlt_f32_e32 vcc_lo, 0x42b17218, v13
	v_add_f32_e32 v8, v12, v8
	s_delay_alu instid0(VALU_DEP_3) | instskip(SKIP_2) | instid1(VALU_DEP_2)
	v_cmp_neq_f32_e64 s2, v14, v11
	v_cndmask_b32_e32 v9, 0x7f800000, v9, vcc_lo
	v_cmp_eq_f32_e32 vcc_lo, v10, v7
	v_cmp_class_f32_e64 s3, v9, 0x204
	s_and_b32 s2, vcc_lo, s2
	s_delay_alu instid0(SALU_CYCLE_1) | instskip(NEXT) | instid1(VALU_DEP_1)
	v_dual_fma_f32 v8, v9, v8, v9 :: v_dual_cndmask_b32 v10, 1.0, v6, s2
	v_cndmask_b32_e64 v8, v8, v9, s3
	v_cndmask_b32_e64 v9, 0x7f800000, 0, s20
	v_cmp_gt_f32_e64 s3, 0, v7
	s_delay_alu instid0(VALU_DEP_3) | instskip(SKIP_1) | instid1(SALU_CYCLE_1)
	v_bfi_b32 v8, 0x7fffffff, v8, v10
	s_xor_b32 s3, s3, s4
	v_cndmask_b32_e64 v11, 0x7f800000, 0, s3
	s_delay_alu instid0(VALU_DEP_2) | instskip(SKIP_3) | instid1(VALU_DEP_4)
	v_cndmask_b32_e32 v10, 0x7fc00000, v8, vcc_lo
	v_cmp_neq_f32_e64 vcc_lo, |v6|, 1.0
	v_cndmask_b32_e32 v9, 1.0, v9, vcc_lo
	v_cmp_gt_f32_e32 vcc_lo, 0, v6
	v_cndmask_b32_e32 v8, v8, v10, vcc_lo
	v_cmp_class_f32_e64 vcc_lo, v7, 0x204
	v_cndmask_b32_e64 v10, 0, v6, s2
	v_cmp_class_f32_e64 s2, v6, 0x204
	s_delay_alu instid0(VALU_DEP_4) | instskip(NEXT) | instid1(VALU_DEP_3)
	v_cndmask_b32_e32 v7, v8, v9, vcc_lo
	v_bfi_b32 v8, 0x7fffffff, v11, v10
	s_or_b32 vcc_lo, s4, s2
	v_cmp_o_f32_e64 s2, v6, v6
                                        ; implicit-def: $vgpr6
	s_delay_alu instid0(VALU_DEP_2) | instskip(NEXT) | instid1(VALU_DEP_1)
	v_cndmask_b32_e32 v7, v7, v8, vcc_lo
	v_cndmask_b32_e64 v7, 0x7fc00000, v7, s2
	s_mov_b32 s2, exec_lo
	v_cmpx_le_i32_e64 s7, v5
	s_xor_b32 s2, exec_lo, s2
	s_cbranch_execz .LBB7_9
; %bb.8:
	v_mad_u32 v6, s6, 3, v3
	global_load_b32 v6, v6, s[24:25] scale_offset
	s_wait_loadcnt 0x0
	v_cvt_f32_i32_e32 v6, v6
	s_delay_alu instid0(VALU_DEP_1)
	v_mul_f32_e32 v6, v7, v6
                                        ; implicit-def: $vgpr7
.LBB7_9:
	s_and_not1_saveexec_b32 s2, s2
	s_cbranch_execz .LBB7_11
; %bb.10:
	v_lshl_add_u32 v6, s6, 1, v3
	global_load_b32 v6, v6, s[24:25] scale_offset
	s_wait_loadcnt 0x0
	v_cvt_f32_i32_e32 v6, v6
	s_delay_alu instid0(VALU_DEP_1)
	v_mul_f32_e32 v6, v7, v6
.LBB7_11:
	s_or_b32 exec_lo, exec_lo, s2
.LBB7_12:
	s_and_not1_saveexec_b32 s7, s19
	s_cbranch_execz .LBB7_14
; %bb.13:
	v_cvt_f32_i32_e32 v6, v4
	s_cmp_neq_f32 s23, 1.0
	s_mov_b32 s2, 0x3e76c4e1
	s_cselect_b32 vcc_lo, -1, 0
	s_delay_alu instid0(VALU_DEP_1) | instskip(NEXT) | instid1(VALU_DEP_1)
	v_mul_f32_e32 v6, 0.5, v6
	v_cndmask_b32_e32 v7, 1.0, v6, vcc_lo
	s_delay_alu instid0(VALU_DEP_1) | instskip(SKIP_1) | instid1(VALU_DEP_1)
	v_cmp_neq_f32_e32 vcc_lo, 0, v7
	v_cndmask_b32_e64 v6, 1.0, s23, vcc_lo
	v_frexp_mant_f32_e64 v8, |v6|
	v_cmp_lt_f32_e64 s20, |v6|, 1.0
	v_cmp_eq_f32_e64 s4, 0, v6
	s_delay_alu instid0(VALU_DEP_3) | instskip(SKIP_1) | instid1(VALU_DEP_1)
	v_cmp_gt_f32_e32 vcc_lo, 0x3f2aaaab, v8
	v_cndmask_b32_e64 v9, 1.0, 2.0, vcc_lo
	v_mul_f32_e32 v8, v8, v9
	s_delay_alu instid0(VALU_DEP_1) | instskip(SKIP_1) | instid1(VALU_DEP_2)
	v_dual_add_f32 v11, 1.0, v8 :: v_dual_add_f32 v9, -1.0, v8
	v_cmp_neq_f32_e64 s19, v7, |v7|
	v_rcp_f32_e32 v14, v11
	v_add_f32_e32 v12, -1.0, v11
	s_xor_b32 s19, s19, s20
	s_delay_alu instid0(TRANS32_DEP_1) | instid1(VALU_DEP_1)
	v_dual_sub_f32 v8, v8, v12 :: v_dual_mul_f32 v15, v9, v14
	s_delay_alu instid0(VALU_DEP_1) | instskip(NEXT) | instid1(VALU_DEP_1)
	v_mul_f32_e32 v10, v11, v15
	v_fma_f32 v12, v15, v11, -v10
	s_delay_alu instid0(VALU_DEP_1) | instskip(NEXT) | instid1(VALU_DEP_1)
	v_fmac_f32_e32 v12, v15, v8
	v_add_f32_e32 v8, v10, v12
	s_delay_alu instid0(VALU_DEP_1) | instskip(NEXT) | instid1(VALU_DEP_1)
	v_dual_sub_f32 v11, v9, v8 :: v_dual_mov_b32 v13, v8
	v_pk_add_f32 v[8:9], v[8:9], v[10:11] neg_lo:[0,1] neg_hi:[0,1]
	s_delay_alu instid0(VALU_DEP_1) | instskip(NEXT) | instid1(VALU_DEP_1)
	v_pk_add_f32 v[8:9], v[8:9], v[12:13] neg_lo:[0,1] neg_hi:[0,1]
	v_add_f32_e32 v8, v8, v9
	s_delay_alu instid0(VALU_DEP_1) | instskip(NEXT) | instid1(VALU_DEP_1)
	v_add_f32_e32 v8, v11, v8
	v_mul_f32_e32 v9, v14, v8
	s_delay_alu instid0(VALU_DEP_1) | instskip(NEXT) | instid1(VALU_DEP_1)
	v_add_f32_e32 v8, v15, v9
	v_sub_f32_e32 v10, v8, v15
	s_delay_alu instid0(VALU_DEP_1) | instskip(NEXT) | instid1(VALU_DEP_1)
	v_sub_f32_e32 v20, v9, v10
	v_add_f32_e32 v10, v20, v20
	v_mul_f32_e32 v11, v8, v8
	s_delay_alu instid0(VALU_DEP_1) | instskip(NEXT) | instid1(VALU_DEP_1)
	v_fma_f32 v9, v8, v8, -v11
	v_fmac_f32_e32 v9, v8, v10
	s_delay_alu instid0(VALU_DEP_1) | instskip(NEXT) | instid1(VALU_DEP_1)
	v_add_f32_e32 v10, v11, v9
	v_dual_fmaak_f32 v12, s2, v10, 0x3e91f4c4 :: v_dual_sub_f32 v11, v10, v11
	s_delay_alu instid0(VALU_DEP_1) | instskip(NEXT) | instid1(VALU_DEP_2)
	v_fmaak_f32 v14, v10, v12, 0x3ecccdef
	v_sub_f32_e32 v18, v9, v11
	v_add_nc_u32_e32 v11, s6, v3
	v_cvt_f64_f32_e64 v[12:13], |v6|
	s_delay_alu instid0(VALU_DEP_4) | instskip(SKIP_2) | instid1(VALU_DEP_1)
	v_mul_f32_e32 v15, v10, v14
	global_load_b32 v24, v11, s[24:25] scale_offset
	v_fma_f32 v9, v10, v14, -v15
	v_fmac_f32_e32 v9, v18, v14
	s_wait_xcnt 0x0
	s_delay_alu instid0(VALU_DEP_1) | instskip(NEXT) | instid1(VALU_DEP_1)
	v_add_f32_e32 v11, v15, v9
	v_sub_f32_e32 v14, v11, v15
	v_add_f32_e32 v15, 0x3f2aaaaa, v11
	s_delay_alu instid0(VALU_DEP_1) | instskip(SKIP_1) | instid1(VALU_DEP_2)
	v_dual_sub_f32 v9, v9, v14 :: v_dual_add_f32 v14, 0xbf2aaaaa, v15
	v_frexp_exp_i32_f64_e32 v19, v[12:13]
	v_add_f32_e32 v9, 0x31739010, v9
	s_delay_alu instid0(VALU_DEP_3) | instskip(NEXT) | instid1(VALU_DEP_1)
	v_sub_f32_e32 v11, v11, v14
	v_pk_mul_f32 v[12:13], v[8:9], v[10:11]
	s_delay_alu instid0(VALU_DEP_1) | instskip(NEXT) | instid1(VALU_DEP_1)
	v_fma_f32 v14, v10, v8, -v12
	v_fmac_f32_e32 v14, v10, v20
	s_delay_alu instid0(VALU_DEP_1) | instskip(SKIP_1) | instid1(VALU_DEP_1)
	v_fmac_f32_e32 v14, v18, v8
	v_pk_add_f32 v[16:17], v[8:9], v[10:11]
	v_mov_b32_e32 v13, v17
	v_subrev_co_ci_u32_e64 v9, null, 0, v19, vcc_lo
	s_delay_alu instid0(VALU_DEP_2) | instskip(NEXT) | instid1(VALU_DEP_2)
	v_pk_add_f32 v[10:11], v[12:13], v[14:15]
	v_cvt_f32_i32_e32 v9, v9
	s_delay_alu instid0(VALU_DEP_2) | instskip(NEXT) | instid1(VALU_DEP_3)
	v_mov_b32_e32 v16, v11
	v_dual_sub_f32 v13, v15, v11 :: v_dual_sub_f32 v15, v10, v12
	s_delay_alu instid0(VALU_DEP_2) | instskip(NEXT) | instid1(VALU_DEP_2)
	v_pk_mul_f32 v[18:19], v[10:11], v[16:17]
	v_sub_f32_e32 v14, v14, v15
	s_delay_alu instid0(VALU_DEP_2) | instskip(NEXT) | instid1(VALU_DEP_1)
	v_dual_fma_f32 v12, v10, v11, -v18 :: v_dual_add_f32 v13, v17, v13
	v_fmac_f32_e32 v12, v10, v13
	s_delay_alu instid0(VALU_DEP_1) | instskip(SKIP_2) | instid1(VALU_DEP_3)
	v_fmac_f32_e32 v12, v14, v11
	v_mul_f32_e32 v16, 0x3f317218, v9
	v_ldexp_f32 v11, v8, 1
	v_add_f32_e32 v17, v18, v12
	s_delay_alu instid0(VALU_DEP_3) | instskip(NEXT) | instid1(VALU_DEP_2)
	v_fma_f32 v10, 0x3f317218, v9, -v16
	v_dual_mov_b32 v19, v11 :: v_dual_mov_b32 v14, v17
	s_delay_alu instid0(VALU_DEP_2) | instskip(NEXT) | instid1(VALU_DEP_1)
	v_fmamk_f32 v10, v9, 0xb102e308, v10
	v_pk_add_f32 v[8:9], v[16:17], v[10:11]
	v_ldexp_f32 v11, v20, 1
	s_delay_alu instid0(VALU_DEP_2) | instskip(NEXT) | instid1(VALU_DEP_1)
	v_dual_mov_b32 v13, v17 :: v_dual_mov_b32 v15, v9
	v_pk_add_f32 v[14:15], v[14:15], v[18:19] neg_lo:[0,1] neg_hi:[0,1]
	s_delay_alu instid0(VALU_DEP_1) | instskip(NEXT) | instid1(VALU_DEP_1)
	v_pk_add_f32 v[12:13], v[12:13], v[14:15] neg_lo:[0,1] neg_hi:[0,1]
	v_add_f32_e32 v11, v11, v12
	s_delay_alu instid0(VALU_DEP_1) | instskip(NEXT) | instid1(VALU_DEP_1)
	v_dual_add_f32 v17, v11, v13 :: v_dual_mov_b32 v11, v8
	v_pk_add_f32 v[12:13], v[8:9], v[16:17]
	v_pk_add_f32 v[14:15], v[8:9], v[16:17] neg_lo:[0,1] neg_hi:[0,1]
	s_delay_alu instid0(VALU_DEP_2) | instskip(NEXT) | instid1(VALU_DEP_1)
	v_dual_mov_b32 v22, v9 :: v_dual_mov_b32 v15, v13
	v_pk_add_f32 v[18:19], v[10:11], v[14:15]
	s_delay_alu instid0(VALU_DEP_1) | instskip(SKIP_1) | instid1(VALU_DEP_2)
	v_dual_mov_b32 v18, v13 :: v_dual_mov_b32 v16, v19
	v_pk_add_f32 v[10:11], v[10:11], v[14:15] neg_lo:[0,1] neg_hi:[0,1]
	v_pk_add_f32 v[20:21], v[16:17], v[8:9] neg_lo:[0,1] neg_hi:[0,1]
	v_dual_mov_b32 v9, v8 :: v_dual_mov_b32 v8, v17
	s_delay_alu instid0(VALU_DEP_2) | instskip(NEXT) | instid1(VALU_DEP_1)
	v_dual_mov_b32 v17, v20 :: v_dual_mov_b32 v23, v20
	v_pk_add_f32 v[12:13], v[12:13], v[16:17] neg_lo:[0,1] neg_hi:[0,1]
	s_delay_alu instid0(VALU_DEP_2) | instskip(SKIP_1) | instid1(VALU_DEP_2)
	v_pk_add_f32 v[14:15], v[18:19], v[22:23] neg_lo:[0,1] neg_hi:[0,1]
	v_mov_b32_e32 v12, v10
	v_pk_add_f32 v[8:9], v[8:9], v[14:15] neg_lo:[0,1] neg_hi:[0,1]
	s_delay_alu instid0(VALU_DEP_1) | instskip(NEXT) | instid1(VALU_DEP_1)
	v_pk_add_f32 v[12:13], v[12:13], v[8:9]
	v_mov_b32_e32 v14, v13
	s_delay_alu instid0(VALU_DEP_1) | instskip(NEXT) | instid1(VALU_DEP_1)
	v_pk_add_f32 v[14:15], v[12:13], v[14:15]
	v_pk_add_f32 v[16:17], v[16:17], v[14:15]
	s_delay_alu instid0(VALU_DEP_1) | instskip(NEXT) | instid1(VALU_DEP_1)
	v_dual_mov_b32 v11, v19 :: v_dual_mov_b32 v13, v16
	v_pk_add_f32 v[18:19], v[12:13], v[10:11] neg_lo:[0,1] neg_hi:[0,1]
	s_delay_alu instid0(VALU_DEP_1) | instskip(NEXT) | instid1(VALU_DEP_1)
	v_dual_mov_b32 v9, v14 :: v_dual_sub_f32 v11, v12, v18
	v_pk_add_f32 v[8:9], v[8:9], v[18:19] neg_lo:[0,1] neg_hi:[0,1]
	s_delay_alu instid0(VALU_DEP_2) | instskip(NEXT) | instid1(VALU_DEP_1)
	v_sub_f32_e32 v10, v10, v11
	v_add_f32_e32 v8, v8, v10
	s_delay_alu instid0(VALU_DEP_1) | instskip(NEXT) | instid1(VALU_DEP_1)
	v_add_f32_e32 v8, v8, v9
	v_add_f32_e32 v9, v16, v8
	s_delay_alu instid0(VALU_DEP_1) | instskip(NEXT) | instid1(VALU_DEP_1)
	v_dual_sub_f32 v10, v9, v16 :: v_dual_mul_f32 v11, v7, v9
	v_sub_f32_e32 v8, v8, v10
	s_delay_alu instid0(VALU_DEP_2) | instskip(SKIP_1) | instid1(VALU_DEP_1)
	v_cmp_class_f32_e64 vcc_lo, v11, 0x204
	v_fma_f32 v9, v7, v9, -v11
	v_fmac_f32_e32 v9, v7, v8
	s_delay_alu instid0(VALU_DEP_1) | instskip(NEXT) | instid1(VALU_DEP_1)
	v_add_f32_e32 v8, v11, v9
	v_cndmask_b32_e32 v10, v8, v11, vcc_lo
	s_delay_alu instid0(VALU_DEP_1) | instskip(SKIP_2) | instid1(VALU_DEP_2)
	v_cmp_eq_f32_e32 vcc_lo, 0x42b17218, v10
	v_cndmask_b32_e64 v12, 0, 0x37000000, vcc_lo
	v_cmp_neq_f32_e64 vcc_lo, 0x7f800000, |v10|
	v_dual_sub_f32 v13, v10, v12 :: v_dual_sub_f32 v8, v8, v11
	v_trunc_f32_e32 v10, v7
	s_delay_alu instid0(VALU_DEP_2) | instskip(NEXT) | instid1(VALU_DEP_1)
	v_mul_f32_e32 v14, 0x3fb8aa3b, v13
	v_fma_f32 v15, 0x3fb8aa3b, v13, -v14
	v_rndne_f32_e32 v16, v14
	s_delay_alu instid0(VALU_DEP_1) | instskip(NEXT) | instid1(VALU_DEP_1)
	v_dual_fmamk_f32 v15, v13, 0x32a5705f, v15 :: v_dual_sub_f32 v14, v14, v16
	v_dual_add_f32 v14, v14, v15 :: v_dual_sub_f32 v8, v9, v8
	s_delay_alu instid0(VALU_DEP_1)
	v_exp_f32_e32 v11, v14
	v_nop
	v_cvt_i32_f32_e32 v14, v16
	s_delay_alu instid0(TRANS32_DEP_1) | instid1(VALU_DEP_1)
	v_ldexp_f32 v9, v11, v14
	v_dual_mul_f32 v11, 0.5, v7 :: v_dual_cndmask_b32 v8, 0, v8
	v_cmp_ngt_f32_e32 vcc_lo, 0xc2ce8ed0, v13
	s_delay_alu instid0(VALU_DEP_2) | instskip(NEXT) | instid1(VALU_DEP_4)
	v_trunc_f32_e32 v14, v11
	v_cndmask_b32_e32 v9, 0, v9, vcc_lo
	v_cmp_nlt_f32_e32 vcc_lo, 0x42b17218, v13
	s_delay_alu instid0(VALU_DEP_3) | instskip(NEXT) | instid1(VALU_DEP_3)
	v_cmp_neq_f32_e64 s2, v14, v11
	v_cndmask_b32_e32 v9, 0x7f800000, v9, vcc_lo
	v_cmp_eq_f32_e32 vcc_lo, v10, v7
	s_delay_alu instid0(VALU_DEP_2) | instskip(SKIP_1) | instid1(SALU_CYCLE_1)
	v_cmp_class_f32_e64 s3, v9, 0x204
	s_and_b32 s2, vcc_lo, s2
	v_dual_cndmask_b32 v10, 1.0, v6, s2 :: v_dual_add_f32 v8, v12, v8
	s_delay_alu instid0(VALU_DEP_1) | instskip(NEXT) | instid1(VALU_DEP_1)
	v_fma_f32 v8, v9, v8, v9
	v_cndmask_b32_e64 v8, v8, v9, s3
	v_cndmask_b32_e64 v9, 0x7f800000, 0, s19
	v_cmp_gt_f32_e64 s3, 0, v7
	s_delay_alu instid0(VALU_DEP_3) | instskip(SKIP_1) | instid1(SALU_CYCLE_1)
	v_bfi_b32 v8, 0x7fffffff, v8, v10
	s_xor_b32 s3, s3, s4
	v_cndmask_b32_e64 v11, 0x7f800000, 0, s3
	s_delay_alu instid0(VALU_DEP_2) | instskip(SKIP_3) | instid1(VALU_DEP_4)
	v_cndmask_b32_e32 v10, 0x7fc00000, v8, vcc_lo
	v_cmp_neq_f32_e64 vcc_lo, |v6|, 1.0
	v_cndmask_b32_e32 v9, 1.0, v9, vcc_lo
	v_cmp_gt_f32_e32 vcc_lo, 0, v6
	v_cndmask_b32_e32 v8, v8, v10, vcc_lo
	v_cndmask_b32_e64 v10, 0, v6, s2
	v_cmp_class_f32_e64 vcc_lo, v7, 0x204
	v_cmp_class_f32_e64 s2, v6, 0x204
	s_delay_alu instid0(VALU_DEP_4) | instskip(NEXT) | instid1(VALU_DEP_4)
	v_cndmask_b32_e32 v7, v8, v9, vcc_lo
	v_bfi_b32 v8, 0x7fffffff, v11, v10
	s_or_b32 vcc_lo, s4, s2
	s_delay_alu instid0(VALU_DEP_1) | instskip(SKIP_3) | instid1(VALU_DEP_3)
	v_cndmask_b32_e32 v7, v7, v8, vcc_lo
	v_cmp_o_f32_e32 vcc_lo, v6, v6
	s_wait_loadcnt 0x0
	v_cvt_f32_i32_e32 v8, v24
	v_cndmask_b32_e32 v6, 0x7fc00000, v7, vcc_lo
	s_delay_alu instid0(VALU_DEP_1)
	v_mul_f32_e32 v6, v6, v8
.LBB7_14:
	s_or_b32 exec_lo, exec_lo, s7
.LBB7_15:
	s_and_not1_saveexec_b32 s5, s5
	s_cbranch_execz .LBB7_17
; %bb.16:
	v_cvt_f32_i32_e32 v6, v4
	s_cmp_neq_f32 s23, 1.0
	s_mov_b32 s2, 0x3e76c4e1
	global_load_b32 v24, v3, s[24:25] scale_offset
	s_cselect_b32 vcc_lo, -1, 0
	v_mul_f32_e32 v6, 0.5, v6
	s_delay_alu instid0(VALU_DEP_1) | instskip(NEXT) | instid1(VALU_DEP_1)
	v_cndmask_b32_e32 v7, 1.0, v6, vcc_lo
	v_cmp_neq_f32_e32 vcc_lo, 0, v7
	v_cndmask_b32_e64 v6, 1.0, s23, vcc_lo
	s_delay_alu instid0(VALU_DEP_1) | instskip(SKIP_2) | instid1(VALU_DEP_3)
	v_frexp_mant_f32_e64 v8, |v6|
	v_cmp_lt_f32_e64 s19, |v6|, 1.0
	v_cmp_eq_f32_e64 s4, 0, v6
	v_cmp_gt_f32_e32 vcc_lo, 0x3f2aaaab, v8
	v_cndmask_b32_e64 v9, 1.0, 2.0, vcc_lo
	s_delay_alu instid0(VALU_DEP_1) | instskip(NEXT) | instid1(VALU_DEP_1)
	v_mul_f32_e32 v8, v8, v9
	v_dual_add_f32 v11, 1.0, v8 :: v_dual_add_f32 v9, -1.0, v8
	v_cmp_neq_f32_e64 s7, v7, |v7|
	s_delay_alu instid0(VALU_DEP_2)
	v_rcp_f32_e32 v14, v11
	v_add_f32_e32 v12, -1.0, v11
	s_xor_b32 s7, s7, s19
	s_delay_alu instid0(TRANS32_DEP_1) | instid1(VALU_DEP_1)
	v_dual_sub_f32 v8, v8, v12 :: v_dual_mul_f32 v15, v9, v14
	s_delay_alu instid0(VALU_DEP_1) | instskip(NEXT) | instid1(VALU_DEP_1)
	v_mul_f32_e32 v10, v11, v15
	v_fma_f32 v12, v15, v11, -v10
	s_delay_alu instid0(VALU_DEP_1) | instskip(NEXT) | instid1(VALU_DEP_1)
	v_fmac_f32_e32 v12, v15, v8
	v_add_f32_e32 v8, v10, v12
	s_delay_alu instid0(VALU_DEP_1) | instskip(NEXT) | instid1(VALU_DEP_1)
	v_dual_sub_f32 v11, v9, v8 :: v_dual_mov_b32 v13, v8
	v_pk_add_f32 v[8:9], v[8:9], v[10:11] neg_lo:[0,1] neg_hi:[0,1]
	s_delay_alu instid0(VALU_DEP_1) | instskip(NEXT) | instid1(VALU_DEP_1)
	v_pk_add_f32 v[8:9], v[8:9], v[12:13] neg_lo:[0,1] neg_hi:[0,1]
	v_add_f32_e32 v8, v8, v9
	s_delay_alu instid0(VALU_DEP_1) | instskip(NEXT) | instid1(VALU_DEP_1)
	v_add_f32_e32 v8, v11, v8
	v_mul_f32_e32 v9, v14, v8
	s_delay_alu instid0(VALU_DEP_1) | instskip(NEXT) | instid1(VALU_DEP_1)
	v_add_f32_e32 v8, v15, v9
	v_sub_f32_e32 v10, v8, v15
	s_delay_alu instid0(VALU_DEP_1) | instskip(NEXT) | instid1(VALU_DEP_1)
	v_sub_f32_e32 v20, v9, v10
	v_add_f32_e32 v10, v20, v20
	v_mul_f32_e32 v11, v8, v8
	s_delay_alu instid0(VALU_DEP_1) | instskip(NEXT) | instid1(VALU_DEP_1)
	v_fma_f32 v9, v8, v8, -v11
	v_fmac_f32_e32 v9, v8, v10
	s_delay_alu instid0(VALU_DEP_1) | instskip(NEXT) | instid1(VALU_DEP_1)
	v_add_f32_e32 v10, v11, v9
	v_dual_fmaak_f32 v12, s2, v10, 0x3e91f4c4 :: v_dual_sub_f32 v11, v10, v11
	s_delay_alu instid0(VALU_DEP_1) | instskip(SKIP_1) | instid1(VALU_DEP_2)
	v_fmaak_f32 v14, v10, v12, 0x3ecccdef
	v_cvt_f64_f32_e64 v[12:13], |v6|
	v_dual_sub_f32 v18, v9, v11 :: v_dual_mul_f32 v15, v10, v14
	s_delay_alu instid0(VALU_DEP_1) | instskip(NEXT) | instid1(VALU_DEP_1)
	v_fma_f32 v9, v10, v14, -v15
	v_fmac_f32_e32 v9, v18, v14
	s_delay_alu instid0(VALU_DEP_1) | instskip(NEXT) | instid1(VALU_DEP_1)
	v_add_f32_e32 v11, v15, v9
	v_sub_f32_e32 v14, v11, v15
	v_add_f32_e32 v15, 0x3f2aaaaa, v11
	s_delay_alu instid0(VALU_DEP_1) | instskip(SKIP_1) | instid1(VALU_DEP_2)
	v_dual_sub_f32 v9, v9, v14 :: v_dual_add_f32 v14, 0xbf2aaaaa, v15
	v_frexp_exp_i32_f64_e32 v19, v[12:13]
	v_sub_f32_e32 v11, v11, v14
	s_delay_alu instid0(VALU_DEP_3) | instskip(NEXT) | instid1(VALU_DEP_1)
	v_add_f32_e32 v9, 0x31739010, v9
	v_pk_mul_f32 v[12:13], v[8:9], v[10:11]
	s_delay_alu instid0(VALU_DEP_1) | instskip(NEXT) | instid1(VALU_DEP_1)
	v_fma_f32 v14, v10, v8, -v12
	v_fmac_f32_e32 v14, v10, v20
	s_delay_alu instid0(VALU_DEP_1) | instskip(SKIP_1) | instid1(VALU_DEP_1)
	v_fmac_f32_e32 v14, v18, v8
	v_pk_add_f32 v[16:17], v[8:9], v[10:11]
	v_mov_b32_e32 v13, v17
	v_subrev_co_ci_u32_e64 v9, null, 0, v19, vcc_lo
	s_delay_alu instid0(VALU_DEP_2) | instskip(NEXT) | instid1(VALU_DEP_2)
	v_pk_add_f32 v[10:11], v[12:13], v[14:15]
	v_cvt_f32_i32_e32 v9, v9
	s_delay_alu instid0(VALU_DEP_2) | instskip(NEXT) | instid1(VALU_DEP_3)
	v_mov_b32_e32 v16, v11
	v_dual_sub_f32 v13, v15, v11 :: v_dual_sub_f32 v15, v10, v12
	s_delay_alu instid0(VALU_DEP_2) | instskip(NEXT) | instid1(VALU_DEP_2)
	v_pk_mul_f32 v[18:19], v[10:11], v[16:17]
	v_dual_add_f32 v13, v17, v13 :: v_dual_sub_f32 v14, v14, v15
	s_delay_alu instid0(VALU_DEP_2) | instskip(NEXT) | instid1(VALU_DEP_1)
	v_fma_f32 v12, v10, v11, -v18
	v_fmac_f32_e32 v12, v10, v13
	s_delay_alu instid0(VALU_DEP_1) | instskip(SKIP_2) | instid1(VALU_DEP_3)
	v_fmac_f32_e32 v12, v14, v11
	v_mul_f32_e32 v16, 0x3f317218, v9
	v_ldexp_f32 v11, v8, 1
	v_add_f32_e32 v17, v18, v12
	s_delay_alu instid0(VALU_DEP_3) | instskip(NEXT) | instid1(VALU_DEP_2)
	v_fma_f32 v10, 0x3f317218, v9, -v16
	v_dual_mov_b32 v19, v11 :: v_dual_mov_b32 v14, v17
	s_delay_alu instid0(VALU_DEP_2) | instskip(NEXT) | instid1(VALU_DEP_1)
	v_fmamk_f32 v10, v9, 0xb102e308, v10
	v_pk_add_f32 v[8:9], v[16:17], v[10:11]
	v_mov_b32_e32 v13, v17
	v_ldexp_f32 v11, v20, 1
	s_delay_alu instid0(VALU_DEP_3) | instskip(NEXT) | instid1(VALU_DEP_1)
	v_dual_mov_b32 v15, v9 :: v_dual_mov_b32 v22, v9
	v_pk_add_f32 v[14:15], v[14:15], v[18:19] neg_lo:[0,1] neg_hi:[0,1]
	s_delay_alu instid0(VALU_DEP_1) | instskip(NEXT) | instid1(VALU_DEP_1)
	v_pk_add_f32 v[12:13], v[12:13], v[14:15] neg_lo:[0,1] neg_hi:[0,1]
	v_add_f32_e32 v11, v11, v12
	s_delay_alu instid0(VALU_DEP_1) | instskip(NEXT) | instid1(VALU_DEP_1)
	v_dual_add_f32 v17, v11, v13 :: v_dual_mov_b32 v11, v8
	v_pk_add_f32 v[12:13], v[8:9], v[16:17]
	v_pk_add_f32 v[14:15], v[8:9], v[16:17] neg_lo:[0,1] neg_hi:[0,1]
	s_delay_alu instid0(VALU_DEP_2) | instskip(NEXT) | instid1(VALU_DEP_1)
	v_mov_b32_e32 v15, v13
	v_pk_add_f32 v[18:19], v[10:11], v[14:15]
	v_pk_add_f32 v[10:11], v[10:11], v[14:15] neg_lo:[0,1] neg_hi:[0,1]
	s_delay_alu instid0(VALU_DEP_2) | instskip(NEXT) | instid1(VALU_DEP_1)
	v_dual_mov_b32 v16, v19 :: v_dual_mov_b32 v11, v19
	v_pk_add_f32 v[20:21], v[16:17], v[8:9] neg_lo:[0,1] neg_hi:[0,1]
	v_dual_mov_b32 v18, v13 :: v_dual_mov_b32 v9, v8
	s_delay_alu instid0(VALU_DEP_2) | instskip(SKIP_1) | instid1(VALU_DEP_2)
	v_dual_mov_b32 v8, v17 :: v_dual_mov_b32 v23, v20
	v_mov_b32_e32 v17, v20
	v_pk_add_f32 v[14:15], v[18:19], v[22:23] neg_lo:[0,1] neg_hi:[0,1]
	s_delay_alu instid0(VALU_DEP_2) | instskip(SKIP_1) | instid1(VALU_DEP_3)
	v_pk_add_f32 v[12:13], v[12:13], v[16:17] neg_lo:[0,1] neg_hi:[0,1]
	v_mov_b32_e32 v12, v10
	v_pk_add_f32 v[8:9], v[8:9], v[14:15] neg_lo:[0,1] neg_hi:[0,1]
	s_delay_alu instid0(VALU_DEP_1) | instskip(NEXT) | instid1(VALU_DEP_1)
	v_pk_add_f32 v[12:13], v[12:13], v[8:9]
	v_mov_b32_e32 v14, v13
	s_delay_alu instid0(VALU_DEP_1) | instskip(NEXT) | instid1(VALU_DEP_1)
	v_pk_add_f32 v[14:15], v[12:13], v[14:15]
	v_pk_add_f32 v[16:17], v[16:17], v[14:15]
	s_delay_alu instid0(VALU_DEP_1) | instskip(NEXT) | instid1(VALU_DEP_1)
	v_dual_mov_b32 v9, v14 :: v_dual_mov_b32 v13, v16
	v_pk_add_f32 v[18:19], v[12:13], v[10:11] neg_lo:[0,1] neg_hi:[0,1]
	s_delay_alu instid0(VALU_DEP_1) | instskip(NEXT) | instid1(VALU_DEP_2)
	v_sub_f32_e32 v11, v12, v18
	v_pk_add_f32 v[8:9], v[8:9], v[18:19] neg_lo:[0,1] neg_hi:[0,1]
	s_delay_alu instid0(VALU_DEP_2) | instskip(NEXT) | instid1(VALU_DEP_1)
	v_sub_f32_e32 v10, v10, v11
	v_add_f32_e32 v8, v8, v10
	s_delay_alu instid0(VALU_DEP_1) | instskip(NEXT) | instid1(VALU_DEP_1)
	v_add_f32_e32 v8, v8, v9
	v_add_f32_e32 v9, v16, v8
	s_delay_alu instid0(VALU_DEP_1) | instskip(NEXT) | instid1(VALU_DEP_1)
	v_dual_sub_f32 v10, v9, v16 :: v_dual_mul_f32 v11, v7, v9
	v_dual_sub_f32 v8, v8, v10 :: v_dual_fma_f32 v9, v7, v9, -v11
	v_cmp_class_f32_e64 vcc_lo, v11, 0x204
	s_delay_alu instid0(VALU_DEP_2) | instskip(NEXT) | instid1(VALU_DEP_1)
	v_fmac_f32_e32 v9, v7, v8
	v_add_f32_e32 v8, v11, v9
	s_delay_alu instid0(VALU_DEP_1) | instskip(NEXT) | instid1(VALU_DEP_1)
	v_cndmask_b32_e32 v10, v8, v11, vcc_lo
	v_cmp_eq_f32_e32 vcc_lo, 0x42b17218, v10
	v_cndmask_b32_e64 v12, 0, 0x37000000, vcc_lo
	v_cmp_neq_f32_e64 vcc_lo, 0x7f800000, |v10|
	s_delay_alu instid0(VALU_DEP_2) | instskip(SKIP_1) | instid1(VALU_DEP_2)
	v_dual_sub_f32 v13, v10, v12 :: v_dual_sub_f32 v8, v8, v11
	v_trunc_f32_e32 v10, v7
	v_mul_f32_e32 v14, 0x3fb8aa3b, v13
	s_delay_alu instid0(VALU_DEP_3) | instskip(NEXT) | instid1(VALU_DEP_2)
	v_sub_f32_e32 v8, v9, v8
	v_fma_f32 v15, 0x3fb8aa3b, v13, -v14
	v_rndne_f32_e32 v16, v14
	s_delay_alu instid0(VALU_DEP_3) | instskip(SKIP_1) | instid1(VALU_DEP_3)
	v_cndmask_b32_e32 v8, 0, v8, vcc_lo
	v_cmp_ngt_f32_e32 vcc_lo, 0xc2ce8ed0, v13
	v_dual_fmamk_f32 v15, v13, 0x32a5705f, v15 :: v_dual_sub_f32 v14, v14, v16
	s_delay_alu instid0(VALU_DEP_1) | instskip(NEXT) | instid1(VALU_DEP_1)
	v_add_f32_e32 v14, v14, v15
	v_exp_f32_e32 v11, v14
	v_nop
	v_cvt_i32_f32_e32 v14, v16
	s_delay_alu instid0(TRANS32_DEP_1) | instid1(VALU_DEP_1)
	v_ldexp_f32 v9, v11, v14
	s_delay_alu instid0(VALU_DEP_1) | instskip(NEXT) | instid1(VALU_DEP_1)
	v_dual_mul_f32 v11, 0.5, v7 :: v_dual_cndmask_b32 v9, 0, v9, vcc_lo
	v_trunc_f32_e32 v14, v11
	v_cmp_nlt_f32_e32 vcc_lo, 0x42b17218, v13
	v_add_f32_e32 v8, v12, v8
	s_delay_alu instid0(VALU_DEP_3) | instskip(SKIP_2) | instid1(VALU_DEP_2)
	v_cmp_neq_f32_e64 s2, v14, v11
	v_cndmask_b32_e32 v9, 0x7f800000, v9, vcc_lo
	v_cmp_eq_f32_e32 vcc_lo, v10, v7
	v_cmp_class_f32_e64 s3, v9, 0x204
	s_and_b32 s2, vcc_lo, s2
	s_delay_alu instid0(SALU_CYCLE_1) | instskip(NEXT) | instid1(VALU_DEP_1)
	v_dual_fma_f32 v8, v9, v8, v9 :: v_dual_cndmask_b32 v10, 1.0, v6, s2
	v_cndmask_b32_e64 v8, v8, v9, s3
	v_cndmask_b32_e64 v9, 0x7f800000, 0, s7
	v_cmp_gt_f32_e64 s3, 0, v7
	s_delay_alu instid0(VALU_DEP_3) | instskip(SKIP_1) | instid1(SALU_CYCLE_1)
	v_bfi_b32 v8, 0x7fffffff, v8, v10
	s_xor_b32 s3, s3, s4
	v_cndmask_b32_e64 v11, 0x7f800000, 0, s3
	s_delay_alu instid0(VALU_DEP_2) | instskip(SKIP_3) | instid1(VALU_DEP_4)
	v_cndmask_b32_e32 v10, 0x7fc00000, v8, vcc_lo
	v_cmp_neq_f32_e64 vcc_lo, |v6|, 1.0
	v_cndmask_b32_e32 v9, 1.0, v9, vcc_lo
	v_cmp_gt_f32_e32 vcc_lo, 0, v6
	v_cndmask_b32_e32 v8, v8, v10, vcc_lo
	v_cmp_class_f32_e64 vcc_lo, v7, 0x204
	v_cndmask_b32_e64 v10, 0, v6, s2
	v_cmp_class_f32_e64 s2, v6, 0x204
	s_delay_alu instid0(VALU_DEP_4) | instskip(NEXT) | instid1(VALU_DEP_3)
	v_cndmask_b32_e32 v7, v8, v9, vcc_lo
	v_bfi_b32 v8, 0x7fffffff, v11, v10
	s_or_b32 vcc_lo, s4, s2
	s_delay_alu instid0(VALU_DEP_1) | instskip(SKIP_3) | instid1(VALU_DEP_3)
	v_cndmask_b32_e32 v7, v7, v8, vcc_lo
	v_cmp_o_f32_e32 vcc_lo, v6, v6
	s_wait_loadcnt 0x0
	v_cvt_f32_i32_e32 v8, v24
	v_cndmask_b32_e32 v6, 0x7fc00000, v7, vcc_lo
	s_delay_alu instid0(VALU_DEP_1)
	v_mul_f32_e32 v6, v6, v8
.LBB7_17:
	s_wait_xcnt 0x0
	s_or_b32 exec_lo, exec_lo, s5
	s_cbranch_execz .LBB7_19
	s_branch .LBB7_32
.LBB7_18:
                                        ; implicit-def: $vgpr6
.LBB7_19:
	s_delay_alu instid0(VALU_DEP_1) | instskip(SKIP_1) | instid1(SALU_CYCLE_1)
	v_mul_hi_i32 v6, 0x55555556, v5
	s_mul_i32 s2, s17, 3
	v_cmp_le_i32_e64 s2, s2, v5
	s_delay_alu instid0(VALU_DEP_2) | instskip(NEXT) | instid1(VALU_DEP_1)
	v_lshrrev_b32_e32 v7, 31, v6
	v_add_nc_u32_e32 v6, v6, v7
	s_delay_alu instid0(VALU_DEP_1) | instskip(NEXT) | instid1(VALU_DEP_1)
	v_lshl_add_u32 v6, v6, 1, v6
	v_sub_nc_u32_e32 v7, v5, v6
                                        ; implicit-def: $vgpr6
	s_delay_alu instid0(VALU_DEP_1) | instskip(SKIP_1) | instid1(SALU_CYCLE_1)
	v_cmp_ne_u32_e32 vcc_lo, 1, v7
	s_or_b32 s2, vcc_lo, s2
	s_and_saveexec_b32 s3, s2
	s_delay_alu instid0(SALU_CYCLE_1)
	s_xor_b32 s5, exec_lo, s3
	s_cbranch_execz .LBB7_29
; %bb.20:
	s_mul_i32 s2, s18, 3
	v_cmp_ne_u32_e32 vcc_lo, 2, v7
	v_cmp_le_i32_e64 s2, s2, v5
                                        ; implicit-def: $vgpr6
	s_or_b32 s2, vcc_lo, s2
	s_delay_alu instid0(SALU_CYCLE_1) | instskip(NEXT) | instid1(SALU_CYCLE_1)
	s_and_saveexec_b32 s3, s2
	s_xor_b32 s7, exec_lo, s3
	s_cbranch_execz .LBB7_26
; %bb.21:
	s_mul_i32 s2, s16, 3
	v_cmp_ne_u32_e32 vcc_lo, 0, v7
	v_cmp_le_i32_e64 s2, s2, v5
                                        ; implicit-def: $vgpr6
	s_or_b32 s2, vcc_lo, s2
	s_delay_alu instid0(SALU_CYCLE_1) | instskip(NEXT) | instid1(SALU_CYCLE_1)
	s_and_saveexec_b32 s3, s2
	s_xor_b32 s16, exec_lo, s3
	s_cbranch_execz .LBB7_23
; %bb.22:
	v_cvt_f32_i32_e32 v4, v4
	s_cmp_neq_f32 s23, 1.0
	s_mov_b32 s2, 0x3e76c4e1
	v_mad_u32 v3, s6, 3, v3
	s_cselect_b32 vcc_lo, -1, 0
	v_mul_f32_e32 v4, 0.5, v4
	s_delay_alu instid0(VALU_DEP_1) | instskip(SKIP_3) | instid1(VALU_DEP_1)
	v_cndmask_b32_e32 v5, 1.0, v4, vcc_lo
	global_load_b32 v22, v3, s[24:25] scale_offset
	v_cmp_neq_f32_e32 vcc_lo, 0, v5
	v_cndmask_b32_e64 v4, 1.0, s23, vcc_lo
	v_frexp_mant_f32_e64 v6, |v4|
	v_cmp_lt_f32_e64 s18, |v4|, 1.0
	v_cmp_eq_f32_e64 s4, 0, v4
	s_delay_alu instid0(VALU_DEP_3) | instskip(SKIP_1) | instid1(VALU_DEP_1)
	v_cmp_gt_f32_e32 vcc_lo, 0x3f2aaaab, v6
	v_cndmask_b32_e64 v7, 1.0, 2.0, vcc_lo
	v_mul_f32_e32 v6, v6, v7
	s_delay_alu instid0(VALU_DEP_1) | instskip(SKIP_1) | instid1(VALU_DEP_2)
	v_dual_add_f32 v9, 1.0, v6 :: v_dual_add_f32 v7, -1.0, v6
	v_cmp_neq_f32_e64 s17, v5, |v5|
	v_rcp_f32_e32 v12, v9
	v_add_f32_e32 v10, -1.0, v9
	s_xor_b32 s17, s17, s18
	s_delay_alu instid0(TRANS32_DEP_1) | instid1(VALU_DEP_1)
	v_dual_sub_f32 v6, v6, v10 :: v_dual_mul_f32 v13, v7, v12
	s_delay_alu instid0(VALU_DEP_1) | instskip(NEXT) | instid1(VALU_DEP_1)
	v_mul_f32_e32 v8, v9, v13
	v_fma_f32 v10, v13, v9, -v8
	s_delay_alu instid0(VALU_DEP_1) | instskip(NEXT) | instid1(VALU_DEP_1)
	v_fmac_f32_e32 v10, v13, v6
	v_add_f32_e32 v6, v8, v10
	s_delay_alu instid0(VALU_DEP_1) | instskip(NEXT) | instid1(VALU_DEP_1)
	v_dual_sub_f32 v9, v7, v6 :: v_dual_mov_b32 v11, v6
	v_pk_add_f32 v[6:7], v[6:7], v[8:9] neg_lo:[0,1] neg_hi:[0,1]
	s_delay_alu instid0(VALU_DEP_1) | instskip(NEXT) | instid1(VALU_DEP_1)
	v_pk_add_f32 v[6:7], v[6:7], v[10:11] neg_lo:[0,1] neg_hi:[0,1]
	v_add_f32_e32 v6, v6, v7
	s_delay_alu instid0(VALU_DEP_1) | instskip(NEXT) | instid1(VALU_DEP_1)
	v_add_f32_e32 v6, v9, v6
	v_mul_f32_e32 v7, v12, v6
	s_delay_alu instid0(VALU_DEP_1) | instskip(NEXT) | instid1(VALU_DEP_1)
	v_add_f32_e32 v6, v13, v7
	v_sub_f32_e32 v8, v6, v13
	s_delay_alu instid0(VALU_DEP_1) | instskip(NEXT) | instid1(VALU_DEP_1)
	v_sub_f32_e32 v18, v7, v8
	v_add_f32_e32 v8, v18, v18
	v_mul_f32_e32 v9, v6, v6
	s_delay_alu instid0(VALU_DEP_1) | instskip(NEXT) | instid1(VALU_DEP_1)
	v_fma_f32 v7, v6, v6, -v9
	v_fmac_f32_e32 v7, v6, v8
	s_delay_alu instid0(VALU_DEP_1) | instskip(NEXT) | instid1(VALU_DEP_1)
	v_add_f32_e32 v8, v9, v7
	v_dual_fmaak_f32 v10, s2, v8, 0x3e91f4c4 :: v_dual_sub_f32 v9, v8, v9
	s_delay_alu instid0(VALU_DEP_1) | instskip(SKIP_1) | instid1(VALU_DEP_2)
	v_fmaak_f32 v12, v8, v10, 0x3ecccdef
	v_cvt_f64_f32_e64 v[10:11], |v4|
	v_dual_sub_f32 v16, v7, v9 :: v_dual_mul_f32 v13, v8, v12
	s_delay_alu instid0(VALU_DEP_1) | instskip(NEXT) | instid1(VALU_DEP_1)
	v_fma_f32 v7, v8, v12, -v13
	v_fmac_f32_e32 v7, v16, v12
	s_wait_xcnt 0x0
	s_delay_alu instid0(VALU_DEP_1) | instskip(NEXT) | instid1(VALU_DEP_1)
	v_add_f32_e32 v3, v13, v7
	v_sub_f32_e32 v9, v3, v13
	v_add_f32_e32 v13, 0x3f2aaaaa, v3
	s_delay_alu instid0(VALU_DEP_2) | instskip(NEXT) | instid1(VALU_DEP_2)
	v_sub_f32_e32 v7, v7, v9
	v_add_f32_e32 v9, 0xbf2aaaaa, v13
	v_frexp_exp_i32_f64_e32 v17, v[10:11]
	s_delay_alu instid0(VALU_DEP_3) | instskip(NEXT) | instid1(VALU_DEP_3)
	v_add_f32_e32 v7, 0x31739010, v7
	v_sub_f32_e32 v9, v3, v9
	s_delay_alu instid0(VALU_DEP_1) | instskip(SKIP_1) | instid1(VALU_DEP_1)
	v_pk_mul_f32 v[10:11], v[6:7], v[8:9]
	v_pk_add_f32 v[14:15], v[6:7], v[8:9]
	v_dual_fma_f32 v12, v8, v6, -v10 :: v_dual_mov_b32 v11, v15
	s_delay_alu instid0(VALU_DEP_1) | instskip(NEXT) | instid1(VALU_DEP_1)
	v_fmac_f32_e32 v12, v8, v18
	v_fmac_f32_e32 v12, v16, v6
	s_delay_alu instid0(VALU_DEP_1) | instskip(SKIP_1) | instid1(VALU_DEP_2)
	v_pk_add_f32 v[8:9], v[10:11], v[12:13]
	v_subrev_co_ci_u32_e64 v3, null, 0, v17, vcc_lo
	v_mov_b32_e32 v14, v9
	s_delay_alu instid0(VALU_DEP_3) | instskip(NEXT) | instid1(VALU_DEP_3)
	v_dual_sub_f32 v7, v13, v9 :: v_dual_sub_f32 v11, v8, v10
	v_cvt_f32_i32_e32 v3, v3
	s_delay_alu instid0(VALU_DEP_3) | instskip(NEXT) | instid1(VALU_DEP_3)
	v_pk_mul_f32 v[16:17], v[8:9], v[14:15]
	v_add_f32_e32 v7, v15, v7
	s_delay_alu instid0(VALU_DEP_4) | instskip(NEXT) | instid1(VALU_DEP_3)
	v_sub_f32_e32 v11, v12, v11
	v_fma_f32 v10, v8, v9, -v16
	s_delay_alu instid0(VALU_DEP_1) | instskip(NEXT) | instid1(VALU_DEP_1)
	v_fmac_f32_e32 v10, v8, v7
	v_fmac_f32_e32 v10, v11, v9
	v_mul_f32_e32 v14, 0x3f317218, v3
	v_ldexp_f32 v9, v6, 1
	s_delay_alu instid0(VALU_DEP_3) | instskip(NEXT) | instid1(VALU_DEP_3)
	v_add_f32_e32 v15, v16, v10
	v_fma_f32 v7, 0x3f317218, v3, -v14
	s_delay_alu instid0(VALU_DEP_2) | instskip(NEXT) | instid1(VALU_DEP_2)
	v_dual_mov_b32 v17, v9 :: v_dual_mov_b32 v11, v15
	v_fmamk_f32 v8, v3, 0xb102e308, v7
	v_ldexp_f32 v3, v18, 1
	s_delay_alu instid0(VALU_DEP_2) | instskip(NEXT) | instid1(VALU_DEP_1)
	v_pk_add_f32 v[6:7], v[14:15], v[8:9]
	v_dual_mov_b32 v12, v15 :: v_dual_mov_b32 v13, v7
	s_delay_alu instid0(VALU_DEP_2) | instskip(NEXT) | instid1(VALU_DEP_2)
	v_dual_mov_b32 v9, v6 :: v_dual_mov_b32 v20, v7
	v_pk_add_f32 v[12:13], v[12:13], v[16:17] neg_lo:[0,1] neg_hi:[0,1]
	s_delay_alu instid0(VALU_DEP_1) | instskip(NEXT) | instid1(VALU_DEP_1)
	v_pk_add_f32 v[10:11], v[10:11], v[12:13] neg_lo:[0,1] neg_hi:[0,1]
	v_add_f32_e32 v3, v3, v10
	s_delay_alu instid0(VALU_DEP_1) | instskip(NEXT) | instid1(VALU_DEP_1)
	v_add_f32_e32 v15, v3, v11
	v_pk_add_f32 v[10:11], v[6:7], v[14:15]
	v_pk_add_f32 v[12:13], v[6:7], v[14:15] neg_lo:[0,1] neg_hi:[0,1]
	s_delay_alu instid0(VALU_DEP_2) | instskip(NEXT) | instid1(VALU_DEP_1)
	v_mov_b32_e32 v13, v11
	v_pk_add_f32 v[16:17], v[8:9], v[12:13]
	v_mov_b32_e32 v16, v11
	v_pk_add_f32 v[8:9], v[8:9], v[12:13] neg_lo:[0,1] neg_hi:[0,1]
	s_delay_alu instid0(VALU_DEP_3) | instskip(NEXT) | instid1(VALU_DEP_1)
	v_dual_mov_b32 v14, v17 :: v_dual_mov_b32 v9, v17
	v_pk_add_f32 v[18:19], v[14:15], v[6:7] neg_lo:[0,1] neg_hi:[0,1]
	v_dual_mov_b32 v7, v6 :: v_dual_mov_b32 v6, v15
	s_delay_alu instid0(VALU_DEP_2) | instskip(NEXT) | instid1(VALU_DEP_1)
	v_dual_mov_b32 v21, v18 :: v_dual_mov_b32 v3, v18
	v_pk_add_f32 v[12:13], v[16:17], v[20:21] neg_lo:[0,1] neg_hi:[0,1]
	s_delay_alu instid0(VALU_DEP_2) | instskip(SKIP_1) | instid1(VALU_DEP_3)
	v_pk_add_f32 v[10:11], v[10:11], v[2:3] neg_lo:[0,1] neg_hi:[0,1]
	v_mov_b32_e32 v10, v8
	v_pk_add_f32 v[6:7], v[6:7], v[12:13] neg_lo:[0,1] neg_hi:[0,1]
	s_delay_alu instid0(VALU_DEP_1) | instskip(NEXT) | instid1(VALU_DEP_1)
	v_pk_add_f32 v[10:11], v[10:11], v[6:7]
	v_mov_b32_e32 v12, v11
	s_delay_alu instid0(VALU_DEP_1) | instskip(NEXT) | instid1(VALU_DEP_1)
	v_pk_add_f32 v[12:13], v[10:11], v[12:13]
	v_pk_add_f32 v[14:15], v[14:15], v[12:13]
	s_delay_alu instid0(VALU_DEP_1) | instskip(NEXT) | instid1(VALU_DEP_1)
	v_dual_mov_b32 v7, v12 :: v_dual_mov_b32 v11, v14
	v_pk_add_f32 v[16:17], v[10:11], v[8:9] neg_lo:[0,1] neg_hi:[0,1]
	s_delay_alu instid0(VALU_DEP_1) | instskip(NEXT) | instid1(VALU_DEP_2)
	v_sub_f32_e32 v3, v10, v16
	v_pk_add_f32 v[6:7], v[6:7], v[16:17] neg_lo:[0,1] neg_hi:[0,1]
	s_delay_alu instid0(VALU_DEP_2) | instskip(NEXT) | instid1(VALU_DEP_1)
	v_sub_f32_e32 v3, v8, v3
	v_add_f32_e32 v3, v6, v3
	s_delay_alu instid0(VALU_DEP_1) | instskip(NEXT) | instid1(VALU_DEP_1)
	v_add_f32_e32 v3, v3, v7
	v_add_f32_e32 v6, v14, v3
	s_delay_alu instid0(VALU_DEP_1) | instskip(NEXT) | instid1(VALU_DEP_1)
	v_sub_f32_e32 v7, v6, v14
	v_dual_mul_f32 v8, v5, v6 :: v_dual_sub_f32 v3, v3, v7
	s_delay_alu instid0(VALU_DEP_1) | instskip(SKIP_1) | instid1(VALU_DEP_2)
	v_fma_f32 v6, v5, v6, -v8
	v_cmp_class_f32_e64 vcc_lo, v8, 0x204
	v_fmac_f32_e32 v6, v5, v3
	s_delay_alu instid0(VALU_DEP_1) | instskip(NEXT) | instid1(VALU_DEP_1)
	v_add_f32_e32 v3, v8, v6
	v_cndmask_b32_e32 v7, v3, v8, vcc_lo
	s_delay_alu instid0(VALU_DEP_1) | instskip(SKIP_2) | instid1(VALU_DEP_2)
	v_cmp_eq_f32_e32 vcc_lo, 0x42b17218, v7
	v_cndmask_b32_e64 v9, 0, 0x37000000, vcc_lo
	v_cmp_neq_f32_e64 vcc_lo, 0x7f800000, |v7|
	v_sub_f32_e32 v10, v7, v9
	v_trunc_f32_e32 v7, v5
	s_delay_alu instid0(VALU_DEP_2) | instskip(NEXT) | instid1(VALU_DEP_1)
	v_mul_f32_e32 v11, 0x3fb8aa3b, v10
	v_fma_f32 v12, 0x3fb8aa3b, v10, -v11
	v_rndne_f32_e32 v13, v11
	s_delay_alu instid0(VALU_DEP_1) | instskip(SKIP_1) | instid1(VALU_DEP_1)
	v_dual_fmamk_f32 v12, v10, 0x32a5705f, v12 :: v_dual_sub_f32 v11, v11, v13
	v_sub_f32_e32 v3, v3, v8
	v_dual_add_f32 v11, v11, v12 :: v_dual_sub_f32 v3, v6, v3
	s_delay_alu instid0(VALU_DEP_1) | instskip(SKIP_2) | instid1(VALU_DEP_3)
	v_exp_f32_e32 v8, v11
	v_nop
	v_cvt_i32_f32_e32 v11, v13
	v_cndmask_b32_e32 v3, 0, v3, vcc_lo
	v_cmp_ngt_f32_e32 vcc_lo, 0xc2ce8ed0, v10
	s_delay_alu instid0(TRANS32_DEP_1) | instid1(VALU_DEP_3)
	v_ldexp_f32 v6, v8, v11
	s_delay_alu instid0(VALU_DEP_1) | instskip(NEXT) | instid1(VALU_DEP_1)
	v_dual_mul_f32 v8, 0.5, v5 :: v_dual_cndmask_b32 v6, 0, v6, vcc_lo
	v_trunc_f32_e32 v11, v8
	v_cmp_nlt_f32_e32 vcc_lo, 0x42b17218, v10
	s_delay_alu instid0(VALU_DEP_2) | instskip(NEXT) | instid1(VALU_DEP_4)
	v_cmp_neq_f32_e64 s2, v11, v8
	v_cndmask_b32_e32 v6, 0x7f800000, v6, vcc_lo
	v_cmp_eq_f32_e32 vcc_lo, v7, v5
	s_delay_alu instid0(VALU_DEP_2) | instskip(SKIP_1) | instid1(SALU_CYCLE_1)
	v_cmp_class_f32_e64 s3, v6, 0x204
	s_and_b32 s2, vcc_lo, s2
	v_dual_cndmask_b32 v7, 1.0, v4, s2 :: v_dual_add_f32 v3, v9, v3
	s_delay_alu instid0(VALU_DEP_1) | instskip(NEXT) | instid1(VALU_DEP_1)
	v_fma_f32 v3, v6, v3, v6
	v_cndmask_b32_e64 v3, v3, v6, s3
	v_cndmask_b32_e64 v6, 0x7f800000, 0, s17
	v_cmp_gt_f32_e64 s3, 0, v5
	s_delay_alu instid0(VALU_DEP_3) | instskip(SKIP_1) | instid1(SALU_CYCLE_1)
	v_bfi_b32 v3, 0x7fffffff, v3, v7
	s_xor_b32 s3, s3, s4
	v_cndmask_b32_e64 v8, 0x7f800000, 0, s3
	s_delay_alu instid0(VALU_DEP_2) | instskip(SKIP_3) | instid1(VALU_DEP_3)
	v_cndmask_b32_e32 v7, 0x7fc00000, v3, vcc_lo
	v_cmp_neq_f32_e64 vcc_lo, |v4|, 1.0
	v_cndmask_b32_e32 v6, 1.0, v6, vcc_lo
	v_cmp_gt_f32_e32 vcc_lo, 0, v4
	v_dual_cndmask_b32 v3, v3, v7, vcc_lo :: v_dual_cndmask_b32 v7, 0, v4, s2
	v_cmp_class_f32_e64 vcc_lo, v5, 0x204
	v_cmp_class_f32_e64 s2, v4, 0x204
	s_delay_alu instid0(VALU_DEP_3) | instskip(NEXT) | instid1(VALU_DEP_4)
	v_bfi_b32 v5, 0x7fffffff, v8, v7
	v_cndmask_b32_e32 v3, v3, v6, vcc_lo
	s_or_b32 vcc_lo, s4, s2
	s_delay_alu instid0(VALU_DEP_1) | instskip(SKIP_3) | instid1(VALU_DEP_3)
	v_cndmask_b32_e32 v3, v3, v5, vcc_lo
	v_cmp_o_f32_e32 vcc_lo, v4, v4
	s_wait_loadcnt 0x0
	v_cvt_f32_i32_e32 v5, v22
                                        ; implicit-def: $vgpr4
	v_cndmask_b32_e32 v3, 0x7fc00000, v3, vcc_lo
	s_delay_alu instid0(VALU_DEP_1)
	v_mul_f32_e32 v6, v3, v5
                                        ; implicit-def: $vgpr3
.LBB7_23:
	s_and_not1_saveexec_b32 s16, s16
	s_cbranch_execz .LBB7_25
; %bb.24:
	v_cvt_f32_i32_e32 v4, v4
	s_cmp_neq_f32 s23, 1.0
	s_mov_b32 s2, 0x3e76c4e1
	global_load_b32 v22, v3, s[24:25] scale_offset
	s_cselect_b32 vcc_lo, -1, 0
	v_mul_f32_e32 v4, 0.5, v4
	s_delay_alu instid0(VALU_DEP_1) | instskip(NEXT) | instid1(VALU_DEP_1)
	v_cndmask_b32_e32 v5, 1.0, v4, vcc_lo
	v_cmp_neq_f32_e32 vcc_lo, 0, v5
	v_cndmask_b32_e64 v4, 1.0, s23, vcc_lo
	s_delay_alu instid0(VALU_DEP_1) | instskip(SKIP_2) | instid1(VALU_DEP_3)
	v_frexp_mant_f32_e64 v6, |v4|
	v_cmp_lt_f32_e64 s18, |v4|, 1.0
	v_cmp_eq_f32_e64 s4, 0, v4
	v_cmp_gt_f32_e32 vcc_lo, 0x3f2aaaab, v6
	v_cndmask_b32_e64 v7, 1.0, 2.0, vcc_lo
	s_delay_alu instid0(VALU_DEP_1) | instskip(NEXT) | instid1(VALU_DEP_1)
	v_mul_f32_e32 v6, v6, v7
	v_dual_add_f32 v9, 1.0, v6 :: v_dual_add_f32 v7, -1.0, v6
	v_cmp_neq_f32_e64 s17, v5, |v5|
	s_delay_alu instid0(VALU_DEP_2)
	v_rcp_f32_e32 v12, v9
	v_add_f32_e32 v10, -1.0, v9
	s_xor_b32 s17, s17, s18
	s_delay_alu instid0(TRANS32_DEP_1) | instid1(VALU_DEP_1)
	v_dual_sub_f32 v6, v6, v10 :: v_dual_mul_f32 v13, v7, v12
	s_delay_alu instid0(VALU_DEP_1) | instskip(NEXT) | instid1(VALU_DEP_1)
	v_mul_f32_e32 v8, v9, v13
	v_fma_f32 v10, v13, v9, -v8
	s_delay_alu instid0(VALU_DEP_1) | instskip(NEXT) | instid1(VALU_DEP_1)
	v_fmac_f32_e32 v10, v13, v6
	v_add_f32_e32 v6, v8, v10
	s_delay_alu instid0(VALU_DEP_1) | instskip(NEXT) | instid1(VALU_DEP_1)
	v_dual_sub_f32 v9, v7, v6 :: v_dual_mov_b32 v11, v6
	v_pk_add_f32 v[6:7], v[6:7], v[8:9] neg_lo:[0,1] neg_hi:[0,1]
	s_delay_alu instid0(VALU_DEP_1) | instskip(NEXT) | instid1(VALU_DEP_1)
	v_pk_add_f32 v[6:7], v[6:7], v[10:11] neg_lo:[0,1] neg_hi:[0,1]
	v_add_f32_e32 v6, v6, v7
	s_delay_alu instid0(VALU_DEP_1) | instskip(NEXT) | instid1(VALU_DEP_1)
	v_add_f32_e32 v6, v9, v6
	v_mul_f32_e32 v7, v12, v6
	s_delay_alu instid0(VALU_DEP_1) | instskip(NEXT) | instid1(VALU_DEP_1)
	v_add_f32_e32 v6, v13, v7
	v_sub_f32_e32 v8, v6, v13
	s_delay_alu instid0(VALU_DEP_1) | instskip(NEXT) | instid1(VALU_DEP_1)
	v_sub_f32_e32 v18, v7, v8
	v_add_f32_e32 v8, v18, v18
	v_mul_f32_e32 v9, v6, v6
	s_delay_alu instid0(VALU_DEP_1) | instskip(NEXT) | instid1(VALU_DEP_1)
	v_fma_f32 v7, v6, v6, -v9
	v_fmac_f32_e32 v7, v6, v8
	s_delay_alu instid0(VALU_DEP_1) | instskip(NEXT) | instid1(VALU_DEP_1)
	v_add_f32_e32 v8, v9, v7
	v_dual_fmaak_f32 v10, s2, v8, 0x3e91f4c4 :: v_dual_sub_f32 v9, v8, v9
	s_delay_alu instid0(VALU_DEP_1) | instskip(SKIP_1) | instid1(VALU_DEP_2)
	v_fmaak_f32 v12, v8, v10, 0x3ecccdef
	v_cvt_f64_f32_e64 v[10:11], |v4|
	v_dual_sub_f32 v16, v7, v9 :: v_dual_mul_f32 v13, v8, v12
	s_delay_alu instid0(VALU_DEP_1) | instskip(NEXT) | instid1(VALU_DEP_1)
	v_fma_f32 v7, v8, v12, -v13
	v_fmac_f32_e32 v7, v16, v12
	s_wait_xcnt 0x0
	s_delay_alu instid0(VALU_DEP_1) | instskip(NEXT) | instid1(VALU_DEP_1)
	v_add_f32_e32 v3, v13, v7
	v_sub_f32_e32 v9, v3, v13
	v_add_f32_e32 v13, 0x3f2aaaaa, v3
	s_delay_alu instid0(VALU_DEP_2) | instskip(NEXT) | instid1(VALU_DEP_2)
	v_sub_f32_e32 v7, v7, v9
	v_add_f32_e32 v9, 0xbf2aaaaa, v13
	v_frexp_exp_i32_f64_e32 v17, v[10:11]
	s_delay_alu instid0(VALU_DEP_3) | instskip(NEXT) | instid1(VALU_DEP_3)
	v_add_f32_e32 v7, 0x31739010, v7
	v_sub_f32_e32 v9, v3, v9
	s_delay_alu instid0(VALU_DEP_1) | instskip(SKIP_1) | instid1(VALU_DEP_1)
	v_pk_mul_f32 v[10:11], v[6:7], v[8:9]
	v_pk_add_f32 v[14:15], v[6:7], v[8:9]
	v_dual_fma_f32 v12, v8, v6, -v10 :: v_dual_mov_b32 v11, v15
	s_delay_alu instid0(VALU_DEP_1) | instskip(NEXT) | instid1(VALU_DEP_1)
	v_fmac_f32_e32 v12, v8, v18
	v_fmac_f32_e32 v12, v16, v6
	s_delay_alu instid0(VALU_DEP_1) | instskip(SKIP_1) | instid1(VALU_DEP_2)
	v_pk_add_f32 v[8:9], v[10:11], v[12:13]
	v_subrev_co_ci_u32_e64 v3, null, 0, v17, vcc_lo
	v_mov_b32_e32 v14, v9
	s_delay_alu instid0(VALU_DEP_3) | instskip(NEXT) | instid1(VALU_DEP_3)
	v_dual_sub_f32 v7, v13, v9 :: v_dual_sub_f32 v11, v8, v10
	v_cvt_f32_i32_e32 v3, v3
	s_delay_alu instid0(VALU_DEP_3) | instskip(NEXT) | instid1(VALU_DEP_3)
	v_pk_mul_f32 v[16:17], v[8:9], v[14:15]
	v_add_f32_e32 v7, v15, v7
	s_delay_alu instid0(VALU_DEP_4) | instskip(NEXT) | instid1(VALU_DEP_3)
	v_sub_f32_e32 v11, v12, v11
	v_fma_f32 v10, v8, v9, -v16
	s_delay_alu instid0(VALU_DEP_1) | instskip(NEXT) | instid1(VALU_DEP_1)
	v_fmac_f32_e32 v10, v8, v7
	v_fmac_f32_e32 v10, v11, v9
	v_mul_f32_e32 v14, 0x3f317218, v3
	v_ldexp_f32 v9, v6, 1
	s_delay_alu instid0(VALU_DEP_3) | instskip(NEXT) | instid1(VALU_DEP_3)
	v_add_f32_e32 v15, v16, v10
	v_fma_f32 v7, 0x3f317218, v3, -v14
	s_delay_alu instid0(VALU_DEP_2) | instskip(NEXT) | instid1(VALU_DEP_2)
	v_dual_mov_b32 v17, v9 :: v_dual_mov_b32 v11, v15
	v_fmamk_f32 v8, v3, 0xb102e308, v7
	v_ldexp_f32 v3, v18, 1
	s_delay_alu instid0(VALU_DEP_2) | instskip(NEXT) | instid1(VALU_DEP_1)
	v_pk_add_f32 v[6:7], v[14:15], v[8:9]
	v_dual_mov_b32 v12, v15 :: v_dual_mov_b32 v13, v7
	s_delay_alu instid0(VALU_DEP_2) | instskip(NEXT) | instid1(VALU_DEP_2)
	v_dual_mov_b32 v9, v6 :: v_dual_mov_b32 v20, v7
	v_pk_add_f32 v[12:13], v[12:13], v[16:17] neg_lo:[0,1] neg_hi:[0,1]
	s_delay_alu instid0(VALU_DEP_1) | instskip(NEXT) | instid1(VALU_DEP_1)
	v_pk_add_f32 v[10:11], v[10:11], v[12:13] neg_lo:[0,1] neg_hi:[0,1]
	v_add_f32_e32 v3, v3, v10
	s_delay_alu instid0(VALU_DEP_1) | instskip(NEXT) | instid1(VALU_DEP_1)
	v_add_f32_e32 v15, v3, v11
	v_pk_add_f32 v[10:11], v[6:7], v[14:15]
	v_pk_add_f32 v[12:13], v[6:7], v[14:15] neg_lo:[0,1] neg_hi:[0,1]
	s_delay_alu instid0(VALU_DEP_2) | instskip(NEXT) | instid1(VALU_DEP_1)
	v_mov_b32_e32 v13, v11
	v_pk_add_f32 v[16:17], v[8:9], v[12:13]
	v_mov_b32_e32 v16, v11
	v_pk_add_f32 v[8:9], v[8:9], v[12:13] neg_lo:[0,1] neg_hi:[0,1]
	s_delay_alu instid0(VALU_DEP_3) | instskip(NEXT) | instid1(VALU_DEP_1)
	v_dual_mov_b32 v14, v17 :: v_dual_mov_b32 v9, v17
	v_pk_add_f32 v[18:19], v[14:15], v[6:7] neg_lo:[0,1] neg_hi:[0,1]
	v_dual_mov_b32 v7, v6 :: v_dual_mov_b32 v6, v15
	s_delay_alu instid0(VALU_DEP_2) | instskip(NEXT) | instid1(VALU_DEP_1)
	v_dual_mov_b32 v21, v18 :: v_dual_mov_b32 v3, v18
	v_pk_add_f32 v[12:13], v[16:17], v[20:21] neg_lo:[0,1] neg_hi:[0,1]
	s_delay_alu instid0(VALU_DEP_2) | instskip(SKIP_1) | instid1(VALU_DEP_3)
	v_pk_add_f32 v[10:11], v[10:11], v[2:3] neg_lo:[0,1] neg_hi:[0,1]
	v_mov_b32_e32 v10, v8
	v_pk_add_f32 v[6:7], v[6:7], v[12:13] neg_lo:[0,1] neg_hi:[0,1]
	s_delay_alu instid0(VALU_DEP_1) | instskip(NEXT) | instid1(VALU_DEP_1)
	v_pk_add_f32 v[10:11], v[10:11], v[6:7]
	v_mov_b32_e32 v12, v11
	s_delay_alu instid0(VALU_DEP_1) | instskip(NEXT) | instid1(VALU_DEP_1)
	v_pk_add_f32 v[12:13], v[10:11], v[12:13]
	v_pk_add_f32 v[14:15], v[14:15], v[12:13]
	s_delay_alu instid0(VALU_DEP_1) | instskip(NEXT) | instid1(VALU_DEP_1)
	v_dual_mov_b32 v7, v12 :: v_dual_mov_b32 v11, v14
	v_pk_add_f32 v[16:17], v[10:11], v[8:9] neg_lo:[0,1] neg_hi:[0,1]
	s_delay_alu instid0(VALU_DEP_1) | instskip(NEXT) | instid1(VALU_DEP_2)
	v_sub_f32_e32 v3, v10, v16
	v_pk_add_f32 v[6:7], v[6:7], v[16:17] neg_lo:[0,1] neg_hi:[0,1]
	s_delay_alu instid0(VALU_DEP_2) | instskip(NEXT) | instid1(VALU_DEP_1)
	v_sub_f32_e32 v3, v8, v3
	v_add_f32_e32 v3, v6, v3
	s_delay_alu instid0(VALU_DEP_1) | instskip(NEXT) | instid1(VALU_DEP_1)
	v_add_f32_e32 v3, v3, v7
	v_add_f32_e32 v6, v14, v3
	s_delay_alu instid0(VALU_DEP_1) | instskip(NEXT) | instid1(VALU_DEP_1)
	v_sub_f32_e32 v7, v6, v14
	v_dual_mul_f32 v8, v5, v6 :: v_dual_sub_f32 v3, v3, v7
	s_delay_alu instid0(VALU_DEP_1) | instskip(SKIP_1) | instid1(VALU_DEP_2)
	v_fma_f32 v6, v5, v6, -v8
	v_cmp_class_f32_e64 vcc_lo, v8, 0x204
	v_fmac_f32_e32 v6, v5, v3
	s_delay_alu instid0(VALU_DEP_1) | instskip(NEXT) | instid1(VALU_DEP_1)
	v_add_f32_e32 v3, v8, v6
	v_cndmask_b32_e32 v7, v3, v8, vcc_lo
	s_delay_alu instid0(VALU_DEP_1) | instskip(SKIP_2) | instid1(VALU_DEP_2)
	v_cmp_eq_f32_e32 vcc_lo, 0x42b17218, v7
	v_cndmask_b32_e64 v9, 0, 0x37000000, vcc_lo
	v_cmp_neq_f32_e64 vcc_lo, 0x7f800000, |v7|
	v_sub_f32_e32 v10, v7, v9
	v_trunc_f32_e32 v7, v5
	s_delay_alu instid0(VALU_DEP_2) | instskip(NEXT) | instid1(VALU_DEP_1)
	v_mul_f32_e32 v11, 0x3fb8aa3b, v10
	v_fma_f32 v12, 0x3fb8aa3b, v10, -v11
	v_rndne_f32_e32 v13, v11
	s_delay_alu instid0(VALU_DEP_1) | instskip(SKIP_1) | instid1(VALU_DEP_1)
	v_dual_fmamk_f32 v12, v10, 0x32a5705f, v12 :: v_dual_sub_f32 v11, v11, v13
	v_sub_f32_e32 v3, v3, v8
	v_dual_add_f32 v11, v11, v12 :: v_dual_sub_f32 v3, v6, v3
	s_delay_alu instid0(VALU_DEP_1) | instskip(SKIP_2) | instid1(VALU_DEP_3)
	v_exp_f32_e32 v8, v11
	v_nop
	v_cvt_i32_f32_e32 v11, v13
	v_cndmask_b32_e32 v3, 0, v3, vcc_lo
	v_cmp_ngt_f32_e32 vcc_lo, 0xc2ce8ed0, v10
	s_delay_alu instid0(TRANS32_DEP_1) | instid1(VALU_DEP_3)
	v_ldexp_f32 v6, v8, v11
	s_delay_alu instid0(VALU_DEP_1) | instskip(NEXT) | instid1(VALU_DEP_1)
	v_dual_mul_f32 v8, 0.5, v5 :: v_dual_cndmask_b32 v6, 0, v6, vcc_lo
	v_trunc_f32_e32 v11, v8
	v_cmp_nlt_f32_e32 vcc_lo, 0x42b17218, v10
	s_delay_alu instid0(VALU_DEP_2) | instskip(NEXT) | instid1(VALU_DEP_4)
	v_cmp_neq_f32_e64 s2, v11, v8
	v_cndmask_b32_e32 v6, 0x7f800000, v6, vcc_lo
	v_cmp_eq_f32_e32 vcc_lo, v7, v5
	s_delay_alu instid0(VALU_DEP_2) | instskip(SKIP_1) | instid1(SALU_CYCLE_1)
	v_cmp_class_f32_e64 s3, v6, 0x204
	s_and_b32 s2, vcc_lo, s2
	v_dual_cndmask_b32 v7, 1.0, v4, s2 :: v_dual_add_f32 v3, v9, v3
	s_delay_alu instid0(VALU_DEP_1) | instskip(NEXT) | instid1(VALU_DEP_1)
	v_fma_f32 v3, v6, v3, v6
	v_cndmask_b32_e64 v3, v3, v6, s3
	v_cndmask_b32_e64 v6, 0x7f800000, 0, s17
	v_cmp_gt_f32_e64 s3, 0, v5
	s_delay_alu instid0(VALU_DEP_3) | instskip(SKIP_1) | instid1(SALU_CYCLE_1)
	v_bfi_b32 v3, 0x7fffffff, v3, v7
	s_xor_b32 s3, s3, s4
	v_cndmask_b32_e64 v8, 0x7f800000, 0, s3
	s_delay_alu instid0(VALU_DEP_2) | instskip(SKIP_3) | instid1(VALU_DEP_3)
	v_cndmask_b32_e32 v7, 0x7fc00000, v3, vcc_lo
	v_cmp_neq_f32_e64 vcc_lo, |v4|, 1.0
	v_cndmask_b32_e32 v6, 1.0, v6, vcc_lo
	v_cmp_gt_f32_e32 vcc_lo, 0, v4
	v_dual_cndmask_b32 v3, v3, v7, vcc_lo :: v_dual_cndmask_b32 v7, 0, v4, s2
	v_cmp_class_f32_e64 vcc_lo, v5, 0x204
	v_cmp_class_f32_e64 s2, v4, 0x204
	s_delay_alu instid0(VALU_DEP_3) | instskip(NEXT) | instid1(VALU_DEP_4)
	v_bfi_b32 v5, 0x7fffffff, v8, v7
	v_cndmask_b32_e32 v3, v3, v6, vcc_lo
	s_or_b32 vcc_lo, s4, s2
	s_delay_alu instid0(VALU_DEP_1) | instskip(SKIP_3) | instid1(VALU_DEP_3)
	v_cndmask_b32_e32 v3, v3, v5, vcc_lo
	v_cmp_o_f32_e32 vcc_lo, v4, v4
	s_wait_loadcnt 0x0
	v_cvt_f32_i32_e32 v5, v22
	v_cndmask_b32_e32 v3, 0x7fc00000, v3, vcc_lo
	s_delay_alu instid0(VALU_DEP_1)
	v_mul_f32_e32 v6, v3, v5
.LBB7_25:
	s_or_b32 exec_lo, exec_lo, s16
                                        ; implicit-def: $vgpr3
                                        ; implicit-def: $vgpr4
.LBB7_26:
	s_and_not1_saveexec_b32 s7, s7
	s_cbranch_execz .LBB7_28
; %bb.27:
	v_cvt_f32_i32_e32 v4, v4
	s_cmp_neq_f32 s23, 1.0
	s_mov_b32 s2, 0x3e76c4e1
	v_lshl_add_u32 v3, s6, 1, v3
	s_cselect_b32 vcc_lo, -1, 0
	v_mul_f32_e32 v4, 0.5, v4
	global_load_b32 v22, v3, s[24:25] scale_offset
	v_cndmask_b32_e32 v5, 1.0, v4, vcc_lo
	s_delay_alu instid0(VALU_DEP_1) | instskip(SKIP_1) | instid1(VALU_DEP_1)
	v_cmp_neq_f32_e32 vcc_lo, 0, v5
	v_cndmask_b32_e64 v4, 1.0, s23, vcc_lo
	v_frexp_mant_f32_e64 v6, |v4|
	v_cmp_lt_f32_e64 s17, |v4|, 1.0
	v_cmp_eq_f32_e64 s4, 0, v4
	s_delay_alu instid0(VALU_DEP_3) | instskip(SKIP_1) | instid1(VALU_DEP_1)
	v_cmp_gt_f32_e32 vcc_lo, 0x3f2aaaab, v6
	v_cndmask_b32_e64 v7, 1.0, 2.0, vcc_lo
	v_mul_f32_e32 v6, v6, v7
	s_delay_alu instid0(VALU_DEP_1) | instskip(SKIP_1) | instid1(VALU_DEP_2)
	v_dual_add_f32 v9, 1.0, v6 :: v_dual_add_f32 v7, -1.0, v6
	v_cmp_neq_f32_e64 s16, v5, |v5|
	v_rcp_f32_e32 v12, v9
	v_add_f32_e32 v10, -1.0, v9
	s_xor_b32 s16, s16, s17
	s_delay_alu instid0(TRANS32_DEP_1) | instid1(VALU_DEP_1)
	v_dual_sub_f32 v6, v6, v10 :: v_dual_mul_f32 v13, v7, v12
	s_delay_alu instid0(VALU_DEP_1) | instskip(NEXT) | instid1(VALU_DEP_1)
	v_mul_f32_e32 v8, v9, v13
	v_fma_f32 v10, v13, v9, -v8
	s_delay_alu instid0(VALU_DEP_1) | instskip(NEXT) | instid1(VALU_DEP_1)
	v_fmac_f32_e32 v10, v13, v6
	v_add_f32_e32 v6, v8, v10
	s_delay_alu instid0(VALU_DEP_1) | instskip(NEXT) | instid1(VALU_DEP_1)
	v_dual_sub_f32 v9, v7, v6 :: v_dual_mov_b32 v11, v6
	v_pk_add_f32 v[6:7], v[6:7], v[8:9] neg_lo:[0,1] neg_hi:[0,1]
	s_delay_alu instid0(VALU_DEP_1) | instskip(NEXT) | instid1(VALU_DEP_1)
	v_pk_add_f32 v[6:7], v[6:7], v[10:11] neg_lo:[0,1] neg_hi:[0,1]
	v_add_f32_e32 v6, v6, v7
	s_delay_alu instid0(VALU_DEP_1) | instskip(NEXT) | instid1(VALU_DEP_1)
	v_add_f32_e32 v6, v9, v6
	v_mul_f32_e32 v7, v12, v6
	s_delay_alu instid0(VALU_DEP_1) | instskip(NEXT) | instid1(VALU_DEP_1)
	v_add_f32_e32 v6, v13, v7
	v_sub_f32_e32 v8, v6, v13
	s_delay_alu instid0(VALU_DEP_1) | instskip(NEXT) | instid1(VALU_DEP_1)
	v_sub_f32_e32 v18, v7, v8
	v_add_f32_e32 v8, v18, v18
	v_mul_f32_e32 v9, v6, v6
	s_delay_alu instid0(VALU_DEP_1) | instskip(NEXT) | instid1(VALU_DEP_1)
	v_fma_f32 v7, v6, v6, -v9
	v_fmac_f32_e32 v7, v6, v8
	s_delay_alu instid0(VALU_DEP_1) | instskip(NEXT) | instid1(VALU_DEP_1)
	v_add_f32_e32 v8, v9, v7
	v_dual_fmaak_f32 v10, s2, v8, 0x3e91f4c4 :: v_dual_sub_f32 v9, v8, v9
	s_delay_alu instid0(VALU_DEP_1) | instskip(SKIP_1) | instid1(VALU_DEP_2)
	v_fmaak_f32 v12, v8, v10, 0x3ecccdef
	v_cvt_f64_f32_e64 v[10:11], |v4|
	v_dual_sub_f32 v16, v7, v9 :: v_dual_mul_f32 v13, v8, v12
	s_delay_alu instid0(VALU_DEP_1) | instskip(NEXT) | instid1(VALU_DEP_1)
	v_fma_f32 v7, v8, v12, -v13
	v_fmac_f32_e32 v7, v16, v12
	s_wait_xcnt 0x0
	s_delay_alu instid0(VALU_DEP_1) | instskip(NEXT) | instid1(VALU_DEP_1)
	v_add_f32_e32 v3, v13, v7
	v_sub_f32_e32 v9, v3, v13
	v_add_f32_e32 v13, 0x3f2aaaaa, v3
	s_delay_alu instid0(VALU_DEP_2) | instskip(NEXT) | instid1(VALU_DEP_2)
	v_sub_f32_e32 v7, v7, v9
	v_add_f32_e32 v9, 0xbf2aaaaa, v13
	v_frexp_exp_i32_f64_e32 v17, v[10:11]
	s_delay_alu instid0(VALU_DEP_3) | instskip(NEXT) | instid1(VALU_DEP_3)
	v_add_f32_e32 v7, 0x31739010, v7
	v_sub_f32_e32 v9, v3, v9
	s_delay_alu instid0(VALU_DEP_1) | instskip(SKIP_1) | instid1(VALU_DEP_1)
	v_pk_mul_f32 v[10:11], v[6:7], v[8:9]
	v_pk_add_f32 v[14:15], v[6:7], v[8:9]
	v_dual_fma_f32 v12, v8, v6, -v10 :: v_dual_mov_b32 v11, v15
	s_delay_alu instid0(VALU_DEP_1) | instskip(NEXT) | instid1(VALU_DEP_1)
	v_fmac_f32_e32 v12, v8, v18
	v_fmac_f32_e32 v12, v16, v6
	s_delay_alu instid0(VALU_DEP_1) | instskip(SKIP_1) | instid1(VALU_DEP_2)
	v_pk_add_f32 v[8:9], v[10:11], v[12:13]
	v_subrev_co_ci_u32_e64 v3, null, 0, v17, vcc_lo
	v_mov_b32_e32 v14, v9
	s_delay_alu instid0(VALU_DEP_3) | instskip(NEXT) | instid1(VALU_DEP_3)
	v_dual_sub_f32 v7, v13, v9 :: v_dual_sub_f32 v11, v8, v10
	v_cvt_f32_i32_e32 v3, v3
	s_delay_alu instid0(VALU_DEP_3) | instskip(NEXT) | instid1(VALU_DEP_3)
	v_pk_mul_f32 v[16:17], v[8:9], v[14:15]
	v_add_f32_e32 v7, v15, v7
	s_delay_alu instid0(VALU_DEP_4) | instskip(NEXT) | instid1(VALU_DEP_3)
	v_sub_f32_e32 v11, v12, v11
	v_fma_f32 v10, v8, v9, -v16
	s_delay_alu instid0(VALU_DEP_1) | instskip(NEXT) | instid1(VALU_DEP_1)
	v_fmac_f32_e32 v10, v8, v7
	v_fmac_f32_e32 v10, v11, v9
	v_mul_f32_e32 v14, 0x3f317218, v3
	v_ldexp_f32 v9, v6, 1
	s_delay_alu instid0(VALU_DEP_3) | instskip(NEXT) | instid1(VALU_DEP_3)
	v_add_f32_e32 v15, v16, v10
	v_fma_f32 v7, 0x3f317218, v3, -v14
	s_delay_alu instid0(VALU_DEP_2) | instskip(NEXT) | instid1(VALU_DEP_2)
	v_dual_mov_b32 v17, v9 :: v_dual_mov_b32 v11, v15
	v_fmamk_f32 v8, v3, 0xb102e308, v7
	v_ldexp_f32 v3, v18, 1
	s_delay_alu instid0(VALU_DEP_2) | instskip(NEXT) | instid1(VALU_DEP_1)
	v_pk_add_f32 v[6:7], v[14:15], v[8:9]
	v_dual_mov_b32 v12, v15 :: v_dual_mov_b32 v13, v7
	s_delay_alu instid0(VALU_DEP_2) | instskip(NEXT) | instid1(VALU_DEP_2)
	v_dual_mov_b32 v9, v6 :: v_dual_mov_b32 v20, v7
	v_pk_add_f32 v[12:13], v[12:13], v[16:17] neg_lo:[0,1] neg_hi:[0,1]
	s_delay_alu instid0(VALU_DEP_1) | instskip(NEXT) | instid1(VALU_DEP_1)
	v_pk_add_f32 v[10:11], v[10:11], v[12:13] neg_lo:[0,1] neg_hi:[0,1]
	v_add_f32_e32 v3, v3, v10
	s_delay_alu instid0(VALU_DEP_1) | instskip(NEXT) | instid1(VALU_DEP_1)
	v_add_f32_e32 v15, v3, v11
	v_pk_add_f32 v[10:11], v[6:7], v[14:15]
	v_pk_add_f32 v[12:13], v[6:7], v[14:15] neg_lo:[0,1] neg_hi:[0,1]
	s_delay_alu instid0(VALU_DEP_2) | instskip(NEXT) | instid1(VALU_DEP_1)
	v_mov_b32_e32 v13, v11
	v_pk_add_f32 v[16:17], v[8:9], v[12:13]
	v_mov_b32_e32 v16, v11
	v_pk_add_f32 v[8:9], v[8:9], v[12:13] neg_lo:[0,1] neg_hi:[0,1]
	s_delay_alu instid0(VALU_DEP_3) | instskip(NEXT) | instid1(VALU_DEP_1)
	v_dual_mov_b32 v14, v17 :: v_dual_mov_b32 v9, v17
	v_pk_add_f32 v[18:19], v[14:15], v[6:7] neg_lo:[0,1] neg_hi:[0,1]
	v_dual_mov_b32 v7, v6 :: v_dual_mov_b32 v6, v15
	s_delay_alu instid0(VALU_DEP_2) | instskip(NEXT) | instid1(VALU_DEP_1)
	v_dual_mov_b32 v21, v18 :: v_dual_mov_b32 v3, v18
	v_pk_add_f32 v[12:13], v[16:17], v[20:21] neg_lo:[0,1] neg_hi:[0,1]
	s_delay_alu instid0(VALU_DEP_2) | instskip(SKIP_1) | instid1(VALU_DEP_3)
	v_pk_add_f32 v[10:11], v[10:11], v[2:3] neg_lo:[0,1] neg_hi:[0,1]
	v_mov_b32_e32 v10, v8
	v_pk_add_f32 v[6:7], v[6:7], v[12:13] neg_lo:[0,1] neg_hi:[0,1]
	s_delay_alu instid0(VALU_DEP_1) | instskip(NEXT) | instid1(VALU_DEP_1)
	v_pk_add_f32 v[10:11], v[10:11], v[6:7]
	v_mov_b32_e32 v12, v11
	s_delay_alu instid0(VALU_DEP_1) | instskip(NEXT) | instid1(VALU_DEP_1)
	v_pk_add_f32 v[12:13], v[10:11], v[12:13]
	v_pk_add_f32 v[14:15], v[14:15], v[12:13]
	s_delay_alu instid0(VALU_DEP_1) | instskip(NEXT) | instid1(VALU_DEP_1)
	v_dual_mov_b32 v7, v12 :: v_dual_mov_b32 v11, v14
	v_pk_add_f32 v[16:17], v[10:11], v[8:9] neg_lo:[0,1] neg_hi:[0,1]
	s_delay_alu instid0(VALU_DEP_1) | instskip(NEXT) | instid1(VALU_DEP_2)
	v_sub_f32_e32 v3, v10, v16
	v_pk_add_f32 v[6:7], v[6:7], v[16:17] neg_lo:[0,1] neg_hi:[0,1]
	s_delay_alu instid0(VALU_DEP_2) | instskip(NEXT) | instid1(VALU_DEP_1)
	v_sub_f32_e32 v3, v8, v3
	v_add_f32_e32 v3, v6, v3
	s_delay_alu instid0(VALU_DEP_1) | instskip(NEXT) | instid1(VALU_DEP_1)
	v_add_f32_e32 v3, v3, v7
	v_add_f32_e32 v6, v14, v3
	s_delay_alu instid0(VALU_DEP_1) | instskip(NEXT) | instid1(VALU_DEP_1)
	v_sub_f32_e32 v7, v6, v14
	v_dual_mul_f32 v8, v5, v6 :: v_dual_sub_f32 v3, v3, v7
	s_delay_alu instid0(VALU_DEP_1) | instskip(SKIP_1) | instid1(VALU_DEP_2)
	v_fma_f32 v6, v5, v6, -v8
	v_cmp_class_f32_e64 vcc_lo, v8, 0x204
	v_fmac_f32_e32 v6, v5, v3
	s_delay_alu instid0(VALU_DEP_1) | instskip(NEXT) | instid1(VALU_DEP_1)
	v_add_f32_e32 v3, v8, v6
	v_cndmask_b32_e32 v7, v3, v8, vcc_lo
	s_delay_alu instid0(VALU_DEP_1) | instskip(SKIP_2) | instid1(VALU_DEP_2)
	v_cmp_eq_f32_e32 vcc_lo, 0x42b17218, v7
	v_cndmask_b32_e64 v9, 0, 0x37000000, vcc_lo
	v_cmp_neq_f32_e64 vcc_lo, 0x7f800000, |v7|
	v_sub_f32_e32 v10, v7, v9
	v_trunc_f32_e32 v7, v5
	s_delay_alu instid0(VALU_DEP_2) | instskip(NEXT) | instid1(VALU_DEP_1)
	v_mul_f32_e32 v11, 0x3fb8aa3b, v10
	v_fma_f32 v12, 0x3fb8aa3b, v10, -v11
	v_rndne_f32_e32 v13, v11
	s_delay_alu instid0(VALU_DEP_1) | instskip(SKIP_1) | instid1(VALU_DEP_1)
	v_dual_fmamk_f32 v12, v10, 0x32a5705f, v12 :: v_dual_sub_f32 v11, v11, v13
	v_sub_f32_e32 v3, v3, v8
	v_dual_add_f32 v11, v11, v12 :: v_dual_sub_f32 v3, v6, v3
	s_delay_alu instid0(VALU_DEP_1) | instskip(SKIP_2) | instid1(VALU_DEP_3)
	v_exp_f32_e32 v8, v11
	v_nop
	v_cvt_i32_f32_e32 v11, v13
	v_cndmask_b32_e32 v3, 0, v3, vcc_lo
	v_cmp_ngt_f32_e32 vcc_lo, 0xc2ce8ed0, v10
	s_delay_alu instid0(TRANS32_DEP_1) | instid1(VALU_DEP_3)
	v_ldexp_f32 v6, v8, v11
	s_delay_alu instid0(VALU_DEP_1) | instskip(NEXT) | instid1(VALU_DEP_1)
	v_dual_mul_f32 v8, 0.5, v5 :: v_dual_cndmask_b32 v6, 0, v6, vcc_lo
	v_trunc_f32_e32 v11, v8
	v_cmp_nlt_f32_e32 vcc_lo, 0x42b17218, v10
	s_delay_alu instid0(VALU_DEP_2) | instskip(NEXT) | instid1(VALU_DEP_4)
	v_cmp_neq_f32_e64 s2, v11, v8
	v_cndmask_b32_e32 v6, 0x7f800000, v6, vcc_lo
	v_cmp_eq_f32_e32 vcc_lo, v7, v5
	s_delay_alu instid0(VALU_DEP_2) | instskip(SKIP_1) | instid1(SALU_CYCLE_1)
	v_cmp_class_f32_e64 s3, v6, 0x204
	s_and_b32 s2, vcc_lo, s2
	v_dual_cndmask_b32 v7, 1.0, v4, s2 :: v_dual_add_f32 v3, v9, v3
	s_delay_alu instid0(VALU_DEP_1) | instskip(NEXT) | instid1(VALU_DEP_1)
	v_fma_f32 v3, v6, v3, v6
	v_cndmask_b32_e64 v3, v3, v6, s3
	v_cndmask_b32_e64 v6, 0x7f800000, 0, s16
	v_cmp_gt_f32_e64 s3, 0, v5
	s_delay_alu instid0(VALU_DEP_3) | instskip(SKIP_1) | instid1(SALU_CYCLE_1)
	v_bfi_b32 v3, 0x7fffffff, v3, v7
	s_xor_b32 s3, s3, s4
	v_cndmask_b32_e64 v8, 0x7f800000, 0, s3
	s_delay_alu instid0(VALU_DEP_2) | instskip(SKIP_3) | instid1(VALU_DEP_3)
	v_cndmask_b32_e32 v7, 0x7fc00000, v3, vcc_lo
	v_cmp_neq_f32_e64 vcc_lo, |v4|, 1.0
	v_cndmask_b32_e32 v6, 1.0, v6, vcc_lo
	v_cmp_gt_f32_e32 vcc_lo, 0, v4
	v_dual_cndmask_b32 v3, v3, v7, vcc_lo :: v_dual_cndmask_b32 v7, 0, v4, s2
	v_cmp_class_f32_e64 vcc_lo, v5, 0x204
	v_cmp_class_f32_e64 s2, v4, 0x204
	s_delay_alu instid0(VALU_DEP_3) | instskip(NEXT) | instid1(VALU_DEP_4)
	v_bfi_b32 v5, 0x7fffffff, v8, v7
	v_cndmask_b32_e32 v3, v3, v6, vcc_lo
	s_or_b32 vcc_lo, s4, s2
	s_delay_alu instid0(VALU_DEP_1) | instskip(SKIP_3) | instid1(VALU_DEP_3)
	v_cndmask_b32_e32 v3, v3, v5, vcc_lo
	v_cmp_o_f32_e32 vcc_lo, v4, v4
	s_wait_loadcnt 0x0
	v_cvt_f32_i32_e32 v5, v22
	v_cndmask_b32_e32 v3, 0x7fc00000, v3, vcc_lo
	s_delay_alu instid0(VALU_DEP_1)
	v_mul_f32_e32 v6, v3, v5
.LBB7_28:
	s_or_b32 exec_lo, exec_lo, s7
                                        ; implicit-def: $vgpr3
                                        ; implicit-def: $vgpr4
.LBB7_29:
	s_and_not1_saveexec_b32 s5, s5
	s_cbranch_execz .LBB7_31
; %bb.30:
	v_cvt_f32_i32_e32 v4, v4
	s_cmp_neq_f32 s23, 1.0
	s_mov_b32 s2, 0x3e76c4e1
	s_delay_alu instid0(VALU_DEP_1) | instskip(SKIP_3) | instid1(VALU_DEP_1)
	v_dual_mul_f32 v4, 0.5, v4 :: v_dual_add_nc_u32 v3, s6, v3
	s_cselect_b32 vcc_lo, -1, 0
	global_load_b32 v22, v3, s[24:25] scale_offset
	v_cndmask_b32_e32 v5, 1.0, v4, vcc_lo
	v_cmp_neq_f32_e32 vcc_lo, 0, v5
	v_cndmask_b32_e64 v4, 1.0, s23, vcc_lo
	s_delay_alu instid0(VALU_DEP_1) | instskip(SKIP_2) | instid1(VALU_DEP_3)
	v_frexp_mant_f32_e64 v6, |v4|
	v_cmp_lt_f32_e64 s7, |v4|, 1.0
	v_cmp_eq_f32_e64 s4, 0, v4
	v_cmp_gt_f32_e32 vcc_lo, 0x3f2aaaab, v6
	v_cndmask_b32_e64 v7, 1.0, 2.0, vcc_lo
	s_delay_alu instid0(VALU_DEP_1) | instskip(NEXT) | instid1(VALU_DEP_1)
	v_mul_f32_e32 v6, v6, v7
	v_dual_add_f32 v9, 1.0, v6 :: v_dual_add_f32 v7, -1.0, v6
	v_cmp_neq_f32_e64 s6, v5, |v5|
	s_delay_alu instid0(VALU_DEP_2)
	v_rcp_f32_e32 v12, v9
	v_add_f32_e32 v10, -1.0, v9
	s_xor_b32 s6, s6, s7
	s_delay_alu instid0(TRANS32_DEP_1) | instid1(VALU_DEP_1)
	v_dual_sub_f32 v6, v6, v10 :: v_dual_mul_f32 v13, v7, v12
	s_delay_alu instid0(VALU_DEP_1) | instskip(NEXT) | instid1(VALU_DEP_1)
	v_mul_f32_e32 v8, v9, v13
	v_fma_f32 v10, v13, v9, -v8
	s_delay_alu instid0(VALU_DEP_1) | instskip(NEXT) | instid1(VALU_DEP_1)
	v_fmac_f32_e32 v10, v13, v6
	v_add_f32_e32 v6, v8, v10
	s_delay_alu instid0(VALU_DEP_1) | instskip(NEXT) | instid1(VALU_DEP_1)
	v_dual_sub_f32 v9, v7, v6 :: v_dual_mov_b32 v11, v6
	v_pk_add_f32 v[6:7], v[6:7], v[8:9] neg_lo:[0,1] neg_hi:[0,1]
	s_delay_alu instid0(VALU_DEP_1) | instskip(NEXT) | instid1(VALU_DEP_1)
	v_pk_add_f32 v[6:7], v[6:7], v[10:11] neg_lo:[0,1] neg_hi:[0,1]
	v_add_f32_e32 v6, v6, v7
	s_delay_alu instid0(VALU_DEP_1) | instskip(NEXT) | instid1(VALU_DEP_1)
	v_add_f32_e32 v6, v9, v6
	v_mul_f32_e32 v7, v12, v6
	s_delay_alu instid0(VALU_DEP_1) | instskip(NEXT) | instid1(VALU_DEP_1)
	v_add_f32_e32 v6, v13, v7
	v_sub_f32_e32 v8, v6, v13
	s_delay_alu instid0(VALU_DEP_1) | instskip(NEXT) | instid1(VALU_DEP_1)
	v_sub_f32_e32 v18, v7, v8
	v_add_f32_e32 v8, v18, v18
	v_mul_f32_e32 v9, v6, v6
	s_delay_alu instid0(VALU_DEP_1) | instskip(NEXT) | instid1(VALU_DEP_1)
	v_fma_f32 v7, v6, v6, -v9
	v_fmac_f32_e32 v7, v6, v8
	s_delay_alu instid0(VALU_DEP_1) | instskip(NEXT) | instid1(VALU_DEP_1)
	v_add_f32_e32 v8, v9, v7
	v_dual_fmaak_f32 v10, s2, v8, 0x3e91f4c4 :: v_dual_sub_f32 v9, v8, v9
	s_delay_alu instid0(VALU_DEP_1) | instskip(SKIP_1) | instid1(VALU_DEP_2)
	v_fmaak_f32 v12, v8, v10, 0x3ecccdef
	v_cvt_f64_f32_e64 v[10:11], |v4|
	v_dual_sub_f32 v16, v7, v9 :: v_dual_mul_f32 v13, v8, v12
	s_delay_alu instid0(VALU_DEP_1) | instskip(NEXT) | instid1(VALU_DEP_1)
	v_fma_f32 v7, v8, v12, -v13
	v_fmac_f32_e32 v7, v16, v12
	s_wait_xcnt 0x0
	s_delay_alu instid0(VALU_DEP_1) | instskip(NEXT) | instid1(VALU_DEP_1)
	v_add_f32_e32 v3, v13, v7
	v_sub_f32_e32 v9, v3, v13
	v_add_f32_e32 v13, 0x3f2aaaaa, v3
	s_delay_alu instid0(VALU_DEP_2) | instskip(NEXT) | instid1(VALU_DEP_2)
	v_sub_f32_e32 v7, v7, v9
	v_add_f32_e32 v9, 0xbf2aaaaa, v13
	v_frexp_exp_i32_f64_e32 v17, v[10:11]
	s_delay_alu instid0(VALU_DEP_3) | instskip(NEXT) | instid1(VALU_DEP_3)
	v_add_f32_e32 v7, 0x31739010, v7
	v_sub_f32_e32 v9, v3, v9
	s_delay_alu instid0(VALU_DEP_1) | instskip(SKIP_1) | instid1(VALU_DEP_2)
	v_pk_mul_f32 v[10:11], v[6:7], v[8:9]
	v_pk_add_f32 v[14:15], v[6:7], v[8:9]
	v_fma_f32 v12, v8, v6, -v10
	s_delay_alu instid0(VALU_DEP_1) | instskip(NEXT) | instid1(VALU_DEP_1)
	v_dual_fmac_f32 v12, v8, v18 :: v_dual_mov_b32 v11, v15
	v_fmac_f32_e32 v12, v16, v6
	s_delay_alu instid0(VALU_DEP_1) | instskip(SKIP_1) | instid1(VALU_DEP_2)
	v_pk_add_f32 v[8:9], v[10:11], v[12:13]
	v_subrev_co_ci_u32_e64 v3, null, 0, v17, vcc_lo
	v_mov_b32_e32 v14, v9
	s_delay_alu instid0(VALU_DEP_3) | instskip(NEXT) | instid1(VALU_DEP_3)
	v_dual_sub_f32 v7, v13, v9 :: v_dual_sub_f32 v11, v8, v10
	v_cvt_f32_i32_e32 v3, v3
	s_delay_alu instid0(VALU_DEP_3) | instskip(NEXT) | instid1(VALU_DEP_3)
	v_pk_mul_f32 v[16:17], v[8:9], v[14:15]
	v_add_f32_e32 v7, v15, v7
	s_delay_alu instid0(VALU_DEP_4) | instskip(NEXT) | instid1(VALU_DEP_3)
	v_sub_f32_e32 v11, v12, v11
	v_fma_f32 v10, v8, v9, -v16
	s_delay_alu instid0(VALU_DEP_1) | instskip(NEXT) | instid1(VALU_DEP_1)
	v_fmac_f32_e32 v10, v8, v7
	v_fmac_f32_e32 v10, v11, v9
	v_mul_f32_e32 v14, 0x3f317218, v3
	v_ldexp_f32 v9, v6, 1
	s_delay_alu instid0(VALU_DEP_3) | instskip(NEXT) | instid1(VALU_DEP_3)
	v_add_f32_e32 v15, v16, v10
	v_fma_f32 v7, 0x3f317218, v3, -v14
	s_delay_alu instid0(VALU_DEP_2) | instskip(NEXT) | instid1(VALU_DEP_2)
	v_dual_mov_b32 v17, v9 :: v_dual_mov_b32 v12, v15
	v_fmamk_f32 v8, v3, 0xb102e308, v7
	v_ldexp_f32 v3, v18, 1
	v_mov_b32_e32 v11, v15
	s_delay_alu instid0(VALU_DEP_3) | instskip(NEXT) | instid1(VALU_DEP_1)
	v_pk_add_f32 v[6:7], v[14:15], v[8:9]
	v_dual_mov_b32 v13, v7 :: v_dual_mov_b32 v9, v6
	v_mov_b32_e32 v20, v7
	s_delay_alu instid0(VALU_DEP_2) | instskip(NEXT) | instid1(VALU_DEP_1)
	v_pk_add_f32 v[12:13], v[12:13], v[16:17] neg_lo:[0,1] neg_hi:[0,1]
	v_pk_add_f32 v[10:11], v[10:11], v[12:13] neg_lo:[0,1] neg_hi:[0,1]
	s_delay_alu instid0(VALU_DEP_1) | instskip(NEXT) | instid1(VALU_DEP_1)
	v_add_f32_e32 v3, v3, v10
	v_add_f32_e32 v15, v3, v11
	s_delay_alu instid0(VALU_DEP_1) | instskip(SKIP_1) | instid1(VALU_DEP_2)
	v_pk_add_f32 v[10:11], v[6:7], v[14:15]
	v_pk_add_f32 v[12:13], v[6:7], v[14:15] neg_lo:[0,1] neg_hi:[0,1]
	v_mov_b32_e32 v13, v11
	s_delay_alu instid0(VALU_DEP_1) | instskip(SKIP_2) | instid1(VALU_DEP_3)
	v_pk_add_f32 v[16:17], v[8:9], v[12:13]
	v_mov_b32_e32 v16, v11
	v_pk_add_f32 v[8:9], v[8:9], v[12:13] neg_lo:[0,1] neg_hi:[0,1]
	v_mov_b32_e32 v14, v17
	s_delay_alu instid0(VALU_DEP_1) | instskip(NEXT) | instid1(VALU_DEP_1)
	v_pk_add_f32 v[18:19], v[14:15], v[6:7] neg_lo:[0,1] neg_hi:[0,1]
	v_dual_mov_b32 v7, v6 :: v_dual_mov_b32 v21, v18
	v_dual_mov_b32 v6, v15 :: v_dual_mov_b32 v3, v18
	s_delay_alu instid0(VALU_DEP_2) | instskip(NEXT) | instid1(VALU_DEP_2)
	v_pk_add_f32 v[12:13], v[16:17], v[20:21] neg_lo:[0,1] neg_hi:[0,1]
	v_pk_add_f32 v[10:11], v[10:11], v[2:3] neg_lo:[0,1] neg_hi:[0,1]
	v_mov_b32_e32 v10, v8
	s_delay_alu instid0(VALU_DEP_3) | instskip(NEXT) | instid1(VALU_DEP_1)
	v_pk_add_f32 v[6:7], v[6:7], v[12:13] neg_lo:[0,1] neg_hi:[0,1]
	v_pk_add_f32 v[10:11], v[10:11], v[6:7]
	s_delay_alu instid0(VALU_DEP_1) | instskip(NEXT) | instid1(VALU_DEP_1)
	v_mov_b32_e32 v12, v11
	v_pk_add_f32 v[12:13], v[10:11], v[12:13]
	s_delay_alu instid0(VALU_DEP_1) | instskip(NEXT) | instid1(VALU_DEP_1)
	v_pk_add_f32 v[14:15], v[14:15], v[12:13]
	v_dual_mov_b32 v9, v17 :: v_dual_mov_b32 v11, v14
	s_delay_alu instid0(VALU_DEP_1) | instskip(NEXT) | instid1(VALU_DEP_1)
	v_pk_add_f32 v[16:17], v[10:11], v[8:9] neg_lo:[0,1] neg_hi:[0,1]
	v_dual_mov_b32 v7, v12 :: v_dual_sub_f32 v3, v10, v16
	s_delay_alu instid0(VALU_DEP_1) | instskip(NEXT) | instid1(VALU_DEP_2)
	v_pk_add_f32 v[6:7], v[6:7], v[16:17] neg_lo:[0,1] neg_hi:[0,1]
	v_sub_f32_e32 v3, v8, v3
	s_delay_alu instid0(VALU_DEP_1) | instskip(NEXT) | instid1(VALU_DEP_1)
	v_add_f32_e32 v3, v6, v3
	v_add_f32_e32 v3, v3, v7
	s_delay_alu instid0(VALU_DEP_1) | instskip(NEXT) | instid1(VALU_DEP_1)
	v_add_f32_e32 v6, v14, v3
	v_sub_f32_e32 v7, v6, v14
	v_mul_f32_e32 v8, v5, v6
	s_delay_alu instid0(VALU_DEP_1) | instskip(SKIP_1) | instid1(VALU_DEP_2)
	v_dual_fma_f32 v6, v5, v6, -v8 :: v_dual_sub_f32 v3, v3, v7
	v_cmp_class_f32_e64 vcc_lo, v8, 0x204
	v_fmac_f32_e32 v6, v5, v3
	s_delay_alu instid0(VALU_DEP_1) | instskip(NEXT) | instid1(VALU_DEP_1)
	v_add_f32_e32 v3, v8, v6
	v_cndmask_b32_e32 v7, v3, v8, vcc_lo
	s_delay_alu instid0(VALU_DEP_1) | instskip(SKIP_2) | instid1(VALU_DEP_2)
	v_cmp_eq_f32_e32 vcc_lo, 0x42b17218, v7
	v_cndmask_b32_e64 v9, 0, 0x37000000, vcc_lo
	v_cmp_neq_f32_e64 vcc_lo, 0x7f800000, |v7|
	v_sub_f32_e32 v10, v7, v9
	v_trunc_f32_e32 v7, v5
	s_delay_alu instid0(VALU_DEP_2) | instskip(NEXT) | instid1(VALU_DEP_1)
	v_mul_f32_e32 v11, 0x3fb8aa3b, v10
	v_fma_f32 v12, 0x3fb8aa3b, v10, -v11
	v_rndne_f32_e32 v13, v11
	s_delay_alu instid0(VALU_DEP_1) | instskip(SKIP_1) | instid1(VALU_DEP_1)
	v_dual_fmamk_f32 v12, v10, 0x32a5705f, v12 :: v_dual_sub_f32 v11, v11, v13
	v_sub_f32_e32 v3, v3, v8
	v_dual_add_f32 v11, v11, v12 :: v_dual_sub_f32 v3, v6, v3
	s_delay_alu instid0(VALU_DEP_1) | instskip(SKIP_2) | instid1(VALU_DEP_3)
	v_exp_f32_e32 v8, v11
	v_nop
	v_cvt_i32_f32_e32 v11, v13
	v_cndmask_b32_e32 v3, 0, v3, vcc_lo
	v_cmp_ngt_f32_e32 vcc_lo, 0xc2ce8ed0, v10
	s_delay_alu instid0(TRANS32_DEP_1) | instid1(VALU_DEP_3)
	v_ldexp_f32 v6, v8, v11
	s_delay_alu instid0(VALU_DEP_1) | instskip(NEXT) | instid1(VALU_DEP_1)
	v_dual_mul_f32 v8, 0.5, v5 :: v_dual_cndmask_b32 v6, 0, v6, vcc_lo
	v_trunc_f32_e32 v11, v8
	v_cmp_nlt_f32_e32 vcc_lo, 0x42b17218, v10
	s_delay_alu instid0(VALU_DEP_2) | instskip(NEXT) | instid1(VALU_DEP_4)
	v_cmp_neq_f32_e64 s2, v11, v8
	v_cndmask_b32_e32 v6, 0x7f800000, v6, vcc_lo
	v_cmp_eq_f32_e32 vcc_lo, v7, v5
	s_delay_alu instid0(VALU_DEP_2) | instskip(SKIP_1) | instid1(SALU_CYCLE_1)
	v_cmp_class_f32_e64 s3, v6, 0x204
	s_and_b32 s2, vcc_lo, s2
	v_dual_cndmask_b32 v7, 1.0, v4, s2 :: v_dual_add_f32 v3, v9, v3
	s_delay_alu instid0(VALU_DEP_1) | instskip(NEXT) | instid1(VALU_DEP_1)
	v_fma_f32 v3, v6, v3, v6
	v_cndmask_b32_e64 v3, v3, v6, s3
	v_cndmask_b32_e64 v6, 0x7f800000, 0, s6
	v_cmp_gt_f32_e64 s3, 0, v5
	s_delay_alu instid0(VALU_DEP_3) | instskip(SKIP_1) | instid1(SALU_CYCLE_1)
	v_bfi_b32 v3, 0x7fffffff, v3, v7
	s_xor_b32 s3, s3, s4
	v_cndmask_b32_e64 v8, 0x7f800000, 0, s3
	s_delay_alu instid0(VALU_DEP_2) | instskip(SKIP_3) | instid1(VALU_DEP_3)
	v_cndmask_b32_e32 v7, 0x7fc00000, v3, vcc_lo
	v_cmp_neq_f32_e64 vcc_lo, |v4|, 1.0
	v_cndmask_b32_e32 v6, 1.0, v6, vcc_lo
	v_cmp_gt_f32_e32 vcc_lo, 0, v4
	v_dual_cndmask_b32 v3, v3, v7, vcc_lo :: v_dual_cndmask_b32 v7, 0, v4, s2
	v_cmp_class_f32_e64 vcc_lo, v5, 0x204
	v_cmp_class_f32_e64 s2, v4, 0x204
	s_delay_alu instid0(VALU_DEP_3) | instskip(NEXT) | instid1(VALU_DEP_4)
	v_bfi_b32 v5, 0x7fffffff, v8, v7
	v_cndmask_b32_e32 v3, v3, v6, vcc_lo
	s_or_b32 vcc_lo, s4, s2
	s_delay_alu instid0(VALU_DEP_1) | instskip(SKIP_3) | instid1(VALU_DEP_3)
	v_cndmask_b32_e32 v3, v3, v5, vcc_lo
	v_cmp_o_f32_e32 vcc_lo, v4, v4
	s_wait_loadcnt 0x0
	v_cvt_f32_i32_e32 v5, v22
	v_cndmask_b32_e32 v3, 0x7fc00000, v3, vcc_lo
	s_delay_alu instid0(VALU_DEP_1)
	v_mul_f32_e32 v6, v3, v5
.LBB7_31:
	s_or_b32 exec_lo, exec_lo, s5
.LBB7_32:
	s_load_b64 s[0:1], s[0:1], 0x58
	s_cmp_eq_f32 s9, 0
	s_wait_kmcnt 0x0
	global_load_b32 v3, v1, s[0:1] scale_offset
	s_wait_loadcnt 0x0
	v_div_scale_f32 v4, null, v3, v3, v6
	v_div_scale_f32 v8, vcc_lo, v6, v3, v6
	s_delay_alu instid0(VALU_DEP_2) | instskip(SKIP_1) | instid1(TRANS32_DEP_1)
	v_rcp_f32_e32 v5, v4
	v_nop
	v_fma_f32 v7, -v4, v5, 1.0
	s_delay_alu instid0(VALU_DEP_1) | instskip(NEXT) | instid1(VALU_DEP_1)
	v_fmac_f32_e32 v5, v7, v5
	v_mul_f32_e32 v7, v8, v5
	s_delay_alu instid0(VALU_DEP_1) | instskip(NEXT) | instid1(VALU_DEP_1)
	v_fma_f32 v9, -v4, v7, v8
	v_fmac_f32_e32 v7, v9, v5
	s_delay_alu instid0(VALU_DEP_1) | instskip(NEXT) | instid1(VALU_DEP_1)
	v_fma_f32 v4, -v4, v7, v8
	v_div_fmas_f32 v4, v4, v5, v7
	s_delay_alu instid0(VALU_DEP_1) | instskip(NEXT) | instid1(VALU_DEP_1)
	v_div_fixup_f32 v4, v4, v3, v6
	v_mul_f32_e32 v5, s8, v4
	s_cbranch_scc1 .LBB7_34
; %bb.33:
	s_wait_xcnt 0x0
	v_cvt_f32_i32_e32 v1, v1
	s_sub_f32 s0, s22, s11
	v_div_scale_f32 v6, null, s8, s8, 1.0
	s_delay_alu instid0(SALU_CYCLE_2) | instskip(SKIP_4) | instid1(VALU_DEP_3)
	s_max_num_f32 s1, s0, 0x3a83126f
	v_subrev_f32_e32 v1, s11, v1
	v_rcp_f32_e32 v8, v6
	v_nop
	v_xor_b32_e32 v6, 0x80000000, v6
	v_div_scale_f32 v3, null, s1, s1, v1
	s_delay_alu instid0(TRANS32_DEP_1) | instid1(VALU_DEP_2)
	v_fma_f32 v10, v6, v8, 1.0
	s_delay_alu instid0(VALU_DEP_2) | instskip(SKIP_1) | instid1(TRANS32_DEP_1)
	v_rcp_f32_e32 v7, v3
	v_nop
	v_fma_f32 v9, -v3, v7, 1.0
	s_delay_alu instid0(VALU_DEP_1) | instskip(SKIP_2) | instid1(VALU_DEP_2)
	v_fmac_f32_e32 v7, v9, v7
	v_div_scale_f32 v11, vcc_lo, v1, s1, v1
	v_div_scale_f32 v9, s0, 1.0, s8, 1.0
	v_dual_fmac_f32 v8, v10, v8 :: v_dual_mul_f32 v10, v11, v7
	s_delay_alu instid0(VALU_DEP_1) | instskip(NEXT) | instid1(VALU_DEP_1)
	v_dual_mul_f32 v12, v9, v8 :: v_dual_fma_f32 v13, -v3, v10, v11
	v_dual_fma_f32 v14, v6, v12, v9 :: v_dual_fmac_f32 v10, v13, v7
	s_delay_alu instid0(VALU_DEP_1) | instskip(NEXT) | instid1(VALU_DEP_1)
	v_dual_fmac_f32 v12, v14, v8 :: v_dual_fma_f32 v3, -v3, v10, v11
	v_fmac_f32_e32 v9, v6, v12
	s_delay_alu instid0(VALU_DEP_2) | instskip(SKIP_1) | instid1(VALU_DEP_2)
	v_div_fmas_f32 v3, v3, v7, v10
	s_mov_b32 vcc_lo, s0
	v_div_fmas_f32 v6, v9, v8, v12
	s_delay_alu instid0(VALU_DEP_2) | instskip(NEXT) | instid1(VALU_DEP_2)
	v_div_fixup_f32 v1, v3, s1, v1 clamp
	v_div_fixup_f32 v6, v6, s8, 1.0
	s_delay_alu instid0(VALU_DEP_1) | instskip(SKIP_2) | instid1(SALU_CYCLE_1)
	v_readfirstlane_b32 s0, v6
	s_cmp_lt_f32 s0, 0x800000
	s_cselect_b32 s0, 0x4f800000, 1.0
	v_mul_f32_e32 v6, s0, v6
	s_cselect_b32 s0, 0x41b17218, 0
	s_delay_alu instid0(VALU_DEP_1) | instskip(SKIP_1) | instid1(TRANS32_DEP_1)
	v_log_f32_e32 v6, v6
	v_nop
	v_and_b32_e32 v3, 0x7fffffff, v6
	s_delay_alu instid0(VALU_DEP_1) | instskip(SKIP_2) | instid1(VALU_DEP_1)
	v_cmp_gt_f32_e32 vcc_lo, 0x7f800000, v3
	v_sub_f32_e32 v1, 1.0, v1
	v_mul_f32_e32 v7, 0x3f317217, v6
	v_xor_b32_e32 v7, 0x80000000, v7
	s_delay_alu instid0(VALU_DEP_1) | instskip(NEXT) | instid1(VALU_DEP_1)
	v_fmac_f32_e32 v7, 0x3f317217, v6
	v_fmamk_f32 v7, v6, 0x3377d1cf, v7
	s_delay_alu instid0(VALU_DEP_1) | instskip(NEXT) | instid1(VALU_DEP_1)
	v_fmac_f32_e32 v7, 0x3f317217, v6
	v_dual_cndmask_b32 v3, v6, v7 :: v_dual_mul_f32 v6, s9, v1
	v_fma_f32 v7, -s9, v1, 1.0
	s_delay_alu instid0(VALU_DEP_2) | instskip(NEXT) | instid1(VALU_DEP_2)
	v_dual_mov_b32 v1, 1.0 :: v_dual_subrev_f32 v3, s0, v3
	v_pk_mul_f32 v[4:5], v[6:7], v[4:5]
	s_delay_alu instid0(VALU_DEP_2) | instskip(NEXT) | instid1(VALU_DEP_2)
	v_fmamk_f32 v1, v3, 0x3dcccccd, v1
	v_add_f32_e32 v5, v4, v5
	s_delay_alu instid0(VALU_DEP_2)
	v_mul_f32_e32 v6, s10, v1
	s_branch .LBB7_35
.LBB7_34:
	v_mov_b32_e32 v6, s10
.LBB7_35:
	s_wait_xcnt 0x0
	s_delay_alu instid0(VALU_DEP_2) | instskip(SKIP_1) | instid1(VALU_DEP_2)
	v_and_b32_e32 v1, 0x7fffffff, v5
	v_cmp_ngt_f32_e64 s2, 0x48000000, |v5|
                                        ; implicit-def: $vgpr7
                                        ; implicit-def: $vgpr4
	v_lshrrev_b32_e32 v3, 23, v1
	s_and_saveexec_b32 s0, s2
	s_delay_alu instid0(SALU_CYCLE_1)
	s_xor_b32 s3, exec_lo, s0
	s_cbranch_execz .LBB7_37
; %bb.36:
	s_mov_b32 s0, 0x7fffff
	v_mov_b32_e32 v9, 0
	v_and_or_b32 v8, v1, s0, 0x800000
	s_mov_b64 s[0:1], 0xfe5163ab
	s_delay_alu instid0(VALU_DEP_1) | instid1(SALU_CYCLE_1)
	v_mul_u64_e32 v[10:11], s[0:1], v[8:9]
	s_delay_alu instid0(VALU_DEP_1) | instskip(SKIP_2) | instid1(VALU_DEP_3)
	v_dual_mov_b32 v12, v11 :: v_dual_mov_b32 v13, v9
	v_dual_mov_b32 v15, v9 :: v_dual_mov_b32 v17, v9
	;; [unrolled: 1-line block ×3, first 2 shown]
	v_mad_nc_u64_u32 v[12:13], 0x3c439041, v8, v[12:13]
	s_delay_alu instid0(VALU_DEP_1) | instskip(NEXT) | instid1(VALU_DEP_1)
	v_dual_mov_b32 v23, v9 :: v_dual_mov_b32 v14, v13
	v_mad_nc_u64_u32 v[14:15], 0xdb629599, v8, v[14:15]
	s_delay_alu instid0(VALU_DEP_1) | instskip(NEXT) | instid1(VALU_DEP_1)
	v_mov_b32_e32 v16, v15
	v_mad_nc_u64_u32 v[16:17], 0xf534ddc0, v8, v[16:17]
	s_delay_alu instid0(VALU_DEP_1) | instskip(NEXT) | instid1(VALU_DEP_1)
	v_mov_b32_e32 v18, v17
	;; [unrolled: 3-line block ×3, first 2 shown]
	v_mad_nc_u64_u32 v[20:21], 0x4e441529, v8, v[20:21]
	v_add_nc_u32_e32 v4, 0xffffff88, v3
	s_delay_alu instid0(VALU_DEP_1) | instskip(SKIP_1) | instid1(VALU_DEP_4)
	v_cmp_lt_u32_e32 vcc_lo, 63, v4
	v_cndmask_b32_e64 v7, 0, 0xffffffc0, vcc_lo
	v_dual_cndmask_b32 v11, v20, v16 :: v_dual_mov_b32 v22, v21
	s_delay_alu instid0(VALU_DEP_2) | instskip(NEXT) | instid1(VALU_DEP_2)
	v_dual_cndmask_b32 v13, v18, v14 :: v_dual_add_nc_u32 v4, v7, v4
	v_mad_nc_u64_u32 v[8:9], 0xa2f9836e, v8, v[22:23]
	s_delay_alu instid0(VALU_DEP_2) | instskip(NEXT) | instid1(VALU_DEP_1)
	v_cmp_lt_u32_e64 s0, 31, v4
	v_cndmask_b32_e64 v7, 0, 0xffffffe0, s0
	s_delay_alu instid0(VALU_DEP_3) | instskip(NEXT) | instid1(VALU_DEP_2)
	v_dual_cndmask_b32 v8, v8, v18 :: v_dual_cndmask_b32 v9, v9, v20
	v_add_nc_u32_e32 v4, v7, v4
	s_delay_alu instid0(VALU_DEP_1) | instskip(NEXT) | instid1(VALU_DEP_1)
	v_cmp_lt_u32_e64 s1, 31, v4
	v_cndmask_b32_e64 v7, 0, 0xffffffe0, s1
	s_delay_alu instid0(VALU_DEP_1) | instskip(SKIP_2) | instid1(VALU_DEP_3)
	v_add_nc_u32_e32 v4, v7, v4
	v_cndmask_b32_e32 v7, v16, v12, vcc_lo
	v_dual_cndmask_b32 v12, v8, v11, s0 :: v_dual_cndmask_b32 v8, v9, v8, s0
	v_dual_cndmask_b32 v9, v11, v13, s0 :: v_dual_sub_nc_u32 v11, 32, v4
	s_delay_alu instid0(VALU_DEP_2) | instskip(NEXT) | instid1(VALU_DEP_2)
	v_dual_cndmask_b32 v13, v13, v7, s0 :: v_dual_cndmask_b32 v8, v8, v12, s1
	v_cndmask_b32_e64 v12, v12, v9, s1
	s_delay_alu instid0(VALU_DEP_2) | instskip(NEXT) | instid1(VALU_DEP_2)
	v_cndmask_b32_e64 v9, v9, v13, s1
	v_alignbit_b32 v15, v8, v12, v11
	v_cndmask_b32_e32 v10, v14, v10, vcc_lo
	v_cmp_eq_u32_e32 vcc_lo, 0, v4
	s_delay_alu instid0(VALU_DEP_4) | instskip(NEXT) | instid1(VALU_DEP_4)
	v_alignbit_b32 v14, v12, v9, v11
	v_cndmask_b32_e32 v4, v15, v8, vcc_lo
	s_delay_alu instid0(VALU_DEP_2) | instskip(NEXT) | instid1(VALU_DEP_2)
	v_dual_cndmask_b32 v7, v7, v10, s0 :: v_dual_cndmask_b32 v8, v14, v12, vcc_lo
	v_bfe_u32 v10, v4, 29, 1
	s_delay_alu instid0(VALU_DEP_2) | instskip(NEXT) | instid1(VALU_DEP_3)
	v_cndmask_b32_e64 v7, v13, v7, s1
	v_alignbit_b32 v12, v4, v8, 30
	s_delay_alu instid0(VALU_DEP_3) | instskip(NEXT) | instid1(VALU_DEP_3)
	v_sub_nc_u32_e32 v13, 0, v10
	v_alignbit_b32 v11, v9, v7, v11
	s_delay_alu instid0(VALU_DEP_2) | instskip(NEXT) | instid1(VALU_DEP_2)
	v_xor_b32_e32 v12, v12, v13
	v_cndmask_b32_e32 v9, v11, v9, vcc_lo
	s_delay_alu instid0(VALU_DEP_2) | instskip(NEXT) | instid1(VALU_DEP_2)
	v_clz_i32_u32_e32 v11, v12
	v_alignbit_b32 v8, v8, v9, 30
	v_alignbit_b32 v7, v9, v7, 30
	s_delay_alu instid0(VALU_DEP_3) | instskip(NEXT) | instid1(VALU_DEP_3)
	v_min_u32_e32 v11, 32, v11
	v_xor_b32_e32 v8, v8, v13
	s_delay_alu instid0(VALU_DEP_3) | instskip(NEXT) | instid1(VALU_DEP_3)
	v_dual_lshrrev_b32 v13, 29, v4 :: v_dual_bitop2_b32 v7, v7, v13 bitop3:0x14
	v_dual_sub_nc_u32 v9, 31, v11 :: v_dual_lshlrev_b32 v14, 23, v11
	s_delay_alu instid0(VALU_DEP_1) | instskip(NEXT) | instid1(VALU_DEP_3)
	v_alignbit_b32 v12, v12, v8, v9
	v_alignbit_b32 v7, v8, v7, v9
	s_delay_alu instid0(VALU_DEP_4) | instskip(NEXT) | instid1(VALU_DEP_2)
	v_lshlrev_b32_e32 v8, 31, v13
	v_alignbit_b32 v9, v12, v7, 9
	s_delay_alu instid0(VALU_DEP_2) | instskip(SKIP_2) | instid1(VALU_DEP_4)
	v_or_b32_e32 v13, 0.5, v8
	v_lshrrev_b32_e32 v12, 9, v12
	v_or_b32_e32 v8, 0x33000000, v8
	v_clz_i32_u32_e32 v15, v9
	s_delay_alu instid0(VALU_DEP_4) | instskip(NEXT) | instid1(VALU_DEP_2)
	v_sub_nc_u32_e32 v13, v13, v14
	v_min_u32_e32 v14, 32, v15
	s_delay_alu instid0(VALU_DEP_2) | instskip(NEXT) | instid1(VALU_DEP_2)
	v_or_b32_e32 v12, v12, v13
	v_not_b32_e32 v13, v14
	v_add_lshl_u32 v11, v14, v11, 23
	s_delay_alu instid0(VALU_DEP_2) | instskip(NEXT) | instid1(VALU_DEP_2)
	v_alignbit_b32 v7, v9, v7, v13
	v_sub_nc_u32_e32 v8, v8, v11
	s_delay_alu instid0(VALU_DEP_2) | instskip(SKIP_1) | instid1(VALU_DEP_2)
	v_lshrrev_b32_e32 v7, 9, v7
	v_mul_f32_e32 v15, 0x3fc90fda, v12
	v_or_b32_e32 v7, v8, v7
	s_delay_alu instid0(VALU_DEP_2) | instskip(NEXT) | instid1(VALU_DEP_1)
	v_fma_f32 v9, 0x3fc90fda, v12, -v15
	v_fmamk_f32 v9, v12, 0x33a22168, v9
	s_delay_alu instid0(VALU_DEP_1) | instskip(NEXT) | instid1(VALU_DEP_1)
	v_fmac_f32_e32 v9, 0x3fc90fda, v7
	v_dual_add_f32 v4, v15, v9 :: v_dual_lshrrev_b32 v7, 30, v4
	s_delay_alu instid0(VALU_DEP_1)
	v_add_nc_u32_e32 v7, v10, v7
	s_or_saveexec_b32 s0, s3
	v_mul_f32_e64 v10, 0x3f22f983, |v5|
	s_xor_b32 exec_lo, exec_lo, s0
	s_branch .LBB7_38
.LBB7_37:
	s_or_saveexec_b32 s0, s3
	v_mul_f32_e64 v10, 0x3f22f983, |v5|
	s_xor_b32 exec_lo, exec_lo, s0
.LBB7_38:
	s_delay_alu instid0(VALU_DEP_1) | instskip(NEXT) | instid1(VALU_DEP_1)
	v_rndne_f32_e32 v7, v10
	v_fma_f32 v4, 0xbfc90fda, v7, |v5|
	s_delay_alu instid0(VALU_DEP_1) | instskip(NEXT) | instid1(VALU_DEP_1)
	v_fmamk_f32 v4, v7, 0xb3a22168, v4
	v_fmamk_f32 v4, v7, 0xa7c234c4, v4
	v_cvt_i32_f32_e32 v7, v7
; %bb.39:
	s_or_b32 exec_lo, exec_lo, s0
                                        ; implicit-def: $vgpr9
                                        ; implicit-def: $vgpr8
	s_and_saveexec_b32 s0, s2
	s_delay_alu instid0(SALU_CYCLE_1)
	s_xor_b32 s2, exec_lo, s0
	s_cbranch_execz .LBB7_41
; %bb.40:
	s_mov_b32 s0, 0x7fffff
	v_mov_b32_e32 v9, 0
	v_and_or_b32 v8, v1, s0, 0x800000
	s_mov_b64 s[0:1], 0xfe5163ab
	v_add_nc_u32_e32 v3, 0xffffff88, v3
	s_delay_alu instid0(VALU_DEP_2) | instskip(NEXT) | instid1(VALU_DEP_2)
	v_mul_u64_e32 v[10:11], s[0:1], v[8:9]
	v_cmp_lt_u32_e32 vcc_lo, 63, v3
	s_delay_alu instid0(VALU_DEP_2) | instskip(SKIP_2) | instid1(VALU_DEP_3)
	v_dual_mov_b32 v12, v11 :: v_dual_mov_b32 v13, v9
	v_dual_mov_b32 v15, v9 :: v_dual_mov_b32 v17, v9
	;; [unrolled: 1-line block ×3, first 2 shown]
	v_mad_nc_u64_u32 v[12:13], 0x3c439041, v8, v[12:13]
	v_cndmask_b32_e64 v11, 0, 0xffffffc0, vcc_lo
	s_delay_alu instid0(VALU_DEP_1) | instskip(NEXT) | instid1(VALU_DEP_3)
	v_dual_mov_b32 v23, v9 :: v_dual_add_nc_u32 v3, v11, v3
	v_mov_b32_e32 v14, v13
	s_delay_alu instid0(VALU_DEP_2) | instskip(NEXT) | instid1(VALU_DEP_2)
	v_cmp_lt_u32_e64 s0, 31, v3
	v_mad_nc_u64_u32 v[14:15], 0xdb629599, v8, v[14:15]
	s_delay_alu instid0(VALU_DEP_2) | instskip(NEXT) | instid1(VALU_DEP_1)
	v_cndmask_b32_e64 v11, 0, 0xffffffe0, s0
	v_add_nc_u32_e32 v3, v11, v3
	s_delay_alu instid0(VALU_DEP_3) | instskip(NEXT) | instid1(VALU_DEP_2)
	v_mov_b32_e32 v16, v15
	v_cmp_lt_u32_e64 s1, 31, v3
	v_cndmask_b32_e32 v10, v14, v10, vcc_lo
	s_delay_alu instid0(VALU_DEP_3) | instskip(NEXT) | instid1(VALU_DEP_3)
	v_mad_nc_u64_u32 v[16:17], 0xf534ddc0, v8, v[16:17]
	v_cndmask_b32_e64 v11, 0, 0xffffffe0, s1
	s_delay_alu instid0(VALU_DEP_1) | instskip(NEXT) | instid1(VALU_DEP_3)
	v_dual_add_nc_u32 v3, v11, v3 :: v_dual_cndmask_b32 v11, v16, v12, vcc_lo
	v_mov_b32_e32 v18, v17
	s_delay_alu instid0(VALU_DEP_1) | instskip(NEXT) | instid1(VALU_DEP_1)
	v_mad_nc_u64_u32 v[18:19], 0xfc2757d1, v8, v[18:19]
	v_dual_mov_b32 v20, v19 :: v_dual_cndmask_b32 v15, v18, v14
	s_delay_alu instid0(VALU_DEP_1) | instskip(NEXT) | instid1(VALU_DEP_1)
	v_mad_nc_u64_u32 v[20:21], 0x4e441529, v8, v[20:21]
	v_dual_mov_b32 v22, v21 :: v_dual_cndmask_b32 v13, v20, v16
	s_delay_alu instid0(VALU_DEP_1) | instskip(NEXT) | instid1(VALU_DEP_1)
	v_mad_nc_u64_u32 v[8:9], 0xa2f9836e, v8, v[22:23]
	v_dual_cndmask_b32 v8, v8, v18 :: v_dual_cndmask_b32 v9, v9, v20
	v_cmp_eq_u32_e32 vcc_lo, 0, v3
	s_delay_alu instid0(VALU_DEP_2) | instskip(SKIP_2) | instid1(VALU_DEP_3)
	v_dual_cndmask_b32 v12, v8, v13, s0 :: v_dual_cndmask_b32 v8, v9, v8, s0
	v_cndmask_b32_e64 v9, v13, v15, s0
	v_sub_nc_u32_e32 v13, 32, v3
	v_dual_cndmask_b32 v15, v15, v11, s0 :: v_dual_cndmask_b32 v8, v8, v12, s1
	s_delay_alu instid0(VALU_DEP_3) | instskip(NEXT) | instid1(VALU_DEP_1)
	v_cndmask_b32_e64 v12, v12, v9, s1
	v_alignbit_b32 v16, v8, v12, v13
	s_delay_alu instid0(VALU_DEP_1) | instskip(NEXT) | instid1(VALU_DEP_1)
	v_dual_cndmask_b32 v9, v9, v15, s1 :: v_dual_cndmask_b32 v3, v16, v8, vcc_lo
	v_alignbit_b32 v14, v12, v9, v13
	v_cndmask_b32_e64 v8, v11, v10, s0
	s_delay_alu instid0(VALU_DEP_3) | instskip(NEXT) | instid1(VALU_DEP_3)
	v_bfe_u32 v11, v3, 29, 1
	v_cndmask_b32_e32 v10, v14, v12, vcc_lo
	s_delay_alu instid0(VALU_DEP_2) | instskip(NEXT) | instid1(VALU_DEP_2)
	v_dual_cndmask_b32 v8, v15, v8, s1 :: v_dual_sub_nc_u32 v14, 0, v11
	v_alignbit_b32 v12, v3, v10, 30
	s_delay_alu instid0(VALU_DEP_2) | instskip(NEXT) | instid1(VALU_DEP_1)
	v_alignbit_b32 v13, v9, v8, v13
	v_dual_cndmask_b32 v9, v13, v9, vcc_lo :: v_dual_bitop2_b32 v12, v12, v14 bitop3:0x14
	s_delay_alu instid0(VALU_DEP_1) | instskip(NEXT) | instid1(VALU_DEP_2)
	v_clz_i32_u32_e32 v13, v12
	v_alignbit_b32 v10, v10, v9, 30
	v_alignbit_b32 v8, v9, v8, 30
	s_delay_alu instid0(VALU_DEP_3) | instskip(NEXT) | instid1(VALU_DEP_3)
	v_min_u32_e32 v13, 32, v13
	v_xor_b32_e32 v9, v10, v14
	s_delay_alu instid0(VALU_DEP_3) | instskip(NEXT) | instid1(VALU_DEP_3)
	v_dual_lshrrev_b32 v14, 29, v3 :: v_dual_bitop2_b32 v8, v8, v14 bitop3:0x14
	v_dual_lshrrev_b32 v3, 30, v3 :: v_dual_sub_nc_u32 v10, 31, v13
	v_lshlrev_b32_e32 v15, 23, v13
	s_delay_alu instid0(VALU_DEP_2) | instskip(NEXT) | instid1(VALU_DEP_4)
	v_alignbit_b32 v12, v12, v9, v10
	v_alignbit_b32 v8, v9, v8, v10
	v_lshlrev_b32_e32 v9, 31, v14
	s_delay_alu instid0(VALU_DEP_2) | instskip(NEXT) | instid1(VALU_DEP_2)
	v_alignbit_b32 v10, v12, v8, 9
	v_dual_lshrrev_b32 v12, 9, v12 :: v_dual_bitop2_b32 v14, 0.5, v9 bitop3:0x54
	v_or_b32_e32 v9, 0x33000000, v9
	s_delay_alu instid0(VALU_DEP_3) | instskip(NEXT) | instid1(VALU_DEP_3)
	v_clz_i32_u32_e32 v16, v10
	v_sub_nc_u32_e32 v14, v14, v15
	s_delay_alu instid0(VALU_DEP_2) | instskip(NEXT) | instid1(VALU_DEP_1)
	v_min_u32_e32 v15, 32, v16
	v_add_lshl_u32 v13, v15, v13, 23
	s_delay_alu instid0(VALU_DEP_1) | instskip(SKIP_1) | instid1(VALU_DEP_1)
	v_dual_sub_nc_u32 v9, v9, v13 :: v_dual_bitop2_b32 v12, v12, v14 bitop3:0x54
	v_not_b32_e32 v14, v15
	v_alignbit_b32 v8, v10, v8, v14
	s_delay_alu instid0(VALU_DEP_1) | instskip(NEXT) | instid1(VALU_DEP_4)
	v_lshrrev_b32_e32 v8, 9, v8
	v_mul_f32_e32 v16, 0x3fc90fda, v12
	s_delay_alu instid0(VALU_DEP_2) | instskip(NEXT) | instid1(VALU_DEP_2)
	v_or_b32_e32 v8, v9, v8
	v_fma_f32 v10, 0x3fc90fda, v12, -v16
	s_delay_alu instid0(VALU_DEP_1) | instskip(NEXT) | instid1(VALU_DEP_1)
	v_dual_fmamk_f32 v10, v12, 0x33a22168, v10 :: v_dual_add_nc_u32 v9, v11, v3
	v_fmac_f32_e32 v10, 0x3fc90fda, v8
	s_delay_alu instid0(VALU_DEP_1)
	v_add_f32_e32 v8, v16, v10
                                        ; implicit-def: $vgpr10
	s_and_not1_saveexec_b32 s0, s2
	s_cbranch_execnz .LBB7_42
	s_branch .LBB7_43
.LBB7_41:
	s_and_not1_saveexec_b32 s0, s2
.LBB7_42:
	v_rndne_f32_e32 v3, v10
	s_delay_alu instid0(VALU_DEP_1) | instskip(SKIP_1) | instid1(VALU_DEP_2)
	v_fma_f32 v8, 0xbfc90fda, v3, |v5|
	v_cvt_i32_f32_e32 v9, v3
	v_fmamk_f32 v8, v3, 0xb3a22168, v8
	s_delay_alu instid0(VALU_DEP_1)
	v_fmamk_f32 v8, v3, 0xa7c234c4, v8
.LBB7_43:
	s_or_b32 exec_lo, exec_lo, s0
	v_ashrrev_i32_e32 v3, 31, v2
	s_lshr_b32 s0, s21, 31
	s_mov_b32 s2, 0xb94c1982
	s_add_co_i32 s0, s21, s0
	s_mov_b32 s3, 0x37d75334
	s_ashr_i32 s0, s0, 1
	v_lshl_add_u64 v[10:11], v[2:3], 2, s[12:13]
	s_ashr_i32 s1, s0, 31
	v_mul_f32_e32 v3, v8, v8
	s_lshl_b64 s[0:1], s[0:1], 2
	s_delay_alu instid0(VALU_DEP_2) | instid1(SALU_CYCLE_1)
	v_add_nc_u64_e32 v[10:11], s[0:1], v[10:11]
	s_clause 0x1
	global_load_b32 v12, v[10:11], off
	global_load_b32 v13, v2, s[12:13] scale_offset
	s_wait_xcnt 0x0
	v_dual_mul_f32 v2, v4, v4 :: v_dual_bitop2_b32 v10, 1, v7 bitop3:0x40
	v_fmaak_f32 v15, s2, v3, 0x3c0881c4
	v_lshlrev_b32_e32 v7, 30, v7
	v_fmaak_f32 v16, s3, v3, 0xbab64f3b
	s_delay_alu instid0(VALU_DEP_4) | instskip(SKIP_2) | instid1(VALU_DEP_1)
	v_fmaak_f32 v14, s3, v2, 0xbab64f3b
	v_cmp_eq_u32_e32 vcc_lo, 0, v10
	v_fmaak_f32 v15, v3, v15, 0xbe2aaa9d
	v_dual_fmaak_f32 v14, v2, v14, 0x3d2aabf7 :: v_dual_mul_f32 v15, v3, v15
	s_delay_alu instid0(VALU_DEP_1) | instskip(NEXT) | instid1(VALU_DEP_1)
	v_dual_fmaak_f32 v11, s2, v2, 0x3c0881c4 :: v_dual_fmac_f32 v8, v8, v15
	v_fmaak_f32 v11, v2, v11, 0xbe2aaa9d
	v_dual_lshlrev_b32 v9, 30, v9 :: v_dual_bitop2_b32 v17, 1, v9 bitop3:0x40
	s_delay_alu instid0(VALU_DEP_2) | instskip(SKIP_1) | instid1(VALU_DEP_3)
	v_dual_fmaak_f32 v16, v3, v16, 0x3d2aabf7 :: v_dual_mul_f32 v11, v2, v11
	v_xor_b32_e32 v1, v1, v5
	v_and_b32_e32 v9, 0x80000000, v9
	s_delay_alu instid0(VALU_DEP_3) | instskip(NEXT) | instid1(VALU_DEP_4)
	v_fmaak_f32 v16, v3, v16, 0xbf000004
	v_fmac_f32_e32 v4, v4, v11
	s_delay_alu instid0(VALU_DEP_2) | instskip(SKIP_1) | instid1(VALU_DEP_1)
	v_fma_f32 v3, v3, v16, 1.0
	v_fmaak_f32 v14, v2, v14, 0xbf000004
	v_fma_f32 v2, v2, v14, 1.0
	s_delay_alu instid0(VALU_DEP_1) | instskip(SKIP_1) | instid1(VALU_DEP_2)
	v_cndmask_b32_e64 v2, -v4, v2, vcc_lo
	v_cmp_eq_u32_e32 vcc_lo, 0, v17
	v_bitop3_b32 v2, v7, v2, 0x80000000 bitop3:0x6c
	v_cndmask_b32_e32 v3, v3, v8, vcc_lo
	v_cmp_class_f32_e64 vcc_lo, v5, 0x1f8
	s_delay_alu instid0(VALU_DEP_2) | instskip(NEXT) | instid1(VALU_DEP_4)
	v_xor3_b32 v1, v1, v9, v3
	v_cndmask_b32_e32 v4, 0x7fc00000, v2, vcc_lo
	s_delay_alu instid0(VALU_DEP_2) | instskip(NEXT) | instid1(VALU_DEP_1)
	v_dual_cndmask_b32 v2, 0x7fc00000, v1 :: v_dual_ashrrev_i32 v1, 31, v0
	v_mul_f32_e32 v5, v6, v2
	s_delay_alu instid0(VALU_DEP_2) | instskip(NEXT) | instid1(VALU_DEP_4)
	v_lshl_add_u64 v[2:3], v[0:1], 2, s[14:15]
	v_mul_f32_e32 v1, v6, v4
	s_delay_alu instid0(VALU_DEP_2) | instskip(SKIP_2) | instid1(VALU_DEP_1)
	v_add_nc_u64_e32 v[2:3], s[0:1], v[2:3]
	s_wait_loadcnt 0x0
	v_dual_mul_f32 v4, v12, v5 :: v_dual_mul_f32 v5, v13, v5
	v_dual_fma_f32 v4, v1, v13, -v4 :: v_dual_fmac_f32 v5, v1, v12
	s_clause 0x1
	global_store_b32 v0, v4, s[14:15] scale_offset
	global_store_b32 v[2:3], v5, off
.LBB7_44:
	s_endpgm
	.section	.rodata,"a",@progbits
	.p2align	6, 0x0
	.amdhsa_kernel _ZL10rope_multiILb1ELb1EfEvPKT1_PS0_iiiiiiiiiiPKifff14rope_corr_dimsfPKf14mrope_sectionsb
		.amdhsa_group_segment_fixed_size 0
		.amdhsa_private_segment_fixed_size 0
		.amdhsa_kernarg_size 376
		.amdhsa_user_sgpr_count 2
		.amdhsa_user_sgpr_dispatch_ptr 0
		.amdhsa_user_sgpr_queue_ptr 0
		.amdhsa_user_sgpr_kernarg_segment_ptr 1
		.amdhsa_user_sgpr_dispatch_id 0
		.amdhsa_user_sgpr_kernarg_preload_length 0
		.amdhsa_user_sgpr_kernarg_preload_offset 0
		.amdhsa_user_sgpr_private_segment_size 0
		.amdhsa_wavefront_size32 1
		.amdhsa_uses_dynamic_stack 0
		.amdhsa_enable_private_segment 0
		.amdhsa_system_sgpr_workgroup_id_x 1
		.amdhsa_system_sgpr_workgroup_id_y 1
		.amdhsa_system_sgpr_workgroup_id_z 0
		.amdhsa_system_sgpr_workgroup_info 0
		.amdhsa_system_vgpr_workitem_id 1
		.amdhsa_next_free_vgpr 25
		.amdhsa_next_free_sgpr 27
		.amdhsa_named_barrier_count 0
		.amdhsa_reserve_vcc 1
		.amdhsa_float_round_mode_32 0
		.amdhsa_float_round_mode_16_64 0
		.amdhsa_float_denorm_mode_32 3
		.amdhsa_float_denorm_mode_16_64 3
		.amdhsa_fp16_overflow 0
		.amdhsa_memory_ordered 1
		.amdhsa_forward_progress 1
		.amdhsa_inst_pref_size 106
		.amdhsa_round_robin_scheduling 0
		.amdhsa_exception_fp_ieee_invalid_op 0
		.amdhsa_exception_fp_denorm_src 0
		.amdhsa_exception_fp_ieee_div_zero 0
		.amdhsa_exception_fp_ieee_overflow 0
		.amdhsa_exception_fp_ieee_underflow 0
		.amdhsa_exception_fp_ieee_inexact 0
		.amdhsa_exception_int_div_zero 0
	.end_amdhsa_kernel
	.section	.text._ZL10rope_multiILb1ELb1EfEvPKT1_PS0_iiiiiiiiiiPKifff14rope_corr_dimsfPKf14mrope_sectionsb,"axG",@progbits,_ZL10rope_multiILb1ELb1EfEvPKT1_PS0_iiiiiiiiiiPKifff14rope_corr_dimsfPKf14mrope_sectionsb,comdat
.Lfunc_end7:
	.size	_ZL10rope_multiILb1ELb1EfEvPKT1_PS0_iiiiiiiiiiPKifff14rope_corr_dimsfPKf14mrope_sectionsb, .Lfunc_end7-_ZL10rope_multiILb1ELb1EfEvPKT1_PS0_iiiiiiiiiiPKifff14rope_corr_dimsfPKf14mrope_sectionsb
                                        ; -- End function
	.set _ZL10rope_multiILb1ELb1EfEvPKT1_PS0_iiiiiiiiiiPKifff14rope_corr_dimsfPKf14mrope_sectionsb.num_vgpr, 25
	.set _ZL10rope_multiILb1ELb1EfEvPKT1_PS0_iiiiiiiiiiPKifff14rope_corr_dimsfPKf14mrope_sectionsb.num_agpr, 0
	.set _ZL10rope_multiILb1ELb1EfEvPKT1_PS0_iiiiiiiiiiPKifff14rope_corr_dimsfPKf14mrope_sectionsb.numbered_sgpr, 27
	.set _ZL10rope_multiILb1ELb1EfEvPKT1_PS0_iiiiiiiiiiPKifff14rope_corr_dimsfPKf14mrope_sectionsb.num_named_barrier, 0
	.set _ZL10rope_multiILb1ELb1EfEvPKT1_PS0_iiiiiiiiiiPKifff14rope_corr_dimsfPKf14mrope_sectionsb.private_seg_size, 0
	.set _ZL10rope_multiILb1ELb1EfEvPKT1_PS0_iiiiiiiiiiPKifff14rope_corr_dimsfPKf14mrope_sectionsb.uses_vcc, 1
	.set _ZL10rope_multiILb1ELb1EfEvPKT1_PS0_iiiiiiiiiiPKifff14rope_corr_dimsfPKf14mrope_sectionsb.uses_flat_scratch, 0
	.set _ZL10rope_multiILb1ELb1EfEvPKT1_PS0_iiiiiiiiiiPKifff14rope_corr_dimsfPKf14mrope_sectionsb.has_dyn_sized_stack, 0
	.set _ZL10rope_multiILb1ELb1EfEvPKT1_PS0_iiiiiiiiiiPKifff14rope_corr_dimsfPKf14mrope_sectionsb.has_recursion, 0
	.set _ZL10rope_multiILb1ELb1EfEvPKT1_PS0_iiiiiiiiiiPKifff14rope_corr_dimsfPKf14mrope_sectionsb.has_indirect_call, 0
	.section	.AMDGPU.csdata,"",@progbits
; Kernel info:
; codeLenInByte = 13480
; TotalNumSgprs: 29
; NumVgprs: 25
; ScratchSize: 0
; MemoryBound: 0
; FloatMode: 240
; IeeeMode: 1
; LDSByteSize: 0 bytes/workgroup (compile time only)
; SGPRBlocks: 0
; VGPRBlocks: 1
; NumSGPRsForWavesPerEU: 29
; NumVGPRsForWavesPerEU: 25
; NamedBarCnt: 0
; Occupancy: 16
; WaveLimiterHint : 0
; COMPUTE_PGM_RSRC2:SCRATCH_EN: 0
; COMPUTE_PGM_RSRC2:USER_SGPR: 2
; COMPUTE_PGM_RSRC2:TRAP_HANDLER: 0
; COMPUTE_PGM_RSRC2:TGID_X_EN: 1
; COMPUTE_PGM_RSRC2:TGID_Y_EN: 1
; COMPUTE_PGM_RSRC2:TGID_Z_EN: 0
; COMPUTE_PGM_RSRC2:TIDIG_COMP_CNT: 1
	.section	.text._ZL10rope_multiILb1ELb0E6__halfEvPKT1_PS1_iiiiiiiiiiPKifff14rope_corr_dimsfPKf14mrope_sectionsb,"axG",@progbits,_ZL10rope_multiILb1ELb0E6__halfEvPKT1_PS1_iiiiiiiiiiPKifff14rope_corr_dimsfPKf14mrope_sectionsb,comdat
	.globl	_ZL10rope_multiILb1ELb0E6__halfEvPKT1_PS1_iiiiiiiiiiPKifff14rope_corr_dimsfPKf14mrope_sectionsb ; -- Begin function _ZL10rope_multiILb1ELb0E6__halfEvPKT1_PS1_iiiiiiiiiiPKifff14rope_corr_dimsfPKf14mrope_sectionsb
	.p2align	8
	.type	_ZL10rope_multiILb1ELb0E6__halfEvPKT1_PS1_iiiiiiiiiiPKifff14rope_corr_dimsfPKf14mrope_sectionsb,@function
_ZL10rope_multiILb1ELb0E6__halfEvPKT1_PS1_iiiiiiiiiiPKifff14rope_corr_dimsfPKf14mrope_sectionsb: ; @_ZL10rope_multiILb1ELb0E6__halfEvPKT1_PS1_iiiiiiiiiiPKifff14rope_corr_dimsfPKf14mrope_sectionsb
; %bb.0:
	s_clause 0x1
	s_load_u16 s3, s[0:1], 0x86
	s_load_b256 s[4:11], s[0:1], 0x10
	s_bfe_u32 s2, ttmp6, 0x40010
	s_bfe_u32 s13, ttmp6, 0x40004
	s_add_co_i32 s2, s2, 1
	v_bfe_u32 v1, v0, 10, 10
	s_mul_i32 s12, ttmp7, s2
	s_getreg_b32 s2, hwreg(HW_REG_IB_STS2, 6, 4)
	s_add_co_i32 s13, s13, s12
	s_cmp_eq_u32 s2, 0
	s_cselect_b32 s12, ttmp7, s13
	s_wait_kmcnt 0x0
	s_mul_i32 s12, s12, s3
	s_mov_b32 s3, exec_lo
	v_add_lshl_u32 v4, s12, v1, 1
	s_delay_alu instid0(VALU_DEP_1)
	v_cmpx_gt_i32_e64 s4, v4
	s_cbranch_execz .LBB8_44
; %bb.1:
	s_add_nc_u64 s[12:13], s[0:1], 0x78
	s_bfe_u32 s4, ttmp6, 0x4000c
	s_load_b32 s3, s[12:13], 0xc
	s_add_co_i32 s4, s4, 1
	s_wait_xcnt 0x0
	s_and_b32 s12, ttmp6, 15
	s_mul_i32 s4, ttmp9, s4
	v_and_b32_e32 v0, 0x3ff, v0
	s_add_co_i32 s12, s12, s4
	s_wait_kmcnt 0x0
	s_and_b32 s3, s3, 0xffff
	s_cmp_eq_u32 s2, 0
	s_mul_i32 s2, s6, s5
	s_cselect_b32 s4, ttmp9, s12
	s_abs_i32 s12, s2
	v_mad_u32 v0, s4, s3, v0
	s_cvt_f32_u32 s13, s12
	s_sub_co_i32 s4, 0, s12
	s_delay_alu instid0(SALU_CYCLE_2) | instskip(SKIP_1) | instid1(TRANS32_DEP_1)
	v_rcp_iflag_f32_e32 v1, s13
	v_nop
	v_readfirstlane_b32 s3, v1
	s_delay_alu instid0(VALU_DEP_3) | instskip(SKIP_1) | instid1(VALU_DEP_1)
	v_sub_nc_u32_e32 v1, 0, v0
	s_mul_f32 s3, s3, 0x4f7ffffe
	v_max_i32_e32 v1, v0, v1
	s_delay_alu instid0(SALU_CYCLE_2) | instskip(NEXT) | instid1(SALU_CYCLE_3)
	s_cvt_u32_f32 s3, s3
	s_mul_i32 s4, s4, s3
	s_delay_alu instid0(SALU_CYCLE_1) | instskip(NEXT) | instid1(SALU_CYCLE_1)
	s_mul_hi_u32 s4, s3, s4
	s_add_co_i32 s3, s3, s4
	s_delay_alu instid0(SALU_CYCLE_1) | instskip(SKIP_1) | instid1(VALU_DEP_1)
	v_mul_hi_u32 v2, v1, s3
	s_cvt_f32_u32 s3, s5
	v_mul_lo_u32 v3, v2, s12
	s_delay_alu instid0(VALU_DEP_1) | instskip(NEXT) | instid1(VALU_DEP_1)
	v_dual_sub_nc_u32 v1, v1, v3 :: v_dual_add_nc_u32 v3, 1, v2
	v_cmp_le_u32_e32 vcc_lo, s12, v1
	s_delay_alu instid0(VALU_DEP_2) | instskip(SKIP_1) | instid1(VALU_DEP_1)
	v_dual_cndmask_b32 v2, v2, v3, vcc_lo :: v_dual_bitop2_b32 v3, s2, v0 bitop3:0x14
	v_subrev_nc_u32_e32 v5, s12, v1
	v_dual_cndmask_b32 v1, v1, v5, vcc_lo :: v_dual_add_nc_u32 v5, 1, v2
	s_delay_alu instid0(VALU_DEP_1) | instskip(NEXT) | instid1(VALU_DEP_4)
	v_cmp_le_u32_e32 vcc_lo, s12, v1
	v_ashrrev_i32_e32 v3, 31, v3
	s_load_b128 s[12:15], s[0:1], 0x0
	s_delay_alu instid0(VALU_DEP_3) | instskip(SKIP_1) | instid1(VALU_DEP_1)
	v_cndmask_b32_e32 v1, v2, v5, vcc_lo
	v_rcp_iflag_f32_e32 v2, s3
	v_xor_b32_e32 v1, v1, v3
	s_delay_alu instid0(TRANS32_DEP_1) | instskip(NEXT) | instid1(VALU_DEP_2)
	v_readfirstlane_b32 s3, v2
	v_sub_nc_u32_e32 v3, v1, v3
	s_delay_alu instid0(VALU_DEP_1) | instskip(SKIP_2) | instid1(SALU_CYCLE_2)
	v_mul_lo_u32 v1, s2, v3
	s_mul_f32 s2, s3, 0x4f7ffffe
	s_sub_co_i32 s3, 0, s5
	s_cvt_u32_f32 s2, s2
	s_delay_alu instid0(SALU_CYCLE_3) | instskip(NEXT) | instid1(VALU_DEP_1)
	s_mul_i32 s3, s3, s2
	v_sub_nc_u32_e32 v0, v0, v1
	s_mul_hi_u32 s3, s2, s3
	s_delay_alu instid0(SALU_CYCLE_1)
	s_add_co_i32 s2, s2, s3
	s_delay_alu instid0(VALU_DEP_1) | instid1(SALU_CYCLE_1)
	v_mul_hi_u32 v1, v0, s2
	s_load_b64 s[2:3], s[0:1], 0x30
	s_delay_alu instid0(VALU_DEP_1) | instskip(NEXT) | instid1(VALU_DEP_1)
	v_mul_lo_u32 v2, v1, s5
	v_dual_add_nc_u32 v5, 1, v1 :: v_dual_sub_nc_u32 v2, v0, v2
	s_delay_alu instid0(VALU_DEP_1) | instskip(SKIP_1) | instid1(VALU_DEP_2)
	v_subrev_nc_u32_e32 v6, s5, v2
	v_cmp_le_u32_e32 vcc_lo, s5, v2
	v_dual_cndmask_b32 v5, v1, v5 :: v_dual_cndmask_b32 v2, v2, v6
	s_delay_alu instid0(VALU_DEP_1) | instskip(NEXT) | instid1(VALU_DEP_2)
	v_dual_ashrrev_i32 v1, 1, v4 :: v_dual_add_nc_u32 v6, 1, v5
	v_cmp_le_u32_e32 vcc_lo, s5, v2
	s_wait_kmcnt 0x0
	s_delay_alu instid0(VALU_DEP_2) | instskip(SKIP_3) | instid1(VALU_DEP_1)
	v_mad_u32 v7, v3, s2, v1
	v_mad_u32 v8, v3, s9, v1
	s_mov_b32 s2, exec_lo
	v_cndmask_b32_e32 v3, v5, v6, vcc_lo
	v_mul_lo_u32 v2, v3, s5
	s_delay_alu instid0(VALU_DEP_4) | instskip(NEXT) | instid1(VALU_DEP_4)
	v_mad_u32 v5, v3, s11, v7
	v_mad_u32 v6, v3, s8, v8
	s_delay_alu instid0(VALU_DEP_3) | instskip(NEXT) | instid1(VALU_DEP_1)
	v_sub_nc_u32_e32 v2, v0, v2
	v_mad_u32 v0, v2, s10, v5
	s_delay_alu instid0(VALU_DEP_3)
	v_mad_u32 v2, v2, s7, v6
	v_cmpx_le_i32_e64 s3, v4
	s_xor_b32 s2, exec_lo, s2
	s_cbranch_execz .LBB8_3
; %bb.2:
	s_delay_alu instid0(VALU_DEP_2)
	v_dual_add_nc_u32 v2, v2, v1 :: v_dual_add_nc_u32 v0, v0, v1
                                        ; implicit-def: $vgpr4
	global_load_u16 v3, v2, s[12:13] scale_offset
	s_wait_loadcnt 0x0
	global_store_b16 v0, v3, s[14:15] scale_offset
	global_load_u16 v1, v2, s[12:13] offset:2 scale_offset
                                        ; implicit-def: $vgpr2
                                        ; implicit-def: $vgpr3
	s_wait_loadcnt 0x0
	global_store_b16 v0, v1, s[14:15] offset:2 scale_offset
                                        ; implicit-def: $vgpr0
                                        ; implicit-def: $vgpr1
.LBB8_3:
	s_wait_xcnt 0x0
	s_and_not1_saveexec_b32 s2, s2
	s_cbranch_execz .LBB8_44
; %bb.4:
	s_load_b128 s[16:19], s[0:1], 0x60
	v_ashrrev_i32_e32 v7, 31, v1
	s_wait_kmcnt 0x0
	s_add_co_i32 s2, s17, s16
	s_delay_alu instid0(SALU_CYCLE_1) | instskip(NEXT) | instid1(SALU_CYCLE_1)
	s_add_co_i32 s22, s2, s18
	s_add_co_i32 s4, s22, s19
	s_load_b32 s19, s[0:1], 0x70
	s_abs_i32 s7, s4
	s_delay_alu instid0(SALU_CYCLE_1) | instskip(SKIP_1) | instid1(SALU_CYCLE_2)
	s_cvt_f32_u32 s4, s7
	s_sub_co_i32 s5, 0, s7
	v_rcp_iflag_f32_e32 v5, s4
	v_nop
	s_delay_alu instid0(TRANS32_DEP_1) | instskip(SKIP_2) | instid1(VALU_DEP_1)
	v_readfirstlane_b32 s4, v5
	v_sub_nc_u32_e32 v5, 0, v1
	s_mul_f32 s4, s4, 0x4f7ffffe
	v_max_i32_e32 v5, v1, v5
	s_delay_alu instid0(SALU_CYCLE_2) | instskip(NEXT) | instid1(SALU_CYCLE_3)
	s_cvt_u32_f32 s4, s4
	s_mul_i32 s5, s5, s4
	s_delay_alu instid0(SALU_CYCLE_1) | instskip(NEXT) | instid1(SALU_CYCLE_1)
	s_mul_hi_u32 s5, s4, s5
	s_add_co_i32 s4, s4, s5
	s_delay_alu instid0(SALU_CYCLE_1)
	v_mul_hi_u32 v6, v5, s4
	s_clause 0x2
	s_load_b64 s[4:5], s[0:1], 0x50
	s_load_b64 s[20:21], s[0:1], 0x38
	s_load_b128 s[8:11], s[0:1], 0x40
	s_wait_kmcnt 0x0
	s_and_b32 s0, s19, 1
	s_delay_alu instid0(SALU_CYCLE_1) | instskip(NEXT) | instid1(VALU_DEP_1)
	s_cmp_eq_u32 s0, 0
	v_mul_lo_u32 v6, v6, s7
	s_delay_alu instid0(VALU_DEP_1) | instskip(NEXT) | instid1(VALU_DEP_1)
	v_sub_nc_u32_e32 v5, v5, v6
	v_subrev_nc_u32_e32 v6, s7, v5
	v_cmp_le_u32_e32 vcc_lo, s7, v5
	s_delay_alu instid0(VALU_DEP_2) | instskip(NEXT) | instid1(VALU_DEP_1)
	v_cndmask_b32_e32 v5, v5, v6, vcc_lo
	v_subrev_nc_u32_e32 v6, s7, v5
	v_cmp_le_u32_e32 vcc_lo, s7, v5
	s_delay_alu instid0(VALU_DEP_2) | instskip(NEXT) | instid1(VALU_DEP_1)
	v_cndmask_b32_e32 v5, v5, v6, vcc_lo
	v_xor_b32_e32 v5, v5, v7
	s_delay_alu instid0(VALU_DEP_1)
	v_sub_nc_u32_e32 v5, v5, v7
	s_cbranch_scc0 .LBB8_20
; %bb.5:
                                        ; implicit-def: $vgpr6
	s_mov_b32 s0, exec_lo
	s_delay_alu instid0(VALU_DEP_1)
	v_cmpx_le_i32_e64 s16, v5
	s_xor_b32 s7, exec_lo, s0
	s_cbranch_execz .LBB8_15
; %bb.6:
                                        ; implicit-def: $vgpr6
	s_mov_b32 s0, exec_lo
	v_cmpx_le_i32_e64 s2, v5
	s_xor_b32 s19, exec_lo, s0
	s_cbranch_execz .LBB8_12
; %bb.7:
	v_cvt_f32_i32_e32 v6, v4
	s_cmp_neq_f32 s5, 1.0
	s_mov_b32 s0, 0x3e76c4e1
	s_cselect_b32 vcc_lo, -1, 0
	s_delay_alu instid0(VALU_DEP_1) | instskip(NEXT) | instid1(VALU_DEP_1)
	v_mul_f32_e32 v6, 0.5, v6
	v_cndmask_b32_e32 v7, 1.0, v6, vcc_lo
	s_delay_alu instid0(VALU_DEP_1) | instskip(SKIP_1) | instid1(VALU_DEP_1)
	v_cmp_neq_f32_e32 vcc_lo, 0, v7
	v_cndmask_b32_e64 v6, 1.0, s5, vcc_lo
	v_frexp_mant_f32_e64 v8, |v6|
	v_cmp_lt_f32_e64 s24, |v6|, 1.0
	v_cmp_eq_f32_e64 s2, 0, v6
	s_delay_alu instid0(VALU_DEP_3) | instskip(SKIP_1) | instid1(VALU_DEP_1)
	v_cmp_gt_f32_e32 vcc_lo, 0x3f2aaaab, v8
	v_cndmask_b32_e64 v9, 1.0, 2.0, vcc_lo
	v_mul_f32_e32 v8, v8, v9
	s_delay_alu instid0(VALU_DEP_1) | instskip(SKIP_1) | instid1(VALU_DEP_2)
	v_dual_add_f32 v11, 1.0, v8 :: v_dual_add_f32 v9, -1.0, v8
	v_cmp_neq_f32_e64 s23, v7, |v7|
	v_rcp_f32_e32 v14, v11
	v_add_f32_e32 v12, -1.0, v11
	s_xor_b32 s23, s23, s24
	s_delay_alu instid0(TRANS32_DEP_1) | instid1(VALU_DEP_1)
	v_dual_sub_f32 v8, v8, v12 :: v_dual_mul_f32 v15, v9, v14
	s_delay_alu instid0(VALU_DEP_1) | instskip(NEXT) | instid1(VALU_DEP_1)
	v_mul_f32_e32 v10, v11, v15
	v_fma_f32 v12, v15, v11, -v10
	s_delay_alu instid0(VALU_DEP_1) | instskip(NEXT) | instid1(VALU_DEP_1)
	v_fmac_f32_e32 v12, v15, v8
	v_add_f32_e32 v8, v10, v12
	s_delay_alu instid0(VALU_DEP_1) | instskip(NEXT) | instid1(VALU_DEP_1)
	v_dual_sub_f32 v11, v9, v8 :: v_dual_mov_b32 v13, v8
	v_pk_add_f32 v[8:9], v[8:9], v[10:11] neg_lo:[0,1] neg_hi:[0,1]
	s_delay_alu instid0(VALU_DEP_1) | instskip(NEXT) | instid1(VALU_DEP_1)
	v_pk_add_f32 v[8:9], v[8:9], v[12:13] neg_lo:[0,1] neg_hi:[0,1]
	v_add_f32_e32 v8, v8, v9
	s_delay_alu instid0(VALU_DEP_1) | instskip(NEXT) | instid1(VALU_DEP_1)
	v_add_f32_e32 v8, v11, v8
	v_mul_f32_e32 v9, v14, v8
	s_delay_alu instid0(VALU_DEP_1) | instskip(NEXT) | instid1(VALU_DEP_1)
	v_add_f32_e32 v8, v15, v9
	v_sub_f32_e32 v10, v8, v15
	s_delay_alu instid0(VALU_DEP_1) | instskip(NEXT) | instid1(VALU_DEP_1)
	v_sub_f32_e32 v20, v9, v10
	v_add_f32_e32 v10, v20, v20
	v_mul_f32_e32 v11, v8, v8
	s_delay_alu instid0(VALU_DEP_1) | instskip(NEXT) | instid1(VALU_DEP_1)
	v_fma_f32 v9, v8, v8, -v11
	v_fmac_f32_e32 v9, v8, v10
	s_delay_alu instid0(VALU_DEP_1) | instskip(NEXT) | instid1(VALU_DEP_1)
	v_add_f32_e32 v10, v11, v9
	v_dual_fmaak_f32 v12, s0, v10, 0x3e91f4c4 :: v_dual_sub_f32 v11, v10, v11
	s_delay_alu instid0(VALU_DEP_1) | instskip(SKIP_1) | instid1(VALU_DEP_2)
	v_fmaak_f32 v14, v10, v12, 0x3ecccdef
	v_cvt_f64_f32_e64 v[12:13], |v6|
	v_dual_sub_f32 v18, v9, v11 :: v_dual_mul_f32 v15, v10, v14
	s_delay_alu instid0(VALU_DEP_1) | instskip(NEXT) | instid1(VALU_DEP_1)
	v_fma_f32 v9, v10, v14, -v15
	v_fmac_f32_e32 v9, v18, v14
	s_delay_alu instid0(VALU_DEP_1) | instskip(NEXT) | instid1(VALU_DEP_1)
	v_add_f32_e32 v11, v15, v9
	v_sub_f32_e32 v14, v11, v15
	v_add_f32_e32 v15, 0x3f2aaaaa, v11
	s_delay_alu instid0(VALU_DEP_1) | instskip(SKIP_1) | instid1(VALU_DEP_2)
	v_dual_sub_f32 v9, v9, v14 :: v_dual_add_f32 v14, 0xbf2aaaaa, v15
	v_frexp_exp_i32_f64_e32 v19, v[12:13]
	v_sub_f32_e32 v11, v11, v14
	s_delay_alu instid0(VALU_DEP_3) | instskip(NEXT) | instid1(VALU_DEP_1)
	v_add_f32_e32 v9, 0x31739010, v9
	v_pk_mul_f32 v[12:13], v[8:9], v[10:11]
	s_delay_alu instid0(VALU_DEP_1) | instskip(NEXT) | instid1(VALU_DEP_1)
	v_fma_f32 v14, v10, v8, -v12
	v_fmac_f32_e32 v14, v10, v20
	s_delay_alu instid0(VALU_DEP_1) | instskip(SKIP_1) | instid1(VALU_DEP_1)
	v_fmac_f32_e32 v14, v18, v8
	v_pk_add_f32 v[16:17], v[8:9], v[10:11]
	v_mov_b32_e32 v13, v17
	v_subrev_co_ci_u32_e64 v9, null, 0, v19, vcc_lo
	s_delay_alu instid0(VALU_DEP_2) | instskip(NEXT) | instid1(VALU_DEP_2)
	v_pk_add_f32 v[10:11], v[12:13], v[14:15]
	v_cvt_f32_i32_e32 v9, v9
	s_delay_alu instid0(VALU_DEP_2) | instskip(NEXT) | instid1(VALU_DEP_3)
	v_mov_b32_e32 v16, v11
	v_dual_sub_f32 v13, v15, v11 :: v_dual_sub_f32 v15, v10, v12
	s_delay_alu instid0(VALU_DEP_2) | instskip(NEXT) | instid1(VALU_DEP_2)
	v_pk_mul_f32 v[18:19], v[10:11], v[16:17]
	v_dual_add_f32 v13, v17, v13 :: v_dual_sub_f32 v14, v14, v15
	s_delay_alu instid0(VALU_DEP_2) | instskip(NEXT) | instid1(VALU_DEP_1)
	v_fma_f32 v12, v10, v11, -v18
	v_fmac_f32_e32 v12, v10, v13
	s_delay_alu instid0(VALU_DEP_1) | instskip(SKIP_2) | instid1(VALU_DEP_3)
	v_fmac_f32_e32 v12, v14, v11
	v_mul_f32_e32 v16, 0x3f317218, v9
	v_ldexp_f32 v11, v8, 1
	v_add_f32_e32 v17, v18, v12
	s_delay_alu instid0(VALU_DEP_3) | instskip(NEXT) | instid1(VALU_DEP_2)
	v_fma_f32 v10, 0x3f317218, v9, -v16
	v_dual_mov_b32 v19, v11 :: v_dual_mov_b32 v14, v17
	s_delay_alu instid0(VALU_DEP_2) | instskip(NEXT) | instid1(VALU_DEP_1)
	v_fmamk_f32 v10, v9, 0xb102e308, v10
	v_pk_add_f32 v[8:9], v[16:17], v[10:11]
	v_mov_b32_e32 v13, v17
	v_ldexp_f32 v11, v20, 1
	s_delay_alu instid0(VALU_DEP_3) | instskip(NEXT) | instid1(VALU_DEP_1)
	v_dual_mov_b32 v15, v9 :: v_dual_mov_b32 v22, v9
	v_pk_add_f32 v[14:15], v[14:15], v[18:19] neg_lo:[0,1] neg_hi:[0,1]
	s_delay_alu instid0(VALU_DEP_1) | instskip(NEXT) | instid1(VALU_DEP_1)
	v_pk_add_f32 v[12:13], v[12:13], v[14:15] neg_lo:[0,1] neg_hi:[0,1]
	v_add_f32_e32 v11, v11, v12
	s_delay_alu instid0(VALU_DEP_1) | instskip(NEXT) | instid1(VALU_DEP_1)
	v_dual_add_f32 v17, v11, v13 :: v_dual_mov_b32 v11, v8
	v_pk_add_f32 v[12:13], v[8:9], v[16:17]
	v_pk_add_f32 v[14:15], v[8:9], v[16:17] neg_lo:[0,1] neg_hi:[0,1]
	s_delay_alu instid0(VALU_DEP_2) | instskip(NEXT) | instid1(VALU_DEP_1)
	v_mov_b32_e32 v15, v13
	v_pk_add_f32 v[18:19], v[10:11], v[14:15]
	v_pk_add_f32 v[10:11], v[10:11], v[14:15] neg_lo:[0,1] neg_hi:[0,1]
	s_delay_alu instid0(VALU_DEP_2) | instskip(NEXT) | instid1(VALU_DEP_1)
	v_dual_mov_b32 v16, v19 :: v_dual_mov_b32 v11, v19
	v_pk_add_f32 v[20:21], v[16:17], v[8:9] neg_lo:[0,1] neg_hi:[0,1]
	v_dual_mov_b32 v18, v13 :: v_dual_mov_b32 v9, v8
	s_delay_alu instid0(VALU_DEP_2) | instskip(SKIP_1) | instid1(VALU_DEP_2)
	v_dual_mov_b32 v8, v17 :: v_dual_mov_b32 v23, v20
	v_mov_b32_e32 v17, v20
	v_pk_add_f32 v[14:15], v[18:19], v[22:23] neg_lo:[0,1] neg_hi:[0,1]
	s_delay_alu instid0(VALU_DEP_2) | instskip(SKIP_1) | instid1(VALU_DEP_3)
	v_pk_add_f32 v[12:13], v[12:13], v[16:17] neg_lo:[0,1] neg_hi:[0,1]
	v_mov_b32_e32 v12, v10
	v_pk_add_f32 v[8:9], v[8:9], v[14:15] neg_lo:[0,1] neg_hi:[0,1]
	s_delay_alu instid0(VALU_DEP_1) | instskip(NEXT) | instid1(VALU_DEP_1)
	v_pk_add_f32 v[12:13], v[12:13], v[8:9]
	v_mov_b32_e32 v14, v13
	s_delay_alu instid0(VALU_DEP_1) | instskip(NEXT) | instid1(VALU_DEP_1)
	v_pk_add_f32 v[14:15], v[12:13], v[14:15]
	v_pk_add_f32 v[16:17], v[16:17], v[14:15]
	s_delay_alu instid0(VALU_DEP_1) | instskip(NEXT) | instid1(VALU_DEP_1)
	v_dual_mov_b32 v9, v14 :: v_dual_mov_b32 v13, v16
	v_pk_add_f32 v[18:19], v[12:13], v[10:11] neg_lo:[0,1] neg_hi:[0,1]
	s_delay_alu instid0(VALU_DEP_1) | instskip(NEXT) | instid1(VALU_DEP_2)
	v_sub_f32_e32 v11, v12, v18
	v_pk_add_f32 v[8:9], v[8:9], v[18:19] neg_lo:[0,1] neg_hi:[0,1]
	s_delay_alu instid0(VALU_DEP_2) | instskip(NEXT) | instid1(VALU_DEP_1)
	v_sub_f32_e32 v10, v10, v11
	v_add_f32_e32 v8, v8, v10
	s_delay_alu instid0(VALU_DEP_1) | instskip(NEXT) | instid1(VALU_DEP_1)
	v_add_f32_e32 v8, v8, v9
	v_add_f32_e32 v9, v16, v8
	s_delay_alu instid0(VALU_DEP_1) | instskip(NEXT) | instid1(VALU_DEP_1)
	v_dual_sub_f32 v10, v9, v16 :: v_dual_mul_f32 v11, v7, v9
	v_dual_sub_f32 v8, v8, v10 :: v_dual_fma_f32 v9, v7, v9, -v11
	v_cmp_class_f32_e64 vcc_lo, v11, 0x204
	s_delay_alu instid0(VALU_DEP_2) | instskip(NEXT) | instid1(VALU_DEP_1)
	v_fmac_f32_e32 v9, v7, v8
	v_add_f32_e32 v8, v11, v9
	s_delay_alu instid0(VALU_DEP_1) | instskip(NEXT) | instid1(VALU_DEP_1)
	v_cndmask_b32_e32 v10, v8, v11, vcc_lo
	v_cmp_eq_f32_e32 vcc_lo, 0x42b17218, v10
	v_cndmask_b32_e64 v12, 0, 0x37000000, vcc_lo
	v_cmp_neq_f32_e64 vcc_lo, 0x7f800000, |v10|
	s_delay_alu instid0(VALU_DEP_2) | instskip(SKIP_1) | instid1(VALU_DEP_2)
	v_dual_sub_f32 v13, v10, v12 :: v_dual_sub_f32 v8, v8, v11
	v_trunc_f32_e32 v10, v7
	v_mul_f32_e32 v14, 0x3fb8aa3b, v13
	s_delay_alu instid0(VALU_DEP_3) | instskip(NEXT) | instid1(VALU_DEP_2)
	v_sub_f32_e32 v8, v9, v8
	v_fma_f32 v15, 0x3fb8aa3b, v13, -v14
	v_rndne_f32_e32 v16, v14
	s_delay_alu instid0(VALU_DEP_3) | instskip(SKIP_1) | instid1(VALU_DEP_3)
	v_cndmask_b32_e32 v8, 0, v8, vcc_lo
	v_cmp_ngt_f32_e32 vcc_lo, 0xc2ce8ed0, v13
	v_dual_fmamk_f32 v15, v13, 0x32a5705f, v15 :: v_dual_sub_f32 v14, v14, v16
	s_delay_alu instid0(VALU_DEP_1) | instskip(NEXT) | instid1(VALU_DEP_1)
	v_add_f32_e32 v14, v14, v15
	v_exp_f32_e32 v11, v14
	v_nop
	v_cvt_i32_f32_e32 v14, v16
	s_delay_alu instid0(TRANS32_DEP_1) | instid1(VALU_DEP_1)
	v_ldexp_f32 v9, v11, v14
	s_delay_alu instid0(VALU_DEP_1) | instskip(NEXT) | instid1(VALU_DEP_1)
	v_dual_mul_f32 v11, 0.5, v7 :: v_dual_cndmask_b32 v9, 0, v9, vcc_lo
	v_trunc_f32_e32 v14, v11
	v_cmp_nlt_f32_e32 vcc_lo, 0x42b17218, v13
	v_add_f32_e32 v8, v12, v8
	s_delay_alu instid0(VALU_DEP_3) | instskip(SKIP_2) | instid1(VALU_DEP_2)
	v_cmp_neq_f32_e64 s0, v14, v11
	v_cndmask_b32_e32 v9, 0x7f800000, v9, vcc_lo
	v_cmp_eq_f32_e32 vcc_lo, v10, v7
	v_cmp_class_f32_e64 s1, v9, 0x204
	s_and_b32 s0, vcc_lo, s0
	s_delay_alu instid0(SALU_CYCLE_1) | instskip(NEXT) | instid1(VALU_DEP_1)
	v_dual_fma_f32 v8, v9, v8, v9 :: v_dual_cndmask_b32 v10, 1.0, v6, s0
	v_cndmask_b32_e64 v8, v8, v9, s1
	v_cndmask_b32_e64 v9, 0x7f800000, 0, s23
	v_cmp_gt_f32_e64 s1, 0, v7
	s_delay_alu instid0(VALU_DEP_3) | instskip(SKIP_1) | instid1(SALU_CYCLE_1)
	v_bfi_b32 v8, 0x7fffffff, v8, v10
	s_xor_b32 s1, s1, s2
	v_cndmask_b32_e64 v11, 0x7f800000, 0, s1
	s_delay_alu instid0(VALU_DEP_2) | instskip(SKIP_3) | instid1(VALU_DEP_4)
	v_cndmask_b32_e32 v10, 0x7fc00000, v8, vcc_lo
	v_cmp_neq_f32_e64 vcc_lo, |v6|, 1.0
	v_cndmask_b32_e32 v9, 1.0, v9, vcc_lo
	v_cmp_gt_f32_e32 vcc_lo, 0, v6
	v_cndmask_b32_e32 v8, v8, v10, vcc_lo
	v_cmp_class_f32_e64 vcc_lo, v7, 0x204
	v_cndmask_b32_e64 v10, 0, v6, s0
	v_cmp_class_f32_e64 s0, v6, 0x204
	s_delay_alu instid0(VALU_DEP_4) | instskip(NEXT) | instid1(VALU_DEP_3)
	v_cndmask_b32_e32 v7, v8, v9, vcc_lo
	v_bfi_b32 v8, 0x7fffffff, v11, v10
	s_or_b32 vcc_lo, s2, s0
	v_cmp_o_f32_e64 s0, v6, v6
                                        ; implicit-def: $vgpr6
	s_delay_alu instid0(VALU_DEP_2) | instskip(NEXT) | instid1(VALU_DEP_1)
	v_cndmask_b32_e32 v7, v7, v8, vcc_lo
	v_cndmask_b32_e64 v7, 0x7fc00000, v7, s0
	s_mov_b32 s0, exec_lo
	v_cmpx_le_i32_e64 s22, v5
	s_xor_b32 s0, exec_lo, s0
	s_cbranch_execz .LBB8_9
; %bb.8:
	v_mad_u32 v6, s6, 3, v3
	global_load_b32 v6, v6, s[20:21] scale_offset
	s_wait_loadcnt 0x0
	v_cvt_f32_i32_e32 v6, v6
	s_delay_alu instid0(VALU_DEP_1)
	v_mul_f32_e32 v6, v7, v6
                                        ; implicit-def: $vgpr7
.LBB8_9:
	s_and_not1_saveexec_b32 s0, s0
	s_cbranch_execz .LBB8_11
; %bb.10:
	v_lshl_add_u32 v6, s6, 1, v3
	global_load_b32 v6, v6, s[20:21] scale_offset
	s_wait_loadcnt 0x0
	v_cvt_f32_i32_e32 v6, v6
	s_delay_alu instid0(VALU_DEP_1)
	v_mul_f32_e32 v6, v7, v6
.LBB8_11:
	s_or_b32 exec_lo, exec_lo, s0
.LBB8_12:
	s_and_not1_saveexec_b32 s19, s19
	s_cbranch_execz .LBB8_14
; %bb.13:
	v_cvt_f32_i32_e32 v6, v4
	s_cmp_neq_f32 s5, 1.0
	s_mov_b32 s0, 0x3e76c4e1
	s_cselect_b32 vcc_lo, -1, 0
	s_delay_alu instid0(VALU_DEP_1) | instskip(NEXT) | instid1(VALU_DEP_1)
	v_mul_f32_e32 v6, 0.5, v6
	v_cndmask_b32_e32 v7, 1.0, v6, vcc_lo
	s_delay_alu instid0(VALU_DEP_1) | instskip(SKIP_1) | instid1(VALU_DEP_1)
	v_cmp_neq_f32_e32 vcc_lo, 0, v7
	v_cndmask_b32_e64 v6, 1.0, s5, vcc_lo
	v_frexp_mant_f32_e64 v8, |v6|
	v_cmp_lt_f32_e64 s23, |v6|, 1.0
	v_cmp_eq_f32_e64 s2, 0, v6
	s_delay_alu instid0(VALU_DEP_3) | instskip(SKIP_1) | instid1(VALU_DEP_1)
	v_cmp_gt_f32_e32 vcc_lo, 0x3f2aaaab, v8
	v_cndmask_b32_e64 v9, 1.0, 2.0, vcc_lo
	v_mul_f32_e32 v8, v8, v9
	s_delay_alu instid0(VALU_DEP_1) | instskip(SKIP_1) | instid1(VALU_DEP_2)
	v_dual_add_f32 v11, 1.0, v8 :: v_dual_add_f32 v9, -1.0, v8
	v_cmp_neq_f32_e64 s22, v7, |v7|
	v_rcp_f32_e32 v14, v11
	v_add_f32_e32 v12, -1.0, v11
	s_xor_b32 s22, s22, s23
	s_delay_alu instid0(TRANS32_DEP_1) | instid1(VALU_DEP_1)
	v_dual_sub_f32 v8, v8, v12 :: v_dual_mul_f32 v15, v9, v14
	s_delay_alu instid0(VALU_DEP_1) | instskip(NEXT) | instid1(VALU_DEP_1)
	v_mul_f32_e32 v10, v11, v15
	v_fma_f32 v12, v15, v11, -v10
	s_delay_alu instid0(VALU_DEP_1) | instskip(NEXT) | instid1(VALU_DEP_1)
	v_fmac_f32_e32 v12, v15, v8
	v_add_f32_e32 v8, v10, v12
	s_delay_alu instid0(VALU_DEP_1) | instskip(NEXT) | instid1(VALU_DEP_1)
	v_dual_sub_f32 v11, v9, v8 :: v_dual_mov_b32 v13, v8
	v_pk_add_f32 v[8:9], v[8:9], v[10:11] neg_lo:[0,1] neg_hi:[0,1]
	s_delay_alu instid0(VALU_DEP_1) | instskip(NEXT) | instid1(VALU_DEP_1)
	v_pk_add_f32 v[8:9], v[8:9], v[12:13] neg_lo:[0,1] neg_hi:[0,1]
	v_add_f32_e32 v8, v8, v9
	s_delay_alu instid0(VALU_DEP_1) | instskip(NEXT) | instid1(VALU_DEP_1)
	v_add_f32_e32 v8, v11, v8
	v_mul_f32_e32 v9, v14, v8
	s_delay_alu instid0(VALU_DEP_1) | instskip(NEXT) | instid1(VALU_DEP_1)
	v_add_f32_e32 v8, v15, v9
	v_sub_f32_e32 v10, v8, v15
	s_delay_alu instid0(VALU_DEP_1) | instskip(NEXT) | instid1(VALU_DEP_1)
	v_sub_f32_e32 v20, v9, v10
	v_add_f32_e32 v10, v20, v20
	v_mul_f32_e32 v11, v8, v8
	s_delay_alu instid0(VALU_DEP_1) | instskip(NEXT) | instid1(VALU_DEP_1)
	v_fma_f32 v9, v8, v8, -v11
	v_fmac_f32_e32 v9, v8, v10
	s_delay_alu instid0(VALU_DEP_1) | instskip(NEXT) | instid1(VALU_DEP_1)
	v_add_f32_e32 v10, v11, v9
	v_dual_fmaak_f32 v12, s0, v10, 0x3e91f4c4 :: v_dual_sub_f32 v11, v10, v11
	s_delay_alu instid0(VALU_DEP_1) | instskip(NEXT) | instid1(VALU_DEP_2)
	v_fmaak_f32 v14, v10, v12, 0x3ecccdef
	v_sub_f32_e32 v18, v9, v11
	v_add_nc_u32_e32 v11, s6, v3
	v_cvt_f64_f32_e64 v[12:13], |v6|
	s_delay_alu instid0(VALU_DEP_4) | instskip(SKIP_2) | instid1(VALU_DEP_1)
	v_mul_f32_e32 v15, v10, v14
	global_load_b32 v24, v11, s[20:21] scale_offset
	v_fma_f32 v9, v10, v14, -v15
	v_fmac_f32_e32 v9, v18, v14
	s_wait_xcnt 0x0
	s_delay_alu instid0(VALU_DEP_1) | instskip(NEXT) | instid1(VALU_DEP_1)
	v_add_f32_e32 v11, v15, v9
	v_sub_f32_e32 v14, v11, v15
	v_add_f32_e32 v15, 0x3f2aaaaa, v11
	s_delay_alu instid0(VALU_DEP_1) | instskip(SKIP_1) | instid1(VALU_DEP_2)
	v_dual_sub_f32 v9, v9, v14 :: v_dual_add_f32 v14, 0xbf2aaaaa, v15
	v_frexp_exp_i32_f64_e32 v19, v[12:13]
	v_add_f32_e32 v9, 0x31739010, v9
	s_delay_alu instid0(VALU_DEP_3) | instskip(NEXT) | instid1(VALU_DEP_1)
	v_sub_f32_e32 v11, v11, v14
	v_pk_mul_f32 v[12:13], v[8:9], v[10:11]
	s_delay_alu instid0(VALU_DEP_1) | instskip(NEXT) | instid1(VALU_DEP_1)
	v_fma_f32 v14, v10, v8, -v12
	v_fmac_f32_e32 v14, v10, v20
	s_delay_alu instid0(VALU_DEP_1) | instskip(SKIP_1) | instid1(VALU_DEP_1)
	v_fmac_f32_e32 v14, v18, v8
	v_pk_add_f32 v[16:17], v[8:9], v[10:11]
	v_mov_b32_e32 v13, v17
	v_subrev_co_ci_u32_e64 v9, null, 0, v19, vcc_lo
	s_delay_alu instid0(VALU_DEP_2) | instskip(NEXT) | instid1(VALU_DEP_2)
	v_pk_add_f32 v[10:11], v[12:13], v[14:15]
	v_cvt_f32_i32_e32 v9, v9
	s_delay_alu instid0(VALU_DEP_2) | instskip(NEXT) | instid1(VALU_DEP_3)
	v_mov_b32_e32 v16, v11
	v_dual_sub_f32 v13, v15, v11 :: v_dual_sub_f32 v15, v10, v12
	s_delay_alu instid0(VALU_DEP_2) | instskip(NEXT) | instid1(VALU_DEP_2)
	v_pk_mul_f32 v[18:19], v[10:11], v[16:17]
	v_sub_f32_e32 v14, v14, v15
	s_delay_alu instid0(VALU_DEP_2) | instskip(NEXT) | instid1(VALU_DEP_1)
	v_dual_fma_f32 v12, v10, v11, -v18 :: v_dual_add_f32 v13, v17, v13
	v_fmac_f32_e32 v12, v10, v13
	s_delay_alu instid0(VALU_DEP_1) | instskip(SKIP_2) | instid1(VALU_DEP_3)
	v_fmac_f32_e32 v12, v14, v11
	v_mul_f32_e32 v16, 0x3f317218, v9
	v_ldexp_f32 v11, v8, 1
	v_add_f32_e32 v17, v18, v12
	s_delay_alu instid0(VALU_DEP_3) | instskip(NEXT) | instid1(VALU_DEP_2)
	v_fma_f32 v10, 0x3f317218, v9, -v16
	v_dual_mov_b32 v19, v11 :: v_dual_mov_b32 v14, v17
	s_delay_alu instid0(VALU_DEP_2) | instskip(NEXT) | instid1(VALU_DEP_1)
	v_fmamk_f32 v10, v9, 0xb102e308, v10
	v_pk_add_f32 v[8:9], v[16:17], v[10:11]
	v_ldexp_f32 v11, v20, 1
	s_delay_alu instid0(VALU_DEP_2) | instskip(NEXT) | instid1(VALU_DEP_1)
	v_dual_mov_b32 v13, v17 :: v_dual_mov_b32 v15, v9
	v_pk_add_f32 v[14:15], v[14:15], v[18:19] neg_lo:[0,1] neg_hi:[0,1]
	s_delay_alu instid0(VALU_DEP_1) | instskip(NEXT) | instid1(VALU_DEP_1)
	v_pk_add_f32 v[12:13], v[12:13], v[14:15] neg_lo:[0,1] neg_hi:[0,1]
	v_add_f32_e32 v11, v11, v12
	s_delay_alu instid0(VALU_DEP_1) | instskip(NEXT) | instid1(VALU_DEP_1)
	v_dual_add_f32 v17, v11, v13 :: v_dual_mov_b32 v11, v8
	v_pk_add_f32 v[12:13], v[8:9], v[16:17]
	v_pk_add_f32 v[14:15], v[8:9], v[16:17] neg_lo:[0,1] neg_hi:[0,1]
	s_delay_alu instid0(VALU_DEP_2) | instskip(NEXT) | instid1(VALU_DEP_1)
	v_dual_mov_b32 v22, v9 :: v_dual_mov_b32 v15, v13
	v_pk_add_f32 v[18:19], v[10:11], v[14:15]
	s_delay_alu instid0(VALU_DEP_1) | instskip(SKIP_1) | instid1(VALU_DEP_2)
	v_dual_mov_b32 v18, v13 :: v_dual_mov_b32 v16, v19
	v_pk_add_f32 v[10:11], v[10:11], v[14:15] neg_lo:[0,1] neg_hi:[0,1]
	v_pk_add_f32 v[20:21], v[16:17], v[8:9] neg_lo:[0,1] neg_hi:[0,1]
	v_dual_mov_b32 v9, v8 :: v_dual_mov_b32 v8, v17
	s_delay_alu instid0(VALU_DEP_2) | instskip(NEXT) | instid1(VALU_DEP_1)
	v_dual_mov_b32 v17, v20 :: v_dual_mov_b32 v23, v20
	v_pk_add_f32 v[12:13], v[12:13], v[16:17] neg_lo:[0,1] neg_hi:[0,1]
	s_delay_alu instid0(VALU_DEP_2) | instskip(SKIP_1) | instid1(VALU_DEP_2)
	v_pk_add_f32 v[14:15], v[18:19], v[22:23] neg_lo:[0,1] neg_hi:[0,1]
	v_mov_b32_e32 v12, v10
	v_pk_add_f32 v[8:9], v[8:9], v[14:15] neg_lo:[0,1] neg_hi:[0,1]
	s_delay_alu instid0(VALU_DEP_1) | instskip(NEXT) | instid1(VALU_DEP_1)
	v_pk_add_f32 v[12:13], v[12:13], v[8:9]
	v_mov_b32_e32 v14, v13
	s_delay_alu instid0(VALU_DEP_1) | instskip(NEXT) | instid1(VALU_DEP_1)
	v_pk_add_f32 v[14:15], v[12:13], v[14:15]
	v_pk_add_f32 v[16:17], v[16:17], v[14:15]
	s_delay_alu instid0(VALU_DEP_1) | instskip(NEXT) | instid1(VALU_DEP_1)
	v_dual_mov_b32 v11, v19 :: v_dual_mov_b32 v13, v16
	v_pk_add_f32 v[18:19], v[12:13], v[10:11] neg_lo:[0,1] neg_hi:[0,1]
	s_delay_alu instid0(VALU_DEP_1) | instskip(NEXT) | instid1(VALU_DEP_1)
	v_dual_mov_b32 v9, v14 :: v_dual_sub_f32 v11, v12, v18
	v_pk_add_f32 v[8:9], v[8:9], v[18:19] neg_lo:[0,1] neg_hi:[0,1]
	s_delay_alu instid0(VALU_DEP_2) | instskip(NEXT) | instid1(VALU_DEP_1)
	v_sub_f32_e32 v10, v10, v11
	v_add_f32_e32 v8, v8, v10
	s_delay_alu instid0(VALU_DEP_1) | instskip(NEXT) | instid1(VALU_DEP_1)
	v_add_f32_e32 v8, v8, v9
	v_add_f32_e32 v9, v16, v8
	s_delay_alu instid0(VALU_DEP_1) | instskip(NEXT) | instid1(VALU_DEP_1)
	v_dual_sub_f32 v10, v9, v16 :: v_dual_mul_f32 v11, v7, v9
	v_sub_f32_e32 v8, v8, v10
	s_delay_alu instid0(VALU_DEP_2) | instskip(SKIP_1) | instid1(VALU_DEP_1)
	v_cmp_class_f32_e64 vcc_lo, v11, 0x204
	v_fma_f32 v9, v7, v9, -v11
	v_fmac_f32_e32 v9, v7, v8
	s_delay_alu instid0(VALU_DEP_1) | instskip(NEXT) | instid1(VALU_DEP_1)
	v_add_f32_e32 v8, v11, v9
	v_cndmask_b32_e32 v10, v8, v11, vcc_lo
	s_delay_alu instid0(VALU_DEP_1) | instskip(SKIP_2) | instid1(VALU_DEP_2)
	v_cmp_eq_f32_e32 vcc_lo, 0x42b17218, v10
	v_cndmask_b32_e64 v12, 0, 0x37000000, vcc_lo
	v_cmp_neq_f32_e64 vcc_lo, 0x7f800000, |v10|
	v_dual_sub_f32 v13, v10, v12 :: v_dual_sub_f32 v8, v8, v11
	v_trunc_f32_e32 v10, v7
	s_delay_alu instid0(VALU_DEP_2) | instskip(NEXT) | instid1(VALU_DEP_1)
	v_mul_f32_e32 v14, 0x3fb8aa3b, v13
	v_fma_f32 v15, 0x3fb8aa3b, v13, -v14
	v_rndne_f32_e32 v16, v14
	s_delay_alu instid0(VALU_DEP_1) | instskip(NEXT) | instid1(VALU_DEP_1)
	v_dual_fmamk_f32 v15, v13, 0x32a5705f, v15 :: v_dual_sub_f32 v14, v14, v16
	v_dual_add_f32 v14, v14, v15 :: v_dual_sub_f32 v8, v9, v8
	s_delay_alu instid0(VALU_DEP_1)
	v_exp_f32_e32 v11, v14
	v_nop
	v_cvt_i32_f32_e32 v14, v16
	s_delay_alu instid0(TRANS32_DEP_1) | instid1(VALU_DEP_1)
	v_ldexp_f32 v9, v11, v14
	v_dual_mul_f32 v11, 0.5, v7 :: v_dual_cndmask_b32 v8, 0, v8
	v_cmp_ngt_f32_e32 vcc_lo, 0xc2ce8ed0, v13
	s_delay_alu instid0(VALU_DEP_2) | instskip(NEXT) | instid1(VALU_DEP_4)
	v_trunc_f32_e32 v14, v11
	v_cndmask_b32_e32 v9, 0, v9, vcc_lo
	v_cmp_nlt_f32_e32 vcc_lo, 0x42b17218, v13
	s_delay_alu instid0(VALU_DEP_3) | instskip(NEXT) | instid1(VALU_DEP_3)
	v_cmp_neq_f32_e64 s0, v14, v11
	v_cndmask_b32_e32 v9, 0x7f800000, v9, vcc_lo
	v_cmp_eq_f32_e32 vcc_lo, v10, v7
	s_delay_alu instid0(VALU_DEP_2) | instskip(SKIP_1) | instid1(SALU_CYCLE_1)
	v_cmp_class_f32_e64 s1, v9, 0x204
	s_and_b32 s0, vcc_lo, s0
	v_dual_cndmask_b32 v10, 1.0, v6, s0 :: v_dual_add_f32 v8, v12, v8
	s_delay_alu instid0(VALU_DEP_1) | instskip(NEXT) | instid1(VALU_DEP_1)
	v_fma_f32 v8, v9, v8, v9
	v_cndmask_b32_e64 v8, v8, v9, s1
	v_cndmask_b32_e64 v9, 0x7f800000, 0, s22
	v_cmp_gt_f32_e64 s1, 0, v7
	s_delay_alu instid0(VALU_DEP_3) | instskip(SKIP_1) | instid1(SALU_CYCLE_1)
	v_bfi_b32 v8, 0x7fffffff, v8, v10
	s_xor_b32 s1, s1, s2
	v_cndmask_b32_e64 v11, 0x7f800000, 0, s1
	s_delay_alu instid0(VALU_DEP_2) | instskip(SKIP_3) | instid1(VALU_DEP_4)
	v_cndmask_b32_e32 v10, 0x7fc00000, v8, vcc_lo
	v_cmp_neq_f32_e64 vcc_lo, |v6|, 1.0
	v_cndmask_b32_e32 v9, 1.0, v9, vcc_lo
	v_cmp_gt_f32_e32 vcc_lo, 0, v6
	v_cndmask_b32_e32 v8, v8, v10, vcc_lo
	v_cndmask_b32_e64 v10, 0, v6, s0
	v_cmp_class_f32_e64 vcc_lo, v7, 0x204
	v_cmp_class_f32_e64 s0, v6, 0x204
	s_delay_alu instid0(VALU_DEP_4) | instskip(NEXT) | instid1(VALU_DEP_4)
	v_cndmask_b32_e32 v7, v8, v9, vcc_lo
	v_bfi_b32 v8, 0x7fffffff, v11, v10
	s_or_b32 vcc_lo, s2, s0
	s_delay_alu instid0(VALU_DEP_1) | instskip(SKIP_3) | instid1(VALU_DEP_3)
	v_cndmask_b32_e32 v7, v7, v8, vcc_lo
	v_cmp_o_f32_e32 vcc_lo, v6, v6
	s_wait_loadcnt 0x0
	v_cvt_f32_i32_e32 v8, v24
	v_cndmask_b32_e32 v6, 0x7fc00000, v7, vcc_lo
	s_delay_alu instid0(VALU_DEP_1)
	v_mul_f32_e32 v6, v6, v8
.LBB8_14:
	s_or_b32 exec_lo, exec_lo, s19
.LBB8_15:
	s_and_not1_saveexec_b32 s7, s7
	s_cbranch_execz .LBB8_17
; %bb.16:
	v_cvt_f32_i32_e32 v6, v4
	s_cmp_neq_f32 s5, 1.0
	s_mov_b32 s0, 0x3e76c4e1
	global_load_b32 v24, v3, s[20:21] scale_offset
	s_cselect_b32 vcc_lo, -1, 0
	v_mul_f32_e32 v6, 0.5, v6
	s_delay_alu instid0(VALU_DEP_1) | instskip(NEXT) | instid1(VALU_DEP_1)
	v_cndmask_b32_e32 v7, 1.0, v6, vcc_lo
	v_cmp_neq_f32_e32 vcc_lo, 0, v7
	v_cndmask_b32_e64 v6, 1.0, s5, vcc_lo
	s_delay_alu instid0(VALU_DEP_1) | instskip(SKIP_2) | instid1(VALU_DEP_3)
	v_frexp_mant_f32_e64 v8, |v6|
	v_cmp_lt_f32_e64 s22, |v6|, 1.0
	v_cmp_eq_f32_e64 s2, 0, v6
	v_cmp_gt_f32_e32 vcc_lo, 0x3f2aaaab, v8
	v_cndmask_b32_e64 v9, 1.0, 2.0, vcc_lo
	s_delay_alu instid0(VALU_DEP_1) | instskip(NEXT) | instid1(VALU_DEP_1)
	v_mul_f32_e32 v8, v8, v9
	v_dual_add_f32 v11, 1.0, v8 :: v_dual_add_f32 v9, -1.0, v8
	v_cmp_neq_f32_e64 s19, v7, |v7|
	s_delay_alu instid0(VALU_DEP_2)
	v_rcp_f32_e32 v14, v11
	v_add_f32_e32 v12, -1.0, v11
	s_xor_b32 s19, s19, s22
	s_delay_alu instid0(TRANS32_DEP_1) | instid1(VALU_DEP_1)
	v_dual_sub_f32 v8, v8, v12 :: v_dual_mul_f32 v15, v9, v14
	s_delay_alu instid0(VALU_DEP_1) | instskip(NEXT) | instid1(VALU_DEP_1)
	v_mul_f32_e32 v10, v11, v15
	v_fma_f32 v12, v15, v11, -v10
	s_delay_alu instid0(VALU_DEP_1) | instskip(NEXT) | instid1(VALU_DEP_1)
	v_fmac_f32_e32 v12, v15, v8
	v_add_f32_e32 v8, v10, v12
	s_delay_alu instid0(VALU_DEP_1) | instskip(NEXT) | instid1(VALU_DEP_1)
	v_dual_sub_f32 v11, v9, v8 :: v_dual_mov_b32 v13, v8
	v_pk_add_f32 v[8:9], v[8:9], v[10:11] neg_lo:[0,1] neg_hi:[0,1]
	s_delay_alu instid0(VALU_DEP_1) | instskip(NEXT) | instid1(VALU_DEP_1)
	v_pk_add_f32 v[8:9], v[8:9], v[12:13] neg_lo:[0,1] neg_hi:[0,1]
	v_add_f32_e32 v8, v8, v9
	s_delay_alu instid0(VALU_DEP_1) | instskip(NEXT) | instid1(VALU_DEP_1)
	v_add_f32_e32 v8, v11, v8
	v_mul_f32_e32 v9, v14, v8
	s_delay_alu instid0(VALU_DEP_1) | instskip(NEXT) | instid1(VALU_DEP_1)
	v_add_f32_e32 v8, v15, v9
	v_sub_f32_e32 v10, v8, v15
	s_delay_alu instid0(VALU_DEP_1) | instskip(NEXT) | instid1(VALU_DEP_1)
	v_sub_f32_e32 v20, v9, v10
	v_add_f32_e32 v10, v20, v20
	v_mul_f32_e32 v11, v8, v8
	s_delay_alu instid0(VALU_DEP_1) | instskip(NEXT) | instid1(VALU_DEP_1)
	v_fma_f32 v9, v8, v8, -v11
	v_fmac_f32_e32 v9, v8, v10
	s_delay_alu instid0(VALU_DEP_1) | instskip(NEXT) | instid1(VALU_DEP_1)
	v_add_f32_e32 v10, v11, v9
	v_dual_fmaak_f32 v12, s0, v10, 0x3e91f4c4 :: v_dual_sub_f32 v11, v10, v11
	s_delay_alu instid0(VALU_DEP_1) | instskip(SKIP_1) | instid1(VALU_DEP_2)
	v_fmaak_f32 v14, v10, v12, 0x3ecccdef
	v_cvt_f64_f32_e64 v[12:13], |v6|
	v_dual_sub_f32 v18, v9, v11 :: v_dual_mul_f32 v15, v10, v14
	s_delay_alu instid0(VALU_DEP_1) | instskip(NEXT) | instid1(VALU_DEP_1)
	v_fma_f32 v9, v10, v14, -v15
	v_fmac_f32_e32 v9, v18, v14
	s_delay_alu instid0(VALU_DEP_1) | instskip(NEXT) | instid1(VALU_DEP_1)
	v_add_f32_e32 v11, v15, v9
	v_sub_f32_e32 v14, v11, v15
	v_add_f32_e32 v15, 0x3f2aaaaa, v11
	s_delay_alu instid0(VALU_DEP_1) | instskip(SKIP_1) | instid1(VALU_DEP_2)
	v_dual_sub_f32 v9, v9, v14 :: v_dual_add_f32 v14, 0xbf2aaaaa, v15
	v_frexp_exp_i32_f64_e32 v19, v[12:13]
	v_sub_f32_e32 v11, v11, v14
	s_delay_alu instid0(VALU_DEP_3) | instskip(NEXT) | instid1(VALU_DEP_1)
	v_add_f32_e32 v9, 0x31739010, v9
	v_pk_mul_f32 v[12:13], v[8:9], v[10:11]
	s_delay_alu instid0(VALU_DEP_1) | instskip(NEXT) | instid1(VALU_DEP_1)
	v_fma_f32 v14, v10, v8, -v12
	v_fmac_f32_e32 v14, v10, v20
	s_delay_alu instid0(VALU_DEP_1) | instskip(SKIP_1) | instid1(VALU_DEP_1)
	v_fmac_f32_e32 v14, v18, v8
	v_pk_add_f32 v[16:17], v[8:9], v[10:11]
	v_mov_b32_e32 v13, v17
	v_subrev_co_ci_u32_e64 v9, null, 0, v19, vcc_lo
	s_delay_alu instid0(VALU_DEP_2) | instskip(NEXT) | instid1(VALU_DEP_2)
	v_pk_add_f32 v[10:11], v[12:13], v[14:15]
	v_cvt_f32_i32_e32 v9, v9
	s_delay_alu instid0(VALU_DEP_2) | instskip(NEXT) | instid1(VALU_DEP_3)
	v_mov_b32_e32 v16, v11
	v_dual_sub_f32 v13, v15, v11 :: v_dual_sub_f32 v15, v10, v12
	s_delay_alu instid0(VALU_DEP_2) | instskip(NEXT) | instid1(VALU_DEP_2)
	v_pk_mul_f32 v[18:19], v[10:11], v[16:17]
	v_dual_add_f32 v13, v17, v13 :: v_dual_sub_f32 v14, v14, v15
	s_delay_alu instid0(VALU_DEP_2) | instskip(NEXT) | instid1(VALU_DEP_1)
	v_fma_f32 v12, v10, v11, -v18
	v_fmac_f32_e32 v12, v10, v13
	s_delay_alu instid0(VALU_DEP_1) | instskip(SKIP_2) | instid1(VALU_DEP_3)
	v_fmac_f32_e32 v12, v14, v11
	v_mul_f32_e32 v16, 0x3f317218, v9
	v_ldexp_f32 v11, v8, 1
	v_add_f32_e32 v17, v18, v12
	s_delay_alu instid0(VALU_DEP_3) | instskip(NEXT) | instid1(VALU_DEP_2)
	v_fma_f32 v10, 0x3f317218, v9, -v16
	v_dual_mov_b32 v19, v11 :: v_dual_mov_b32 v14, v17
	s_delay_alu instid0(VALU_DEP_2) | instskip(NEXT) | instid1(VALU_DEP_1)
	v_fmamk_f32 v10, v9, 0xb102e308, v10
	v_pk_add_f32 v[8:9], v[16:17], v[10:11]
	v_mov_b32_e32 v13, v17
	v_ldexp_f32 v11, v20, 1
	s_delay_alu instid0(VALU_DEP_3) | instskip(NEXT) | instid1(VALU_DEP_1)
	v_dual_mov_b32 v15, v9 :: v_dual_mov_b32 v22, v9
	v_pk_add_f32 v[14:15], v[14:15], v[18:19] neg_lo:[0,1] neg_hi:[0,1]
	s_delay_alu instid0(VALU_DEP_1) | instskip(NEXT) | instid1(VALU_DEP_1)
	v_pk_add_f32 v[12:13], v[12:13], v[14:15] neg_lo:[0,1] neg_hi:[0,1]
	v_add_f32_e32 v11, v11, v12
	s_delay_alu instid0(VALU_DEP_1) | instskip(NEXT) | instid1(VALU_DEP_1)
	v_dual_add_f32 v17, v11, v13 :: v_dual_mov_b32 v11, v8
	v_pk_add_f32 v[12:13], v[8:9], v[16:17]
	v_pk_add_f32 v[14:15], v[8:9], v[16:17] neg_lo:[0,1] neg_hi:[0,1]
	s_delay_alu instid0(VALU_DEP_2) | instskip(NEXT) | instid1(VALU_DEP_1)
	v_mov_b32_e32 v15, v13
	v_pk_add_f32 v[18:19], v[10:11], v[14:15]
	v_pk_add_f32 v[10:11], v[10:11], v[14:15] neg_lo:[0,1] neg_hi:[0,1]
	s_delay_alu instid0(VALU_DEP_2) | instskip(NEXT) | instid1(VALU_DEP_1)
	v_dual_mov_b32 v16, v19 :: v_dual_mov_b32 v11, v19
	v_pk_add_f32 v[20:21], v[16:17], v[8:9] neg_lo:[0,1] neg_hi:[0,1]
	v_dual_mov_b32 v18, v13 :: v_dual_mov_b32 v9, v8
	s_delay_alu instid0(VALU_DEP_2) | instskip(SKIP_1) | instid1(VALU_DEP_2)
	v_dual_mov_b32 v8, v17 :: v_dual_mov_b32 v23, v20
	v_mov_b32_e32 v17, v20
	v_pk_add_f32 v[14:15], v[18:19], v[22:23] neg_lo:[0,1] neg_hi:[0,1]
	s_delay_alu instid0(VALU_DEP_2) | instskip(SKIP_1) | instid1(VALU_DEP_3)
	v_pk_add_f32 v[12:13], v[12:13], v[16:17] neg_lo:[0,1] neg_hi:[0,1]
	v_mov_b32_e32 v12, v10
	v_pk_add_f32 v[8:9], v[8:9], v[14:15] neg_lo:[0,1] neg_hi:[0,1]
	s_delay_alu instid0(VALU_DEP_1) | instskip(NEXT) | instid1(VALU_DEP_1)
	v_pk_add_f32 v[12:13], v[12:13], v[8:9]
	v_mov_b32_e32 v14, v13
	s_delay_alu instid0(VALU_DEP_1) | instskip(NEXT) | instid1(VALU_DEP_1)
	v_pk_add_f32 v[14:15], v[12:13], v[14:15]
	v_pk_add_f32 v[16:17], v[16:17], v[14:15]
	s_delay_alu instid0(VALU_DEP_1) | instskip(NEXT) | instid1(VALU_DEP_1)
	v_dual_mov_b32 v9, v14 :: v_dual_mov_b32 v13, v16
	v_pk_add_f32 v[18:19], v[12:13], v[10:11] neg_lo:[0,1] neg_hi:[0,1]
	s_delay_alu instid0(VALU_DEP_1) | instskip(NEXT) | instid1(VALU_DEP_2)
	v_sub_f32_e32 v11, v12, v18
	v_pk_add_f32 v[8:9], v[8:9], v[18:19] neg_lo:[0,1] neg_hi:[0,1]
	s_delay_alu instid0(VALU_DEP_2) | instskip(NEXT) | instid1(VALU_DEP_1)
	v_sub_f32_e32 v10, v10, v11
	v_add_f32_e32 v8, v8, v10
	s_delay_alu instid0(VALU_DEP_1) | instskip(NEXT) | instid1(VALU_DEP_1)
	v_add_f32_e32 v8, v8, v9
	v_add_f32_e32 v9, v16, v8
	s_delay_alu instid0(VALU_DEP_1) | instskip(NEXT) | instid1(VALU_DEP_1)
	v_dual_sub_f32 v10, v9, v16 :: v_dual_mul_f32 v11, v7, v9
	v_dual_sub_f32 v8, v8, v10 :: v_dual_fma_f32 v9, v7, v9, -v11
	v_cmp_class_f32_e64 vcc_lo, v11, 0x204
	s_delay_alu instid0(VALU_DEP_2) | instskip(NEXT) | instid1(VALU_DEP_1)
	v_fmac_f32_e32 v9, v7, v8
	v_add_f32_e32 v8, v11, v9
	s_delay_alu instid0(VALU_DEP_1) | instskip(NEXT) | instid1(VALU_DEP_1)
	v_cndmask_b32_e32 v10, v8, v11, vcc_lo
	v_cmp_eq_f32_e32 vcc_lo, 0x42b17218, v10
	v_cndmask_b32_e64 v12, 0, 0x37000000, vcc_lo
	v_cmp_neq_f32_e64 vcc_lo, 0x7f800000, |v10|
	s_delay_alu instid0(VALU_DEP_2) | instskip(SKIP_1) | instid1(VALU_DEP_2)
	v_dual_sub_f32 v13, v10, v12 :: v_dual_sub_f32 v8, v8, v11
	v_trunc_f32_e32 v10, v7
	v_mul_f32_e32 v14, 0x3fb8aa3b, v13
	s_delay_alu instid0(VALU_DEP_3) | instskip(NEXT) | instid1(VALU_DEP_2)
	v_sub_f32_e32 v8, v9, v8
	v_fma_f32 v15, 0x3fb8aa3b, v13, -v14
	v_rndne_f32_e32 v16, v14
	s_delay_alu instid0(VALU_DEP_3) | instskip(SKIP_1) | instid1(VALU_DEP_3)
	v_cndmask_b32_e32 v8, 0, v8, vcc_lo
	v_cmp_ngt_f32_e32 vcc_lo, 0xc2ce8ed0, v13
	v_dual_fmamk_f32 v15, v13, 0x32a5705f, v15 :: v_dual_sub_f32 v14, v14, v16
	s_delay_alu instid0(VALU_DEP_1) | instskip(NEXT) | instid1(VALU_DEP_1)
	v_add_f32_e32 v14, v14, v15
	v_exp_f32_e32 v11, v14
	v_nop
	v_cvt_i32_f32_e32 v14, v16
	s_delay_alu instid0(TRANS32_DEP_1) | instid1(VALU_DEP_1)
	v_ldexp_f32 v9, v11, v14
	s_delay_alu instid0(VALU_DEP_1) | instskip(NEXT) | instid1(VALU_DEP_1)
	v_dual_mul_f32 v11, 0.5, v7 :: v_dual_cndmask_b32 v9, 0, v9, vcc_lo
	v_trunc_f32_e32 v14, v11
	v_cmp_nlt_f32_e32 vcc_lo, 0x42b17218, v13
	v_add_f32_e32 v8, v12, v8
	s_delay_alu instid0(VALU_DEP_3) | instskip(SKIP_2) | instid1(VALU_DEP_2)
	v_cmp_neq_f32_e64 s0, v14, v11
	v_cndmask_b32_e32 v9, 0x7f800000, v9, vcc_lo
	v_cmp_eq_f32_e32 vcc_lo, v10, v7
	v_cmp_class_f32_e64 s1, v9, 0x204
	s_and_b32 s0, vcc_lo, s0
	s_delay_alu instid0(SALU_CYCLE_1) | instskip(NEXT) | instid1(VALU_DEP_1)
	v_dual_fma_f32 v8, v9, v8, v9 :: v_dual_cndmask_b32 v10, 1.0, v6, s0
	v_cndmask_b32_e64 v8, v8, v9, s1
	v_cndmask_b32_e64 v9, 0x7f800000, 0, s19
	v_cmp_gt_f32_e64 s1, 0, v7
	s_delay_alu instid0(VALU_DEP_3) | instskip(SKIP_1) | instid1(SALU_CYCLE_1)
	v_bfi_b32 v8, 0x7fffffff, v8, v10
	s_xor_b32 s1, s1, s2
	v_cndmask_b32_e64 v11, 0x7f800000, 0, s1
	s_delay_alu instid0(VALU_DEP_2) | instskip(SKIP_3) | instid1(VALU_DEP_4)
	v_cndmask_b32_e32 v10, 0x7fc00000, v8, vcc_lo
	v_cmp_neq_f32_e64 vcc_lo, |v6|, 1.0
	v_cndmask_b32_e32 v9, 1.0, v9, vcc_lo
	v_cmp_gt_f32_e32 vcc_lo, 0, v6
	v_cndmask_b32_e32 v8, v8, v10, vcc_lo
	v_cmp_class_f32_e64 vcc_lo, v7, 0x204
	v_cndmask_b32_e64 v10, 0, v6, s0
	v_cmp_class_f32_e64 s0, v6, 0x204
	s_delay_alu instid0(VALU_DEP_4) | instskip(NEXT) | instid1(VALU_DEP_3)
	v_cndmask_b32_e32 v7, v8, v9, vcc_lo
	v_bfi_b32 v8, 0x7fffffff, v11, v10
	s_or_b32 vcc_lo, s2, s0
	s_delay_alu instid0(VALU_DEP_1) | instskip(SKIP_3) | instid1(VALU_DEP_3)
	v_cndmask_b32_e32 v7, v7, v8, vcc_lo
	v_cmp_o_f32_e32 vcc_lo, v6, v6
	s_wait_loadcnt 0x0
	v_cvt_f32_i32_e32 v8, v24
	v_cndmask_b32_e32 v6, 0x7fc00000, v7, vcc_lo
	s_delay_alu instid0(VALU_DEP_1)
	v_mul_f32_e32 v6, v6, v8
.LBB8_17:
	s_wait_xcnt 0x0
	s_or_b32 exec_lo, exec_lo, s7
	s_cbranch_execz .LBB8_21
; %bb.18:
	s_delay_alu instid0(VALU_DEP_1)
	v_mul_f32_e32 v4, s8, v6
	s_cmp_eq_f32 s9, 0
	s_cbranch_scc1 .LBB8_34
.LBB8_19:
	v_cvt_f32_i32_e32 v1, v1
	s_sub_f32 s0, s4, s11
	v_div_scale_f32 v5, null, s8, s8, 1.0
	s_delay_alu instid0(SALU_CYCLE_2) | instskip(SKIP_4) | instid1(VALU_DEP_3)
	s_max_num_f32 s1, s0, 0x3a83126f
	v_subrev_f32_e32 v1, s11, v1
	v_rcp_f32_e32 v8, v5
	v_nop
	v_xor_b32_e32 v5, 0x80000000, v5
	v_div_scale_f32 v3, null, s1, s1, v1
	s_delay_alu instid0(TRANS32_DEP_1) | instid1(VALU_DEP_2)
	v_fma_f32 v10, v5, v8, 1.0
	s_delay_alu instid0(VALU_DEP_2) | instskip(SKIP_1) | instid1(TRANS32_DEP_1)
	v_rcp_f32_e32 v7, v3
	v_nop
	v_fma_f32 v9, -v3, v7, 1.0
	s_delay_alu instid0(VALU_DEP_1) | instskip(SKIP_2) | instid1(VALU_DEP_2)
	v_fmac_f32_e32 v7, v9, v7
	v_div_scale_f32 v11, vcc_lo, v1, s1, v1
	v_div_scale_f32 v9, s0, 1.0, s8, 1.0
	v_dual_fmac_f32 v8, v10, v8 :: v_dual_mul_f32 v10, v11, v7
	s_delay_alu instid0(VALU_DEP_1) | instskip(NEXT) | instid1(VALU_DEP_1)
	v_dual_mul_f32 v12, v9, v8 :: v_dual_fma_f32 v13, -v3, v10, v11
	v_fmac_f32_e32 v10, v13, v7
	s_delay_alu instid0(VALU_DEP_1) | instskip(NEXT) | instid1(VALU_DEP_1)
	v_dual_fma_f32 v14, v5, v12, v9 :: v_dual_fma_f32 v3, -v3, v10, v11
	v_fmac_f32_e32 v12, v14, v8
	s_delay_alu instid0(VALU_DEP_2) | instskip(NEXT) | instid1(VALU_DEP_2)
	v_div_fmas_f32 v3, v3, v7, v10
	v_fmac_f32_e32 v9, v5, v12
	s_mov_b32 vcc_lo, s0
	s_delay_alu instid0(VALU_DEP_2) | instskip(NEXT) | instid1(VALU_DEP_2)
	v_div_fixup_f32 v1, v3, s1, v1 clamp
	v_div_fmas_f32 v5, v9, v8, v12
	s_delay_alu instid0(VALU_DEP_1) | instskip(NEXT) | instid1(VALU_DEP_1)
	v_div_fixup_f32 v5, v5, s8, 1.0
	v_readfirstlane_b32 s0, v5
	s_cmp_lt_f32 s0, 0x800000
	s_cselect_b32 s0, 0x4f800000, 1.0
	s_delay_alu instid0(SALU_CYCLE_1) | instskip(SKIP_1) | instid1(VALU_DEP_1)
	v_mul_f32_e32 v5, s0, v5
	s_cselect_b32 s0, 0x41b17218, 0
	v_log_f32_e32 v5, v5
	v_nop
	s_delay_alu instid0(TRANS32_DEP_1) | instskip(SKIP_1) | instid1(VALU_DEP_2)
	v_mul_f32_e32 v7, 0x3f317217, v5
	v_and_b32_e32 v3, 0x7fffffff, v5
	v_xor_b32_e32 v7, 0x80000000, v7
	s_delay_alu instid0(VALU_DEP_2) | instskip(NEXT) | instid1(VALU_DEP_2)
	v_cmp_gt_f32_e32 vcc_lo, 0x7f800000, v3
	v_fmac_f32_e32 v7, 0x3f317217, v5
	s_delay_alu instid0(VALU_DEP_1) | instskip(NEXT) | instid1(VALU_DEP_1)
	v_fmamk_f32 v7, v5, 0x3377d1cf, v7
	v_fmac_f32_e32 v7, 0x3f317217, v5
	s_delay_alu instid0(VALU_DEP_1) | instskip(NEXT) | instid1(VALU_DEP_1)
	v_dual_sub_f32 v1, 1.0, v1 :: v_dual_cndmask_b32 v3, v5, v7, vcc_lo
	v_fma_f32 v5, -s9, v1, 1.0
	s_delay_alu instid0(VALU_DEP_2) | instskip(NEXT) | instid1(VALU_DEP_1)
	v_dual_mov_b32 v7, 1.0 :: v_dual_subrev_f32 v3, s0, v3
	v_dual_mul_f32 v4, v5, v4 :: v_dual_fmamk_f32 v3, v3, 0x3dcccccd, v7
	s_delay_alu instid0(VALU_DEP_1) | instskip(NEXT) | instid1(VALU_DEP_1)
	v_dual_mul_f32 v1, s9, v1 :: v_dual_mul_f32 v5, s10, v3
	v_fmac_f32_e32 v4, v1, v6
	s_branch .LBB8_35
.LBB8_20:
                                        ; implicit-def: $vgpr6
.LBB8_21:
	s_delay_alu instid0(VALU_DEP_1) | instskip(SKIP_1) | instid1(SALU_CYCLE_1)
	v_mul_hi_i32 v6, 0x55555556, v5
	s_mul_i32 s0, s17, 3
	v_cmp_le_i32_e64 s0, s0, v5
	s_delay_alu instid0(VALU_DEP_2) | instskip(NEXT) | instid1(VALU_DEP_1)
	v_lshrrev_b32_e32 v7, 31, v6
	v_add_nc_u32_e32 v6, v6, v7
	s_delay_alu instid0(VALU_DEP_1) | instskip(NEXT) | instid1(VALU_DEP_1)
	v_lshl_add_u32 v6, v6, 1, v6
	v_sub_nc_u32_e32 v7, v5, v6
                                        ; implicit-def: $vgpr6
	s_delay_alu instid0(VALU_DEP_1) | instskip(SKIP_1) | instid1(SALU_CYCLE_1)
	v_cmp_ne_u32_e32 vcc_lo, 1, v7
	s_or_b32 s0, vcc_lo, s0
	s_and_saveexec_b32 s1, s0
	s_delay_alu instid0(SALU_CYCLE_1)
	s_xor_b32 s7, exec_lo, s1
	s_cbranch_execz .LBB8_31
; %bb.22:
	s_mul_i32 s0, s18, 3
	v_cmp_ne_u32_e32 vcc_lo, 2, v7
	v_cmp_le_i32_e64 s0, s0, v5
                                        ; implicit-def: $vgpr6
	s_or_b32 s0, vcc_lo, s0
	s_delay_alu instid0(SALU_CYCLE_1) | instskip(NEXT) | instid1(SALU_CYCLE_1)
	s_and_saveexec_b32 s1, s0
	s_xor_b32 s17, exec_lo, s1
	s_cbranch_execz .LBB8_28
; %bb.23:
	s_mul_i32 s0, s16, 3
	v_cmp_ne_u32_e32 vcc_lo, 0, v7
	v_cmp_le_i32_e64 s0, s0, v5
                                        ; implicit-def: $vgpr6
	s_or_b32 s0, vcc_lo, s0
	s_delay_alu instid0(SALU_CYCLE_1) | instskip(NEXT) | instid1(SALU_CYCLE_1)
	s_and_saveexec_b32 s1, s0
	s_xor_b32 s16, exec_lo, s1
	s_cbranch_execz .LBB8_25
; %bb.24:
	v_cvt_f32_i32_e32 v4, v4
	s_cmp_neq_f32 s5, 1.0
	s_mov_b32 s0, 0x3e76c4e1
	v_mad_u32 v3, s6, 3, v3
	s_cselect_b32 vcc_lo, -1, 0
	v_mul_f32_e32 v4, 0.5, v4
	s_delay_alu instid0(VALU_DEP_1) | instskip(SKIP_3) | instid1(VALU_DEP_1)
	v_cndmask_b32_e32 v5, 1.0, v4, vcc_lo
	global_load_b32 v22, v3, s[20:21] scale_offset
	v_cmp_neq_f32_e32 vcc_lo, 0, v5
	v_cndmask_b32_e64 v4, 1.0, s5, vcc_lo
	v_frexp_mant_f32_e64 v6, |v4|
	v_cmp_lt_f32_e64 s19, |v4|, 1.0
	v_cmp_eq_f32_e64 s2, 0, v4
	s_delay_alu instid0(VALU_DEP_3) | instskip(SKIP_1) | instid1(VALU_DEP_1)
	v_cmp_gt_f32_e32 vcc_lo, 0x3f2aaaab, v6
	v_cndmask_b32_e64 v7, 1.0, 2.0, vcc_lo
	v_mul_f32_e32 v6, v6, v7
	s_delay_alu instid0(VALU_DEP_1) | instskip(SKIP_1) | instid1(VALU_DEP_2)
	v_dual_add_f32 v9, 1.0, v6 :: v_dual_add_f32 v7, -1.0, v6
	v_cmp_neq_f32_e64 s18, v5, |v5|
	v_rcp_f32_e32 v12, v9
	v_add_f32_e32 v10, -1.0, v9
	s_xor_b32 s18, s18, s19
	s_delay_alu instid0(TRANS32_DEP_1) | instid1(VALU_DEP_1)
	v_dual_sub_f32 v6, v6, v10 :: v_dual_mul_f32 v13, v7, v12
	s_delay_alu instid0(VALU_DEP_1) | instskip(NEXT) | instid1(VALU_DEP_1)
	v_mul_f32_e32 v8, v9, v13
	v_fma_f32 v10, v13, v9, -v8
	s_delay_alu instid0(VALU_DEP_1) | instskip(NEXT) | instid1(VALU_DEP_1)
	v_fmac_f32_e32 v10, v13, v6
	v_add_f32_e32 v6, v8, v10
	s_delay_alu instid0(VALU_DEP_1) | instskip(NEXT) | instid1(VALU_DEP_1)
	v_dual_sub_f32 v9, v7, v6 :: v_dual_mov_b32 v11, v6
	v_pk_add_f32 v[6:7], v[6:7], v[8:9] neg_lo:[0,1] neg_hi:[0,1]
	s_delay_alu instid0(VALU_DEP_1) | instskip(NEXT) | instid1(VALU_DEP_1)
	v_pk_add_f32 v[6:7], v[6:7], v[10:11] neg_lo:[0,1] neg_hi:[0,1]
	v_add_f32_e32 v6, v6, v7
	s_delay_alu instid0(VALU_DEP_1) | instskip(NEXT) | instid1(VALU_DEP_1)
	v_add_f32_e32 v6, v9, v6
	v_mul_f32_e32 v7, v12, v6
	s_delay_alu instid0(VALU_DEP_1) | instskip(NEXT) | instid1(VALU_DEP_1)
	v_add_f32_e32 v6, v13, v7
	v_sub_f32_e32 v8, v6, v13
	s_delay_alu instid0(VALU_DEP_1) | instskip(NEXT) | instid1(VALU_DEP_1)
	v_sub_f32_e32 v18, v7, v8
	v_add_f32_e32 v8, v18, v18
	v_mul_f32_e32 v9, v6, v6
	s_delay_alu instid0(VALU_DEP_1) | instskip(NEXT) | instid1(VALU_DEP_1)
	v_fma_f32 v7, v6, v6, -v9
	v_fmac_f32_e32 v7, v6, v8
	s_delay_alu instid0(VALU_DEP_1) | instskip(NEXT) | instid1(VALU_DEP_1)
	v_add_f32_e32 v8, v9, v7
	v_dual_fmaak_f32 v10, s0, v8, 0x3e91f4c4 :: v_dual_sub_f32 v9, v8, v9
	s_delay_alu instid0(VALU_DEP_1) | instskip(SKIP_1) | instid1(VALU_DEP_2)
	v_fmaak_f32 v12, v8, v10, 0x3ecccdef
	v_cvt_f64_f32_e64 v[10:11], |v4|
	v_dual_sub_f32 v16, v7, v9 :: v_dual_mul_f32 v13, v8, v12
	s_delay_alu instid0(VALU_DEP_1) | instskip(NEXT) | instid1(VALU_DEP_1)
	v_fma_f32 v7, v8, v12, -v13
	v_fmac_f32_e32 v7, v16, v12
	s_wait_xcnt 0x0
	s_delay_alu instid0(VALU_DEP_1) | instskip(NEXT) | instid1(VALU_DEP_1)
	v_add_f32_e32 v3, v13, v7
	v_sub_f32_e32 v9, v3, v13
	v_add_f32_e32 v13, 0x3f2aaaaa, v3
	s_delay_alu instid0(VALU_DEP_2) | instskip(NEXT) | instid1(VALU_DEP_2)
	v_sub_f32_e32 v7, v7, v9
	v_add_f32_e32 v9, 0xbf2aaaaa, v13
	v_frexp_exp_i32_f64_e32 v17, v[10:11]
	s_delay_alu instid0(VALU_DEP_3) | instskip(NEXT) | instid1(VALU_DEP_3)
	v_add_f32_e32 v7, 0x31739010, v7
	v_sub_f32_e32 v9, v3, v9
	s_delay_alu instid0(VALU_DEP_1) | instskip(SKIP_1) | instid1(VALU_DEP_1)
	v_pk_mul_f32 v[10:11], v[6:7], v[8:9]
	v_pk_add_f32 v[14:15], v[6:7], v[8:9]
	v_dual_fma_f32 v12, v8, v6, -v10 :: v_dual_mov_b32 v11, v15
	s_delay_alu instid0(VALU_DEP_1) | instskip(NEXT) | instid1(VALU_DEP_1)
	v_fmac_f32_e32 v12, v8, v18
	v_fmac_f32_e32 v12, v16, v6
	s_delay_alu instid0(VALU_DEP_1) | instskip(SKIP_1) | instid1(VALU_DEP_2)
	v_pk_add_f32 v[8:9], v[10:11], v[12:13]
	v_subrev_co_ci_u32_e64 v3, null, 0, v17, vcc_lo
	v_mov_b32_e32 v14, v9
	s_delay_alu instid0(VALU_DEP_3) | instskip(NEXT) | instid1(VALU_DEP_3)
	v_dual_sub_f32 v7, v13, v9 :: v_dual_sub_f32 v11, v8, v10
	v_cvt_f32_i32_e32 v3, v3
	s_delay_alu instid0(VALU_DEP_3) | instskip(NEXT) | instid1(VALU_DEP_3)
	v_pk_mul_f32 v[16:17], v[8:9], v[14:15]
	v_add_f32_e32 v7, v15, v7
	s_delay_alu instid0(VALU_DEP_4) | instskip(NEXT) | instid1(VALU_DEP_3)
	v_sub_f32_e32 v11, v12, v11
	v_fma_f32 v10, v8, v9, -v16
	s_delay_alu instid0(VALU_DEP_1) | instskip(NEXT) | instid1(VALU_DEP_1)
	v_fmac_f32_e32 v10, v8, v7
	v_fmac_f32_e32 v10, v11, v9
	v_mul_f32_e32 v14, 0x3f317218, v3
	v_ldexp_f32 v9, v6, 1
	s_delay_alu instid0(VALU_DEP_3) | instskip(NEXT) | instid1(VALU_DEP_3)
	v_add_f32_e32 v15, v16, v10
	v_fma_f32 v7, 0x3f317218, v3, -v14
	s_delay_alu instid0(VALU_DEP_2) | instskip(NEXT) | instid1(VALU_DEP_2)
	v_dual_mov_b32 v17, v9 :: v_dual_mov_b32 v11, v15
	v_fmamk_f32 v8, v3, 0xb102e308, v7
	v_ldexp_f32 v3, v18, 1
	s_delay_alu instid0(VALU_DEP_2) | instskip(NEXT) | instid1(VALU_DEP_1)
	v_pk_add_f32 v[6:7], v[14:15], v[8:9]
	v_dual_mov_b32 v12, v15 :: v_dual_mov_b32 v13, v7
	s_delay_alu instid0(VALU_DEP_2) | instskip(NEXT) | instid1(VALU_DEP_2)
	v_dual_mov_b32 v9, v6 :: v_dual_mov_b32 v20, v7
	v_pk_add_f32 v[12:13], v[12:13], v[16:17] neg_lo:[0,1] neg_hi:[0,1]
	s_delay_alu instid0(VALU_DEP_1) | instskip(NEXT) | instid1(VALU_DEP_1)
	v_pk_add_f32 v[10:11], v[10:11], v[12:13] neg_lo:[0,1] neg_hi:[0,1]
	v_add_f32_e32 v3, v3, v10
	s_delay_alu instid0(VALU_DEP_1) | instskip(NEXT) | instid1(VALU_DEP_1)
	v_add_f32_e32 v15, v3, v11
	v_pk_add_f32 v[10:11], v[6:7], v[14:15]
	v_pk_add_f32 v[12:13], v[6:7], v[14:15] neg_lo:[0,1] neg_hi:[0,1]
	s_delay_alu instid0(VALU_DEP_2) | instskip(NEXT) | instid1(VALU_DEP_1)
	v_mov_b32_e32 v13, v11
	v_pk_add_f32 v[16:17], v[8:9], v[12:13]
	v_mov_b32_e32 v16, v11
	v_pk_add_f32 v[8:9], v[8:9], v[12:13] neg_lo:[0,1] neg_hi:[0,1]
	s_delay_alu instid0(VALU_DEP_3) | instskip(NEXT) | instid1(VALU_DEP_1)
	v_dual_mov_b32 v14, v17 :: v_dual_mov_b32 v9, v17
	v_pk_add_f32 v[18:19], v[14:15], v[6:7] neg_lo:[0,1] neg_hi:[0,1]
	v_dual_mov_b32 v7, v6 :: v_dual_mov_b32 v6, v15
	s_delay_alu instid0(VALU_DEP_2) | instskip(NEXT) | instid1(VALU_DEP_1)
	v_dual_mov_b32 v21, v18 :: v_dual_mov_b32 v3, v18
	v_pk_add_f32 v[12:13], v[16:17], v[20:21] neg_lo:[0,1] neg_hi:[0,1]
	s_delay_alu instid0(VALU_DEP_2) | instskip(SKIP_1) | instid1(VALU_DEP_3)
	v_pk_add_f32 v[10:11], v[10:11], v[2:3] neg_lo:[0,1] neg_hi:[0,1]
	v_mov_b32_e32 v10, v8
	v_pk_add_f32 v[6:7], v[6:7], v[12:13] neg_lo:[0,1] neg_hi:[0,1]
	s_delay_alu instid0(VALU_DEP_1) | instskip(NEXT) | instid1(VALU_DEP_1)
	v_pk_add_f32 v[10:11], v[10:11], v[6:7]
	v_mov_b32_e32 v12, v11
	s_delay_alu instid0(VALU_DEP_1) | instskip(NEXT) | instid1(VALU_DEP_1)
	v_pk_add_f32 v[12:13], v[10:11], v[12:13]
	v_pk_add_f32 v[14:15], v[14:15], v[12:13]
	s_delay_alu instid0(VALU_DEP_1) | instskip(NEXT) | instid1(VALU_DEP_1)
	v_dual_mov_b32 v7, v12 :: v_dual_mov_b32 v11, v14
	v_pk_add_f32 v[16:17], v[10:11], v[8:9] neg_lo:[0,1] neg_hi:[0,1]
	s_delay_alu instid0(VALU_DEP_1) | instskip(NEXT) | instid1(VALU_DEP_2)
	v_sub_f32_e32 v3, v10, v16
	v_pk_add_f32 v[6:7], v[6:7], v[16:17] neg_lo:[0,1] neg_hi:[0,1]
	s_delay_alu instid0(VALU_DEP_2) | instskip(NEXT) | instid1(VALU_DEP_1)
	v_sub_f32_e32 v3, v8, v3
	v_add_f32_e32 v3, v6, v3
	s_delay_alu instid0(VALU_DEP_1) | instskip(NEXT) | instid1(VALU_DEP_1)
	v_add_f32_e32 v3, v3, v7
	v_add_f32_e32 v6, v14, v3
	s_delay_alu instid0(VALU_DEP_1) | instskip(NEXT) | instid1(VALU_DEP_1)
	v_sub_f32_e32 v7, v6, v14
	v_dual_mul_f32 v8, v5, v6 :: v_dual_sub_f32 v3, v3, v7
	s_delay_alu instid0(VALU_DEP_1) | instskip(SKIP_1) | instid1(VALU_DEP_2)
	v_fma_f32 v6, v5, v6, -v8
	v_cmp_class_f32_e64 vcc_lo, v8, 0x204
	v_fmac_f32_e32 v6, v5, v3
	s_delay_alu instid0(VALU_DEP_1) | instskip(NEXT) | instid1(VALU_DEP_1)
	v_add_f32_e32 v3, v8, v6
	v_cndmask_b32_e32 v7, v3, v8, vcc_lo
	s_delay_alu instid0(VALU_DEP_1) | instskip(SKIP_2) | instid1(VALU_DEP_2)
	v_cmp_eq_f32_e32 vcc_lo, 0x42b17218, v7
	v_cndmask_b32_e64 v9, 0, 0x37000000, vcc_lo
	v_cmp_neq_f32_e64 vcc_lo, 0x7f800000, |v7|
	v_sub_f32_e32 v10, v7, v9
	v_trunc_f32_e32 v7, v5
	s_delay_alu instid0(VALU_DEP_2) | instskip(NEXT) | instid1(VALU_DEP_1)
	v_mul_f32_e32 v11, 0x3fb8aa3b, v10
	v_fma_f32 v12, 0x3fb8aa3b, v10, -v11
	v_rndne_f32_e32 v13, v11
	s_delay_alu instid0(VALU_DEP_1) | instskip(SKIP_1) | instid1(VALU_DEP_1)
	v_dual_fmamk_f32 v12, v10, 0x32a5705f, v12 :: v_dual_sub_f32 v11, v11, v13
	v_sub_f32_e32 v3, v3, v8
	v_dual_add_f32 v11, v11, v12 :: v_dual_sub_f32 v3, v6, v3
	s_delay_alu instid0(VALU_DEP_1) | instskip(SKIP_2) | instid1(VALU_DEP_3)
	v_exp_f32_e32 v8, v11
	v_nop
	v_cvt_i32_f32_e32 v11, v13
	v_cndmask_b32_e32 v3, 0, v3, vcc_lo
	v_cmp_ngt_f32_e32 vcc_lo, 0xc2ce8ed0, v10
	s_delay_alu instid0(TRANS32_DEP_1) | instid1(VALU_DEP_3)
	v_ldexp_f32 v6, v8, v11
	s_delay_alu instid0(VALU_DEP_1) | instskip(NEXT) | instid1(VALU_DEP_1)
	v_dual_mul_f32 v8, 0.5, v5 :: v_dual_cndmask_b32 v6, 0, v6, vcc_lo
	v_trunc_f32_e32 v11, v8
	v_cmp_nlt_f32_e32 vcc_lo, 0x42b17218, v10
	s_delay_alu instid0(VALU_DEP_2) | instskip(NEXT) | instid1(VALU_DEP_4)
	v_cmp_neq_f32_e64 s0, v11, v8
	v_cndmask_b32_e32 v6, 0x7f800000, v6, vcc_lo
	v_cmp_eq_f32_e32 vcc_lo, v7, v5
	s_delay_alu instid0(VALU_DEP_2) | instskip(SKIP_1) | instid1(SALU_CYCLE_1)
	v_cmp_class_f32_e64 s1, v6, 0x204
	s_and_b32 s0, vcc_lo, s0
	v_dual_cndmask_b32 v7, 1.0, v4, s0 :: v_dual_add_f32 v3, v9, v3
	s_delay_alu instid0(VALU_DEP_1) | instskip(NEXT) | instid1(VALU_DEP_1)
	v_fma_f32 v3, v6, v3, v6
	v_cndmask_b32_e64 v3, v3, v6, s1
	v_cndmask_b32_e64 v6, 0x7f800000, 0, s18
	v_cmp_gt_f32_e64 s1, 0, v5
	s_delay_alu instid0(VALU_DEP_3) | instskip(SKIP_1) | instid1(SALU_CYCLE_1)
	v_bfi_b32 v3, 0x7fffffff, v3, v7
	s_xor_b32 s1, s1, s2
	v_cndmask_b32_e64 v8, 0x7f800000, 0, s1
	s_delay_alu instid0(VALU_DEP_2) | instskip(SKIP_3) | instid1(VALU_DEP_3)
	v_cndmask_b32_e32 v7, 0x7fc00000, v3, vcc_lo
	v_cmp_neq_f32_e64 vcc_lo, |v4|, 1.0
	v_cndmask_b32_e32 v6, 1.0, v6, vcc_lo
	v_cmp_gt_f32_e32 vcc_lo, 0, v4
	v_dual_cndmask_b32 v3, v3, v7, vcc_lo :: v_dual_cndmask_b32 v7, 0, v4, s0
	v_cmp_class_f32_e64 vcc_lo, v5, 0x204
	v_cmp_class_f32_e64 s0, v4, 0x204
	s_delay_alu instid0(VALU_DEP_3) | instskip(NEXT) | instid1(VALU_DEP_4)
	v_bfi_b32 v5, 0x7fffffff, v8, v7
	v_cndmask_b32_e32 v3, v3, v6, vcc_lo
	s_or_b32 vcc_lo, s2, s0
	s_delay_alu instid0(VALU_DEP_1) | instskip(SKIP_3) | instid1(VALU_DEP_3)
	v_cndmask_b32_e32 v3, v3, v5, vcc_lo
	v_cmp_o_f32_e32 vcc_lo, v4, v4
	s_wait_loadcnt 0x0
	v_cvt_f32_i32_e32 v5, v22
                                        ; implicit-def: $vgpr4
	v_cndmask_b32_e32 v3, 0x7fc00000, v3, vcc_lo
	s_delay_alu instid0(VALU_DEP_1)
	v_mul_f32_e32 v6, v3, v5
                                        ; implicit-def: $vgpr3
.LBB8_25:
	s_and_not1_saveexec_b32 s16, s16
	s_cbranch_execz .LBB8_27
; %bb.26:
	v_cvt_f32_i32_e32 v4, v4
	s_cmp_neq_f32 s5, 1.0
	s_mov_b32 s0, 0x3e76c4e1
	global_load_b32 v22, v3, s[20:21] scale_offset
	s_cselect_b32 vcc_lo, -1, 0
	v_mul_f32_e32 v4, 0.5, v4
	s_delay_alu instid0(VALU_DEP_1) | instskip(NEXT) | instid1(VALU_DEP_1)
	v_cndmask_b32_e32 v5, 1.0, v4, vcc_lo
	v_cmp_neq_f32_e32 vcc_lo, 0, v5
	v_cndmask_b32_e64 v4, 1.0, s5, vcc_lo
	s_delay_alu instid0(VALU_DEP_1) | instskip(SKIP_2) | instid1(VALU_DEP_3)
	v_frexp_mant_f32_e64 v6, |v4|
	v_cmp_lt_f32_e64 s19, |v4|, 1.0
	v_cmp_eq_f32_e64 s2, 0, v4
	v_cmp_gt_f32_e32 vcc_lo, 0x3f2aaaab, v6
	v_cndmask_b32_e64 v7, 1.0, 2.0, vcc_lo
	s_delay_alu instid0(VALU_DEP_1) | instskip(NEXT) | instid1(VALU_DEP_1)
	v_mul_f32_e32 v6, v6, v7
	v_dual_add_f32 v9, 1.0, v6 :: v_dual_add_f32 v7, -1.0, v6
	v_cmp_neq_f32_e64 s18, v5, |v5|
	s_delay_alu instid0(VALU_DEP_2)
	v_rcp_f32_e32 v12, v9
	v_add_f32_e32 v10, -1.0, v9
	s_xor_b32 s18, s18, s19
	s_delay_alu instid0(TRANS32_DEP_1) | instid1(VALU_DEP_1)
	v_dual_sub_f32 v6, v6, v10 :: v_dual_mul_f32 v13, v7, v12
	s_delay_alu instid0(VALU_DEP_1) | instskip(NEXT) | instid1(VALU_DEP_1)
	v_mul_f32_e32 v8, v9, v13
	v_fma_f32 v10, v13, v9, -v8
	s_delay_alu instid0(VALU_DEP_1) | instskip(NEXT) | instid1(VALU_DEP_1)
	v_fmac_f32_e32 v10, v13, v6
	v_add_f32_e32 v6, v8, v10
	s_delay_alu instid0(VALU_DEP_1) | instskip(NEXT) | instid1(VALU_DEP_1)
	v_dual_sub_f32 v9, v7, v6 :: v_dual_mov_b32 v11, v6
	v_pk_add_f32 v[6:7], v[6:7], v[8:9] neg_lo:[0,1] neg_hi:[0,1]
	s_delay_alu instid0(VALU_DEP_1) | instskip(NEXT) | instid1(VALU_DEP_1)
	v_pk_add_f32 v[6:7], v[6:7], v[10:11] neg_lo:[0,1] neg_hi:[0,1]
	v_add_f32_e32 v6, v6, v7
	s_delay_alu instid0(VALU_DEP_1) | instskip(NEXT) | instid1(VALU_DEP_1)
	v_add_f32_e32 v6, v9, v6
	v_mul_f32_e32 v7, v12, v6
	s_delay_alu instid0(VALU_DEP_1) | instskip(NEXT) | instid1(VALU_DEP_1)
	v_add_f32_e32 v6, v13, v7
	v_sub_f32_e32 v8, v6, v13
	s_delay_alu instid0(VALU_DEP_1) | instskip(NEXT) | instid1(VALU_DEP_1)
	v_sub_f32_e32 v18, v7, v8
	v_add_f32_e32 v8, v18, v18
	v_mul_f32_e32 v9, v6, v6
	s_delay_alu instid0(VALU_DEP_1) | instskip(NEXT) | instid1(VALU_DEP_1)
	v_fma_f32 v7, v6, v6, -v9
	v_fmac_f32_e32 v7, v6, v8
	s_delay_alu instid0(VALU_DEP_1) | instskip(NEXT) | instid1(VALU_DEP_1)
	v_add_f32_e32 v8, v9, v7
	v_dual_fmaak_f32 v10, s0, v8, 0x3e91f4c4 :: v_dual_sub_f32 v9, v8, v9
	s_delay_alu instid0(VALU_DEP_1) | instskip(SKIP_1) | instid1(VALU_DEP_2)
	v_fmaak_f32 v12, v8, v10, 0x3ecccdef
	v_cvt_f64_f32_e64 v[10:11], |v4|
	v_dual_sub_f32 v16, v7, v9 :: v_dual_mul_f32 v13, v8, v12
	s_delay_alu instid0(VALU_DEP_1) | instskip(NEXT) | instid1(VALU_DEP_1)
	v_fma_f32 v7, v8, v12, -v13
	v_fmac_f32_e32 v7, v16, v12
	s_wait_xcnt 0x0
	s_delay_alu instid0(VALU_DEP_1) | instskip(NEXT) | instid1(VALU_DEP_1)
	v_add_f32_e32 v3, v13, v7
	v_sub_f32_e32 v9, v3, v13
	v_add_f32_e32 v13, 0x3f2aaaaa, v3
	s_delay_alu instid0(VALU_DEP_2) | instskip(NEXT) | instid1(VALU_DEP_2)
	v_sub_f32_e32 v7, v7, v9
	v_add_f32_e32 v9, 0xbf2aaaaa, v13
	v_frexp_exp_i32_f64_e32 v17, v[10:11]
	s_delay_alu instid0(VALU_DEP_3) | instskip(NEXT) | instid1(VALU_DEP_3)
	v_add_f32_e32 v7, 0x31739010, v7
	v_sub_f32_e32 v9, v3, v9
	s_delay_alu instid0(VALU_DEP_1) | instskip(SKIP_1) | instid1(VALU_DEP_1)
	v_pk_mul_f32 v[10:11], v[6:7], v[8:9]
	v_pk_add_f32 v[14:15], v[6:7], v[8:9]
	v_dual_fma_f32 v12, v8, v6, -v10 :: v_dual_mov_b32 v11, v15
	s_delay_alu instid0(VALU_DEP_1) | instskip(NEXT) | instid1(VALU_DEP_1)
	v_fmac_f32_e32 v12, v8, v18
	v_fmac_f32_e32 v12, v16, v6
	s_delay_alu instid0(VALU_DEP_1) | instskip(SKIP_1) | instid1(VALU_DEP_2)
	v_pk_add_f32 v[8:9], v[10:11], v[12:13]
	v_subrev_co_ci_u32_e64 v3, null, 0, v17, vcc_lo
	v_mov_b32_e32 v14, v9
	s_delay_alu instid0(VALU_DEP_3) | instskip(NEXT) | instid1(VALU_DEP_3)
	v_dual_sub_f32 v7, v13, v9 :: v_dual_sub_f32 v11, v8, v10
	v_cvt_f32_i32_e32 v3, v3
	s_delay_alu instid0(VALU_DEP_3) | instskip(NEXT) | instid1(VALU_DEP_3)
	v_pk_mul_f32 v[16:17], v[8:9], v[14:15]
	v_add_f32_e32 v7, v15, v7
	s_delay_alu instid0(VALU_DEP_4) | instskip(NEXT) | instid1(VALU_DEP_3)
	v_sub_f32_e32 v11, v12, v11
	v_fma_f32 v10, v8, v9, -v16
	s_delay_alu instid0(VALU_DEP_1) | instskip(NEXT) | instid1(VALU_DEP_1)
	v_fmac_f32_e32 v10, v8, v7
	v_fmac_f32_e32 v10, v11, v9
	v_mul_f32_e32 v14, 0x3f317218, v3
	v_ldexp_f32 v9, v6, 1
	s_delay_alu instid0(VALU_DEP_3) | instskip(NEXT) | instid1(VALU_DEP_3)
	v_add_f32_e32 v15, v16, v10
	v_fma_f32 v7, 0x3f317218, v3, -v14
	s_delay_alu instid0(VALU_DEP_2) | instskip(NEXT) | instid1(VALU_DEP_2)
	v_dual_mov_b32 v17, v9 :: v_dual_mov_b32 v11, v15
	v_fmamk_f32 v8, v3, 0xb102e308, v7
	v_ldexp_f32 v3, v18, 1
	s_delay_alu instid0(VALU_DEP_2) | instskip(NEXT) | instid1(VALU_DEP_1)
	v_pk_add_f32 v[6:7], v[14:15], v[8:9]
	v_dual_mov_b32 v12, v15 :: v_dual_mov_b32 v13, v7
	s_delay_alu instid0(VALU_DEP_2) | instskip(NEXT) | instid1(VALU_DEP_2)
	v_dual_mov_b32 v9, v6 :: v_dual_mov_b32 v20, v7
	v_pk_add_f32 v[12:13], v[12:13], v[16:17] neg_lo:[0,1] neg_hi:[0,1]
	s_delay_alu instid0(VALU_DEP_1) | instskip(NEXT) | instid1(VALU_DEP_1)
	v_pk_add_f32 v[10:11], v[10:11], v[12:13] neg_lo:[0,1] neg_hi:[0,1]
	v_add_f32_e32 v3, v3, v10
	s_delay_alu instid0(VALU_DEP_1) | instskip(NEXT) | instid1(VALU_DEP_1)
	v_add_f32_e32 v15, v3, v11
	v_pk_add_f32 v[10:11], v[6:7], v[14:15]
	v_pk_add_f32 v[12:13], v[6:7], v[14:15] neg_lo:[0,1] neg_hi:[0,1]
	s_delay_alu instid0(VALU_DEP_2) | instskip(NEXT) | instid1(VALU_DEP_1)
	v_mov_b32_e32 v13, v11
	v_pk_add_f32 v[16:17], v[8:9], v[12:13]
	v_mov_b32_e32 v16, v11
	v_pk_add_f32 v[8:9], v[8:9], v[12:13] neg_lo:[0,1] neg_hi:[0,1]
	s_delay_alu instid0(VALU_DEP_3) | instskip(NEXT) | instid1(VALU_DEP_1)
	v_dual_mov_b32 v14, v17 :: v_dual_mov_b32 v9, v17
	v_pk_add_f32 v[18:19], v[14:15], v[6:7] neg_lo:[0,1] neg_hi:[0,1]
	v_dual_mov_b32 v7, v6 :: v_dual_mov_b32 v6, v15
	s_delay_alu instid0(VALU_DEP_2) | instskip(NEXT) | instid1(VALU_DEP_1)
	v_dual_mov_b32 v21, v18 :: v_dual_mov_b32 v3, v18
	v_pk_add_f32 v[12:13], v[16:17], v[20:21] neg_lo:[0,1] neg_hi:[0,1]
	s_delay_alu instid0(VALU_DEP_2) | instskip(SKIP_1) | instid1(VALU_DEP_3)
	v_pk_add_f32 v[10:11], v[10:11], v[2:3] neg_lo:[0,1] neg_hi:[0,1]
	v_mov_b32_e32 v10, v8
	v_pk_add_f32 v[6:7], v[6:7], v[12:13] neg_lo:[0,1] neg_hi:[0,1]
	s_delay_alu instid0(VALU_DEP_1) | instskip(NEXT) | instid1(VALU_DEP_1)
	v_pk_add_f32 v[10:11], v[10:11], v[6:7]
	v_mov_b32_e32 v12, v11
	s_delay_alu instid0(VALU_DEP_1) | instskip(NEXT) | instid1(VALU_DEP_1)
	v_pk_add_f32 v[12:13], v[10:11], v[12:13]
	v_pk_add_f32 v[14:15], v[14:15], v[12:13]
	s_delay_alu instid0(VALU_DEP_1) | instskip(NEXT) | instid1(VALU_DEP_1)
	v_dual_mov_b32 v7, v12 :: v_dual_mov_b32 v11, v14
	v_pk_add_f32 v[16:17], v[10:11], v[8:9] neg_lo:[0,1] neg_hi:[0,1]
	s_delay_alu instid0(VALU_DEP_1) | instskip(NEXT) | instid1(VALU_DEP_2)
	v_sub_f32_e32 v3, v10, v16
	v_pk_add_f32 v[6:7], v[6:7], v[16:17] neg_lo:[0,1] neg_hi:[0,1]
	s_delay_alu instid0(VALU_DEP_2) | instskip(NEXT) | instid1(VALU_DEP_1)
	v_sub_f32_e32 v3, v8, v3
	v_add_f32_e32 v3, v6, v3
	s_delay_alu instid0(VALU_DEP_1) | instskip(NEXT) | instid1(VALU_DEP_1)
	v_add_f32_e32 v3, v3, v7
	v_add_f32_e32 v6, v14, v3
	s_delay_alu instid0(VALU_DEP_1) | instskip(NEXT) | instid1(VALU_DEP_1)
	v_sub_f32_e32 v7, v6, v14
	v_dual_mul_f32 v8, v5, v6 :: v_dual_sub_f32 v3, v3, v7
	s_delay_alu instid0(VALU_DEP_1) | instskip(SKIP_1) | instid1(VALU_DEP_2)
	v_fma_f32 v6, v5, v6, -v8
	v_cmp_class_f32_e64 vcc_lo, v8, 0x204
	v_fmac_f32_e32 v6, v5, v3
	s_delay_alu instid0(VALU_DEP_1) | instskip(NEXT) | instid1(VALU_DEP_1)
	v_add_f32_e32 v3, v8, v6
	v_cndmask_b32_e32 v7, v3, v8, vcc_lo
	s_delay_alu instid0(VALU_DEP_1) | instskip(SKIP_2) | instid1(VALU_DEP_2)
	v_cmp_eq_f32_e32 vcc_lo, 0x42b17218, v7
	v_cndmask_b32_e64 v9, 0, 0x37000000, vcc_lo
	v_cmp_neq_f32_e64 vcc_lo, 0x7f800000, |v7|
	v_sub_f32_e32 v10, v7, v9
	v_trunc_f32_e32 v7, v5
	s_delay_alu instid0(VALU_DEP_2) | instskip(NEXT) | instid1(VALU_DEP_1)
	v_mul_f32_e32 v11, 0x3fb8aa3b, v10
	v_fma_f32 v12, 0x3fb8aa3b, v10, -v11
	v_rndne_f32_e32 v13, v11
	s_delay_alu instid0(VALU_DEP_1) | instskip(SKIP_1) | instid1(VALU_DEP_1)
	v_dual_fmamk_f32 v12, v10, 0x32a5705f, v12 :: v_dual_sub_f32 v11, v11, v13
	v_sub_f32_e32 v3, v3, v8
	v_dual_add_f32 v11, v11, v12 :: v_dual_sub_f32 v3, v6, v3
	s_delay_alu instid0(VALU_DEP_1) | instskip(SKIP_2) | instid1(VALU_DEP_3)
	v_exp_f32_e32 v8, v11
	v_nop
	v_cvt_i32_f32_e32 v11, v13
	v_cndmask_b32_e32 v3, 0, v3, vcc_lo
	v_cmp_ngt_f32_e32 vcc_lo, 0xc2ce8ed0, v10
	s_delay_alu instid0(TRANS32_DEP_1) | instid1(VALU_DEP_3)
	v_ldexp_f32 v6, v8, v11
	s_delay_alu instid0(VALU_DEP_1) | instskip(NEXT) | instid1(VALU_DEP_1)
	v_dual_mul_f32 v8, 0.5, v5 :: v_dual_cndmask_b32 v6, 0, v6, vcc_lo
	v_trunc_f32_e32 v11, v8
	v_cmp_nlt_f32_e32 vcc_lo, 0x42b17218, v10
	s_delay_alu instid0(VALU_DEP_2) | instskip(NEXT) | instid1(VALU_DEP_4)
	v_cmp_neq_f32_e64 s0, v11, v8
	v_cndmask_b32_e32 v6, 0x7f800000, v6, vcc_lo
	v_cmp_eq_f32_e32 vcc_lo, v7, v5
	s_delay_alu instid0(VALU_DEP_2) | instskip(SKIP_1) | instid1(SALU_CYCLE_1)
	v_cmp_class_f32_e64 s1, v6, 0x204
	s_and_b32 s0, vcc_lo, s0
	v_dual_cndmask_b32 v7, 1.0, v4, s0 :: v_dual_add_f32 v3, v9, v3
	s_delay_alu instid0(VALU_DEP_1) | instskip(NEXT) | instid1(VALU_DEP_1)
	v_fma_f32 v3, v6, v3, v6
	v_cndmask_b32_e64 v3, v3, v6, s1
	v_cndmask_b32_e64 v6, 0x7f800000, 0, s18
	v_cmp_gt_f32_e64 s1, 0, v5
	s_delay_alu instid0(VALU_DEP_3) | instskip(SKIP_1) | instid1(SALU_CYCLE_1)
	v_bfi_b32 v3, 0x7fffffff, v3, v7
	s_xor_b32 s1, s1, s2
	v_cndmask_b32_e64 v8, 0x7f800000, 0, s1
	s_delay_alu instid0(VALU_DEP_2) | instskip(SKIP_3) | instid1(VALU_DEP_3)
	v_cndmask_b32_e32 v7, 0x7fc00000, v3, vcc_lo
	v_cmp_neq_f32_e64 vcc_lo, |v4|, 1.0
	v_cndmask_b32_e32 v6, 1.0, v6, vcc_lo
	v_cmp_gt_f32_e32 vcc_lo, 0, v4
	v_dual_cndmask_b32 v3, v3, v7, vcc_lo :: v_dual_cndmask_b32 v7, 0, v4, s0
	v_cmp_class_f32_e64 vcc_lo, v5, 0x204
	v_cmp_class_f32_e64 s0, v4, 0x204
	s_delay_alu instid0(VALU_DEP_3) | instskip(NEXT) | instid1(VALU_DEP_4)
	v_bfi_b32 v5, 0x7fffffff, v8, v7
	v_cndmask_b32_e32 v3, v3, v6, vcc_lo
	s_or_b32 vcc_lo, s2, s0
	s_delay_alu instid0(VALU_DEP_1) | instskip(SKIP_3) | instid1(VALU_DEP_3)
	v_cndmask_b32_e32 v3, v3, v5, vcc_lo
	v_cmp_o_f32_e32 vcc_lo, v4, v4
	s_wait_loadcnt 0x0
	v_cvt_f32_i32_e32 v5, v22
	v_cndmask_b32_e32 v3, 0x7fc00000, v3, vcc_lo
	s_delay_alu instid0(VALU_DEP_1)
	v_mul_f32_e32 v6, v3, v5
.LBB8_27:
	s_or_b32 exec_lo, exec_lo, s16
                                        ; implicit-def: $vgpr3
                                        ; implicit-def: $vgpr4
.LBB8_28:
	s_and_not1_saveexec_b32 s16, s17
	s_cbranch_execz .LBB8_30
; %bb.29:
	v_cvt_f32_i32_e32 v4, v4
	s_cmp_neq_f32 s5, 1.0
	s_mov_b32 s0, 0x3e76c4e1
	v_lshl_add_u32 v3, s6, 1, v3
	s_cselect_b32 vcc_lo, -1, 0
	v_mul_f32_e32 v4, 0.5, v4
	global_load_b32 v22, v3, s[20:21] scale_offset
	v_cndmask_b32_e32 v5, 1.0, v4, vcc_lo
	s_delay_alu instid0(VALU_DEP_1) | instskip(SKIP_1) | instid1(VALU_DEP_1)
	v_cmp_neq_f32_e32 vcc_lo, 0, v5
	v_cndmask_b32_e64 v4, 1.0, s5, vcc_lo
	v_frexp_mant_f32_e64 v6, |v4|
	v_cmp_lt_f32_e64 s18, |v4|, 1.0
	v_cmp_eq_f32_e64 s2, 0, v4
	s_delay_alu instid0(VALU_DEP_3) | instskip(SKIP_1) | instid1(VALU_DEP_1)
	v_cmp_gt_f32_e32 vcc_lo, 0x3f2aaaab, v6
	v_cndmask_b32_e64 v7, 1.0, 2.0, vcc_lo
	v_mul_f32_e32 v6, v6, v7
	s_delay_alu instid0(VALU_DEP_1) | instskip(SKIP_1) | instid1(VALU_DEP_2)
	v_dual_add_f32 v9, 1.0, v6 :: v_dual_add_f32 v7, -1.0, v6
	v_cmp_neq_f32_e64 s17, v5, |v5|
	v_rcp_f32_e32 v12, v9
	v_add_f32_e32 v10, -1.0, v9
	s_xor_b32 s17, s17, s18
	s_delay_alu instid0(TRANS32_DEP_1) | instid1(VALU_DEP_1)
	v_dual_sub_f32 v6, v6, v10 :: v_dual_mul_f32 v13, v7, v12
	s_delay_alu instid0(VALU_DEP_1) | instskip(NEXT) | instid1(VALU_DEP_1)
	v_mul_f32_e32 v8, v9, v13
	v_fma_f32 v10, v13, v9, -v8
	s_delay_alu instid0(VALU_DEP_1) | instskip(NEXT) | instid1(VALU_DEP_1)
	v_fmac_f32_e32 v10, v13, v6
	v_add_f32_e32 v6, v8, v10
	s_delay_alu instid0(VALU_DEP_1) | instskip(NEXT) | instid1(VALU_DEP_1)
	v_dual_sub_f32 v9, v7, v6 :: v_dual_mov_b32 v11, v6
	v_pk_add_f32 v[6:7], v[6:7], v[8:9] neg_lo:[0,1] neg_hi:[0,1]
	s_delay_alu instid0(VALU_DEP_1) | instskip(NEXT) | instid1(VALU_DEP_1)
	v_pk_add_f32 v[6:7], v[6:7], v[10:11] neg_lo:[0,1] neg_hi:[0,1]
	v_add_f32_e32 v6, v6, v7
	s_delay_alu instid0(VALU_DEP_1) | instskip(NEXT) | instid1(VALU_DEP_1)
	v_add_f32_e32 v6, v9, v6
	v_mul_f32_e32 v7, v12, v6
	s_delay_alu instid0(VALU_DEP_1) | instskip(NEXT) | instid1(VALU_DEP_1)
	v_add_f32_e32 v6, v13, v7
	v_sub_f32_e32 v8, v6, v13
	s_delay_alu instid0(VALU_DEP_1) | instskip(NEXT) | instid1(VALU_DEP_1)
	v_sub_f32_e32 v18, v7, v8
	v_add_f32_e32 v8, v18, v18
	v_mul_f32_e32 v9, v6, v6
	s_delay_alu instid0(VALU_DEP_1) | instskip(NEXT) | instid1(VALU_DEP_1)
	v_fma_f32 v7, v6, v6, -v9
	v_fmac_f32_e32 v7, v6, v8
	s_delay_alu instid0(VALU_DEP_1) | instskip(NEXT) | instid1(VALU_DEP_1)
	v_add_f32_e32 v8, v9, v7
	v_dual_fmaak_f32 v10, s0, v8, 0x3e91f4c4 :: v_dual_sub_f32 v9, v8, v9
	s_delay_alu instid0(VALU_DEP_1) | instskip(SKIP_1) | instid1(VALU_DEP_2)
	v_fmaak_f32 v12, v8, v10, 0x3ecccdef
	v_cvt_f64_f32_e64 v[10:11], |v4|
	v_dual_sub_f32 v16, v7, v9 :: v_dual_mul_f32 v13, v8, v12
	s_delay_alu instid0(VALU_DEP_1) | instskip(NEXT) | instid1(VALU_DEP_1)
	v_fma_f32 v7, v8, v12, -v13
	v_fmac_f32_e32 v7, v16, v12
	s_wait_xcnt 0x0
	s_delay_alu instid0(VALU_DEP_1) | instskip(NEXT) | instid1(VALU_DEP_1)
	v_add_f32_e32 v3, v13, v7
	v_sub_f32_e32 v9, v3, v13
	v_add_f32_e32 v13, 0x3f2aaaaa, v3
	s_delay_alu instid0(VALU_DEP_2) | instskip(NEXT) | instid1(VALU_DEP_2)
	v_sub_f32_e32 v7, v7, v9
	v_add_f32_e32 v9, 0xbf2aaaaa, v13
	v_frexp_exp_i32_f64_e32 v17, v[10:11]
	s_delay_alu instid0(VALU_DEP_3) | instskip(NEXT) | instid1(VALU_DEP_3)
	v_add_f32_e32 v7, 0x31739010, v7
	v_sub_f32_e32 v9, v3, v9
	s_delay_alu instid0(VALU_DEP_1) | instskip(SKIP_1) | instid1(VALU_DEP_1)
	v_pk_mul_f32 v[10:11], v[6:7], v[8:9]
	v_pk_add_f32 v[14:15], v[6:7], v[8:9]
	v_dual_fma_f32 v12, v8, v6, -v10 :: v_dual_mov_b32 v11, v15
	s_delay_alu instid0(VALU_DEP_1) | instskip(NEXT) | instid1(VALU_DEP_1)
	v_fmac_f32_e32 v12, v8, v18
	v_fmac_f32_e32 v12, v16, v6
	s_delay_alu instid0(VALU_DEP_1) | instskip(SKIP_1) | instid1(VALU_DEP_2)
	v_pk_add_f32 v[8:9], v[10:11], v[12:13]
	v_subrev_co_ci_u32_e64 v3, null, 0, v17, vcc_lo
	v_mov_b32_e32 v14, v9
	s_delay_alu instid0(VALU_DEP_3) | instskip(NEXT) | instid1(VALU_DEP_3)
	v_dual_sub_f32 v7, v13, v9 :: v_dual_sub_f32 v11, v8, v10
	v_cvt_f32_i32_e32 v3, v3
	s_delay_alu instid0(VALU_DEP_3) | instskip(NEXT) | instid1(VALU_DEP_3)
	v_pk_mul_f32 v[16:17], v[8:9], v[14:15]
	v_add_f32_e32 v7, v15, v7
	s_delay_alu instid0(VALU_DEP_4) | instskip(NEXT) | instid1(VALU_DEP_3)
	v_sub_f32_e32 v11, v12, v11
	v_fma_f32 v10, v8, v9, -v16
	s_delay_alu instid0(VALU_DEP_1) | instskip(NEXT) | instid1(VALU_DEP_1)
	v_fmac_f32_e32 v10, v8, v7
	v_fmac_f32_e32 v10, v11, v9
	v_mul_f32_e32 v14, 0x3f317218, v3
	v_ldexp_f32 v9, v6, 1
	s_delay_alu instid0(VALU_DEP_3) | instskip(NEXT) | instid1(VALU_DEP_3)
	v_add_f32_e32 v15, v16, v10
	v_fma_f32 v7, 0x3f317218, v3, -v14
	s_delay_alu instid0(VALU_DEP_2) | instskip(NEXT) | instid1(VALU_DEP_2)
	v_dual_mov_b32 v17, v9 :: v_dual_mov_b32 v11, v15
	v_fmamk_f32 v8, v3, 0xb102e308, v7
	v_ldexp_f32 v3, v18, 1
	s_delay_alu instid0(VALU_DEP_2) | instskip(NEXT) | instid1(VALU_DEP_1)
	v_pk_add_f32 v[6:7], v[14:15], v[8:9]
	v_dual_mov_b32 v12, v15 :: v_dual_mov_b32 v13, v7
	s_delay_alu instid0(VALU_DEP_2) | instskip(NEXT) | instid1(VALU_DEP_2)
	v_dual_mov_b32 v9, v6 :: v_dual_mov_b32 v20, v7
	v_pk_add_f32 v[12:13], v[12:13], v[16:17] neg_lo:[0,1] neg_hi:[0,1]
	s_delay_alu instid0(VALU_DEP_1) | instskip(NEXT) | instid1(VALU_DEP_1)
	v_pk_add_f32 v[10:11], v[10:11], v[12:13] neg_lo:[0,1] neg_hi:[0,1]
	v_add_f32_e32 v3, v3, v10
	s_delay_alu instid0(VALU_DEP_1) | instskip(NEXT) | instid1(VALU_DEP_1)
	v_add_f32_e32 v15, v3, v11
	v_pk_add_f32 v[10:11], v[6:7], v[14:15]
	v_pk_add_f32 v[12:13], v[6:7], v[14:15] neg_lo:[0,1] neg_hi:[0,1]
	s_delay_alu instid0(VALU_DEP_2) | instskip(NEXT) | instid1(VALU_DEP_1)
	v_mov_b32_e32 v13, v11
	v_pk_add_f32 v[16:17], v[8:9], v[12:13]
	v_mov_b32_e32 v16, v11
	v_pk_add_f32 v[8:9], v[8:9], v[12:13] neg_lo:[0,1] neg_hi:[0,1]
	s_delay_alu instid0(VALU_DEP_3) | instskip(NEXT) | instid1(VALU_DEP_1)
	v_dual_mov_b32 v14, v17 :: v_dual_mov_b32 v9, v17
	v_pk_add_f32 v[18:19], v[14:15], v[6:7] neg_lo:[0,1] neg_hi:[0,1]
	v_dual_mov_b32 v7, v6 :: v_dual_mov_b32 v6, v15
	s_delay_alu instid0(VALU_DEP_2) | instskip(NEXT) | instid1(VALU_DEP_1)
	v_dual_mov_b32 v21, v18 :: v_dual_mov_b32 v3, v18
	v_pk_add_f32 v[12:13], v[16:17], v[20:21] neg_lo:[0,1] neg_hi:[0,1]
	s_delay_alu instid0(VALU_DEP_2) | instskip(SKIP_1) | instid1(VALU_DEP_3)
	v_pk_add_f32 v[10:11], v[10:11], v[2:3] neg_lo:[0,1] neg_hi:[0,1]
	v_mov_b32_e32 v10, v8
	v_pk_add_f32 v[6:7], v[6:7], v[12:13] neg_lo:[0,1] neg_hi:[0,1]
	s_delay_alu instid0(VALU_DEP_1) | instskip(NEXT) | instid1(VALU_DEP_1)
	v_pk_add_f32 v[10:11], v[10:11], v[6:7]
	v_mov_b32_e32 v12, v11
	s_delay_alu instid0(VALU_DEP_1) | instskip(NEXT) | instid1(VALU_DEP_1)
	v_pk_add_f32 v[12:13], v[10:11], v[12:13]
	v_pk_add_f32 v[14:15], v[14:15], v[12:13]
	s_delay_alu instid0(VALU_DEP_1) | instskip(NEXT) | instid1(VALU_DEP_1)
	v_dual_mov_b32 v7, v12 :: v_dual_mov_b32 v11, v14
	v_pk_add_f32 v[16:17], v[10:11], v[8:9] neg_lo:[0,1] neg_hi:[0,1]
	s_delay_alu instid0(VALU_DEP_1) | instskip(NEXT) | instid1(VALU_DEP_2)
	v_sub_f32_e32 v3, v10, v16
	v_pk_add_f32 v[6:7], v[6:7], v[16:17] neg_lo:[0,1] neg_hi:[0,1]
	s_delay_alu instid0(VALU_DEP_2) | instskip(NEXT) | instid1(VALU_DEP_1)
	v_sub_f32_e32 v3, v8, v3
	v_add_f32_e32 v3, v6, v3
	s_delay_alu instid0(VALU_DEP_1) | instskip(NEXT) | instid1(VALU_DEP_1)
	v_add_f32_e32 v3, v3, v7
	v_add_f32_e32 v6, v14, v3
	s_delay_alu instid0(VALU_DEP_1) | instskip(NEXT) | instid1(VALU_DEP_1)
	v_sub_f32_e32 v7, v6, v14
	v_dual_mul_f32 v8, v5, v6 :: v_dual_sub_f32 v3, v3, v7
	s_delay_alu instid0(VALU_DEP_1) | instskip(SKIP_1) | instid1(VALU_DEP_2)
	v_fma_f32 v6, v5, v6, -v8
	v_cmp_class_f32_e64 vcc_lo, v8, 0x204
	v_fmac_f32_e32 v6, v5, v3
	s_delay_alu instid0(VALU_DEP_1) | instskip(NEXT) | instid1(VALU_DEP_1)
	v_add_f32_e32 v3, v8, v6
	v_cndmask_b32_e32 v7, v3, v8, vcc_lo
	s_delay_alu instid0(VALU_DEP_1) | instskip(SKIP_2) | instid1(VALU_DEP_2)
	v_cmp_eq_f32_e32 vcc_lo, 0x42b17218, v7
	v_cndmask_b32_e64 v9, 0, 0x37000000, vcc_lo
	v_cmp_neq_f32_e64 vcc_lo, 0x7f800000, |v7|
	v_sub_f32_e32 v10, v7, v9
	v_trunc_f32_e32 v7, v5
	s_delay_alu instid0(VALU_DEP_2) | instskip(NEXT) | instid1(VALU_DEP_1)
	v_mul_f32_e32 v11, 0x3fb8aa3b, v10
	v_fma_f32 v12, 0x3fb8aa3b, v10, -v11
	v_rndne_f32_e32 v13, v11
	s_delay_alu instid0(VALU_DEP_1) | instskip(SKIP_1) | instid1(VALU_DEP_1)
	v_dual_fmamk_f32 v12, v10, 0x32a5705f, v12 :: v_dual_sub_f32 v11, v11, v13
	v_sub_f32_e32 v3, v3, v8
	v_dual_add_f32 v11, v11, v12 :: v_dual_sub_f32 v3, v6, v3
	s_delay_alu instid0(VALU_DEP_1) | instskip(SKIP_2) | instid1(VALU_DEP_3)
	v_exp_f32_e32 v8, v11
	v_nop
	v_cvt_i32_f32_e32 v11, v13
	v_cndmask_b32_e32 v3, 0, v3, vcc_lo
	v_cmp_ngt_f32_e32 vcc_lo, 0xc2ce8ed0, v10
	s_delay_alu instid0(TRANS32_DEP_1) | instid1(VALU_DEP_3)
	v_ldexp_f32 v6, v8, v11
	s_delay_alu instid0(VALU_DEP_1) | instskip(NEXT) | instid1(VALU_DEP_1)
	v_dual_mul_f32 v8, 0.5, v5 :: v_dual_cndmask_b32 v6, 0, v6, vcc_lo
	v_trunc_f32_e32 v11, v8
	v_cmp_nlt_f32_e32 vcc_lo, 0x42b17218, v10
	s_delay_alu instid0(VALU_DEP_2) | instskip(NEXT) | instid1(VALU_DEP_4)
	v_cmp_neq_f32_e64 s0, v11, v8
	v_cndmask_b32_e32 v6, 0x7f800000, v6, vcc_lo
	v_cmp_eq_f32_e32 vcc_lo, v7, v5
	s_delay_alu instid0(VALU_DEP_2) | instskip(SKIP_1) | instid1(SALU_CYCLE_1)
	v_cmp_class_f32_e64 s1, v6, 0x204
	s_and_b32 s0, vcc_lo, s0
	v_dual_cndmask_b32 v7, 1.0, v4, s0 :: v_dual_add_f32 v3, v9, v3
	s_delay_alu instid0(VALU_DEP_1) | instskip(NEXT) | instid1(VALU_DEP_1)
	v_fma_f32 v3, v6, v3, v6
	v_cndmask_b32_e64 v3, v3, v6, s1
	v_cndmask_b32_e64 v6, 0x7f800000, 0, s17
	v_cmp_gt_f32_e64 s1, 0, v5
	s_delay_alu instid0(VALU_DEP_3) | instskip(SKIP_1) | instid1(SALU_CYCLE_1)
	v_bfi_b32 v3, 0x7fffffff, v3, v7
	s_xor_b32 s1, s1, s2
	v_cndmask_b32_e64 v8, 0x7f800000, 0, s1
	s_delay_alu instid0(VALU_DEP_2) | instskip(SKIP_3) | instid1(VALU_DEP_3)
	v_cndmask_b32_e32 v7, 0x7fc00000, v3, vcc_lo
	v_cmp_neq_f32_e64 vcc_lo, |v4|, 1.0
	v_cndmask_b32_e32 v6, 1.0, v6, vcc_lo
	v_cmp_gt_f32_e32 vcc_lo, 0, v4
	v_dual_cndmask_b32 v3, v3, v7, vcc_lo :: v_dual_cndmask_b32 v7, 0, v4, s0
	v_cmp_class_f32_e64 vcc_lo, v5, 0x204
	v_cmp_class_f32_e64 s0, v4, 0x204
	s_delay_alu instid0(VALU_DEP_3) | instskip(NEXT) | instid1(VALU_DEP_4)
	v_bfi_b32 v5, 0x7fffffff, v8, v7
	v_cndmask_b32_e32 v3, v3, v6, vcc_lo
	s_or_b32 vcc_lo, s2, s0
	s_delay_alu instid0(VALU_DEP_1) | instskip(SKIP_3) | instid1(VALU_DEP_3)
	v_cndmask_b32_e32 v3, v3, v5, vcc_lo
	v_cmp_o_f32_e32 vcc_lo, v4, v4
	s_wait_loadcnt 0x0
	v_cvt_f32_i32_e32 v5, v22
	v_cndmask_b32_e32 v3, 0x7fc00000, v3, vcc_lo
	s_delay_alu instid0(VALU_DEP_1)
	v_mul_f32_e32 v6, v3, v5
.LBB8_30:
	s_or_b32 exec_lo, exec_lo, s16
                                        ; implicit-def: $vgpr3
                                        ; implicit-def: $vgpr4
.LBB8_31:
	s_and_not1_saveexec_b32 s7, s7
	s_cbranch_execz .LBB8_33
; %bb.32:
	v_cvt_f32_i32_e32 v4, v4
	s_cmp_neq_f32 s5, 1.0
	s_mov_b32 s0, 0x3e76c4e1
	s_delay_alu instid0(VALU_DEP_1) | instskip(SKIP_3) | instid1(VALU_DEP_1)
	v_dual_mul_f32 v4, 0.5, v4 :: v_dual_add_nc_u32 v3, s6, v3
	s_cselect_b32 vcc_lo, -1, 0
	global_load_b32 v22, v3, s[20:21] scale_offset
	v_cndmask_b32_e32 v5, 1.0, v4, vcc_lo
	v_cmp_neq_f32_e32 vcc_lo, 0, v5
	v_cndmask_b32_e64 v4, 1.0, s5, vcc_lo
	s_delay_alu instid0(VALU_DEP_1) | instskip(SKIP_2) | instid1(VALU_DEP_3)
	v_frexp_mant_f32_e64 v6, |v4|
	v_cmp_lt_f32_e64 s6, |v4|, 1.0
	v_cmp_eq_f32_e64 s2, 0, v4
	v_cmp_gt_f32_e32 vcc_lo, 0x3f2aaaab, v6
	v_cndmask_b32_e64 v7, 1.0, 2.0, vcc_lo
	s_delay_alu instid0(VALU_DEP_1) | instskip(NEXT) | instid1(VALU_DEP_1)
	v_mul_f32_e32 v6, v6, v7
	v_dual_add_f32 v9, 1.0, v6 :: v_dual_add_f32 v7, -1.0, v6
	v_cmp_neq_f32_e64 s5, v5, |v5|
	s_delay_alu instid0(VALU_DEP_2)
	v_rcp_f32_e32 v12, v9
	v_add_f32_e32 v10, -1.0, v9
	s_xor_b32 s5, s5, s6
	s_delay_alu instid0(TRANS32_DEP_1) | instid1(VALU_DEP_1)
	v_dual_sub_f32 v6, v6, v10 :: v_dual_mul_f32 v13, v7, v12
	s_delay_alu instid0(VALU_DEP_1) | instskip(NEXT) | instid1(VALU_DEP_1)
	v_mul_f32_e32 v8, v9, v13
	v_fma_f32 v10, v13, v9, -v8
	s_delay_alu instid0(VALU_DEP_1) | instskip(NEXT) | instid1(VALU_DEP_1)
	v_fmac_f32_e32 v10, v13, v6
	v_add_f32_e32 v6, v8, v10
	s_delay_alu instid0(VALU_DEP_1) | instskip(NEXT) | instid1(VALU_DEP_1)
	v_dual_sub_f32 v9, v7, v6 :: v_dual_mov_b32 v11, v6
	v_pk_add_f32 v[6:7], v[6:7], v[8:9] neg_lo:[0,1] neg_hi:[0,1]
	s_delay_alu instid0(VALU_DEP_1) | instskip(NEXT) | instid1(VALU_DEP_1)
	v_pk_add_f32 v[6:7], v[6:7], v[10:11] neg_lo:[0,1] neg_hi:[0,1]
	v_add_f32_e32 v6, v6, v7
	s_delay_alu instid0(VALU_DEP_1) | instskip(NEXT) | instid1(VALU_DEP_1)
	v_add_f32_e32 v6, v9, v6
	v_mul_f32_e32 v7, v12, v6
	s_delay_alu instid0(VALU_DEP_1) | instskip(NEXT) | instid1(VALU_DEP_1)
	v_add_f32_e32 v6, v13, v7
	v_sub_f32_e32 v8, v6, v13
	s_delay_alu instid0(VALU_DEP_1) | instskip(NEXT) | instid1(VALU_DEP_1)
	v_sub_f32_e32 v18, v7, v8
	v_add_f32_e32 v8, v18, v18
	v_mul_f32_e32 v9, v6, v6
	s_delay_alu instid0(VALU_DEP_1) | instskip(NEXT) | instid1(VALU_DEP_1)
	v_fma_f32 v7, v6, v6, -v9
	v_fmac_f32_e32 v7, v6, v8
	s_delay_alu instid0(VALU_DEP_1) | instskip(NEXT) | instid1(VALU_DEP_1)
	v_add_f32_e32 v8, v9, v7
	v_dual_fmaak_f32 v10, s0, v8, 0x3e91f4c4 :: v_dual_sub_f32 v9, v8, v9
	s_delay_alu instid0(VALU_DEP_1) | instskip(SKIP_1) | instid1(VALU_DEP_2)
	v_fmaak_f32 v12, v8, v10, 0x3ecccdef
	v_cvt_f64_f32_e64 v[10:11], |v4|
	v_dual_sub_f32 v16, v7, v9 :: v_dual_mul_f32 v13, v8, v12
	s_delay_alu instid0(VALU_DEP_1) | instskip(NEXT) | instid1(VALU_DEP_1)
	v_fma_f32 v7, v8, v12, -v13
	v_fmac_f32_e32 v7, v16, v12
	s_wait_xcnt 0x0
	s_delay_alu instid0(VALU_DEP_1) | instskip(NEXT) | instid1(VALU_DEP_1)
	v_add_f32_e32 v3, v13, v7
	v_sub_f32_e32 v9, v3, v13
	v_add_f32_e32 v13, 0x3f2aaaaa, v3
	s_delay_alu instid0(VALU_DEP_2) | instskip(NEXT) | instid1(VALU_DEP_2)
	v_sub_f32_e32 v7, v7, v9
	v_add_f32_e32 v9, 0xbf2aaaaa, v13
	v_frexp_exp_i32_f64_e32 v17, v[10:11]
	s_delay_alu instid0(VALU_DEP_3) | instskip(NEXT) | instid1(VALU_DEP_3)
	v_add_f32_e32 v7, 0x31739010, v7
	v_sub_f32_e32 v9, v3, v9
	s_delay_alu instid0(VALU_DEP_1) | instskip(SKIP_1) | instid1(VALU_DEP_2)
	v_pk_mul_f32 v[10:11], v[6:7], v[8:9]
	v_pk_add_f32 v[14:15], v[6:7], v[8:9]
	v_fma_f32 v12, v8, v6, -v10
	s_delay_alu instid0(VALU_DEP_1) | instskip(NEXT) | instid1(VALU_DEP_1)
	v_dual_fmac_f32 v12, v8, v18 :: v_dual_mov_b32 v11, v15
	v_fmac_f32_e32 v12, v16, v6
	s_delay_alu instid0(VALU_DEP_1) | instskip(SKIP_1) | instid1(VALU_DEP_2)
	v_pk_add_f32 v[8:9], v[10:11], v[12:13]
	v_subrev_co_ci_u32_e64 v3, null, 0, v17, vcc_lo
	v_mov_b32_e32 v14, v9
	s_delay_alu instid0(VALU_DEP_3) | instskip(NEXT) | instid1(VALU_DEP_3)
	v_dual_sub_f32 v7, v13, v9 :: v_dual_sub_f32 v11, v8, v10
	v_cvt_f32_i32_e32 v3, v3
	s_delay_alu instid0(VALU_DEP_3) | instskip(NEXT) | instid1(VALU_DEP_3)
	v_pk_mul_f32 v[16:17], v[8:9], v[14:15]
	v_add_f32_e32 v7, v15, v7
	s_delay_alu instid0(VALU_DEP_4) | instskip(NEXT) | instid1(VALU_DEP_3)
	v_sub_f32_e32 v11, v12, v11
	v_fma_f32 v10, v8, v9, -v16
	s_delay_alu instid0(VALU_DEP_1) | instskip(NEXT) | instid1(VALU_DEP_1)
	v_fmac_f32_e32 v10, v8, v7
	v_fmac_f32_e32 v10, v11, v9
	v_mul_f32_e32 v14, 0x3f317218, v3
	v_ldexp_f32 v9, v6, 1
	s_delay_alu instid0(VALU_DEP_3) | instskip(NEXT) | instid1(VALU_DEP_3)
	v_add_f32_e32 v15, v16, v10
	v_fma_f32 v7, 0x3f317218, v3, -v14
	s_delay_alu instid0(VALU_DEP_2) | instskip(NEXT) | instid1(VALU_DEP_2)
	v_dual_mov_b32 v17, v9 :: v_dual_mov_b32 v12, v15
	v_fmamk_f32 v8, v3, 0xb102e308, v7
	v_ldexp_f32 v3, v18, 1
	v_mov_b32_e32 v11, v15
	s_delay_alu instid0(VALU_DEP_3) | instskip(NEXT) | instid1(VALU_DEP_1)
	v_pk_add_f32 v[6:7], v[14:15], v[8:9]
	v_dual_mov_b32 v13, v7 :: v_dual_mov_b32 v9, v6
	v_mov_b32_e32 v20, v7
	s_delay_alu instid0(VALU_DEP_2) | instskip(NEXT) | instid1(VALU_DEP_1)
	v_pk_add_f32 v[12:13], v[12:13], v[16:17] neg_lo:[0,1] neg_hi:[0,1]
	v_pk_add_f32 v[10:11], v[10:11], v[12:13] neg_lo:[0,1] neg_hi:[0,1]
	s_delay_alu instid0(VALU_DEP_1) | instskip(NEXT) | instid1(VALU_DEP_1)
	v_add_f32_e32 v3, v3, v10
	v_add_f32_e32 v15, v3, v11
	s_delay_alu instid0(VALU_DEP_1) | instskip(SKIP_1) | instid1(VALU_DEP_2)
	v_pk_add_f32 v[10:11], v[6:7], v[14:15]
	v_pk_add_f32 v[12:13], v[6:7], v[14:15] neg_lo:[0,1] neg_hi:[0,1]
	v_mov_b32_e32 v13, v11
	s_delay_alu instid0(VALU_DEP_1) | instskip(SKIP_2) | instid1(VALU_DEP_3)
	v_pk_add_f32 v[16:17], v[8:9], v[12:13]
	v_mov_b32_e32 v16, v11
	v_pk_add_f32 v[8:9], v[8:9], v[12:13] neg_lo:[0,1] neg_hi:[0,1]
	v_mov_b32_e32 v14, v17
	s_delay_alu instid0(VALU_DEP_1) | instskip(NEXT) | instid1(VALU_DEP_1)
	v_pk_add_f32 v[18:19], v[14:15], v[6:7] neg_lo:[0,1] neg_hi:[0,1]
	v_dual_mov_b32 v7, v6 :: v_dual_mov_b32 v21, v18
	v_dual_mov_b32 v6, v15 :: v_dual_mov_b32 v3, v18
	s_delay_alu instid0(VALU_DEP_2) | instskip(NEXT) | instid1(VALU_DEP_2)
	v_pk_add_f32 v[12:13], v[16:17], v[20:21] neg_lo:[0,1] neg_hi:[0,1]
	v_pk_add_f32 v[10:11], v[10:11], v[2:3] neg_lo:[0,1] neg_hi:[0,1]
	v_mov_b32_e32 v10, v8
	s_delay_alu instid0(VALU_DEP_3) | instskip(NEXT) | instid1(VALU_DEP_1)
	v_pk_add_f32 v[6:7], v[6:7], v[12:13] neg_lo:[0,1] neg_hi:[0,1]
	v_pk_add_f32 v[10:11], v[10:11], v[6:7]
	s_delay_alu instid0(VALU_DEP_1) | instskip(NEXT) | instid1(VALU_DEP_1)
	v_mov_b32_e32 v12, v11
	v_pk_add_f32 v[12:13], v[10:11], v[12:13]
	s_delay_alu instid0(VALU_DEP_1) | instskip(NEXT) | instid1(VALU_DEP_1)
	v_pk_add_f32 v[14:15], v[14:15], v[12:13]
	v_dual_mov_b32 v9, v17 :: v_dual_mov_b32 v11, v14
	s_delay_alu instid0(VALU_DEP_1) | instskip(NEXT) | instid1(VALU_DEP_1)
	v_pk_add_f32 v[16:17], v[10:11], v[8:9] neg_lo:[0,1] neg_hi:[0,1]
	v_dual_mov_b32 v7, v12 :: v_dual_sub_f32 v3, v10, v16
	s_delay_alu instid0(VALU_DEP_1) | instskip(NEXT) | instid1(VALU_DEP_2)
	v_pk_add_f32 v[6:7], v[6:7], v[16:17] neg_lo:[0,1] neg_hi:[0,1]
	v_sub_f32_e32 v3, v8, v3
	s_delay_alu instid0(VALU_DEP_1) | instskip(NEXT) | instid1(VALU_DEP_1)
	v_add_f32_e32 v3, v6, v3
	v_add_f32_e32 v3, v3, v7
	s_delay_alu instid0(VALU_DEP_1) | instskip(NEXT) | instid1(VALU_DEP_1)
	v_add_f32_e32 v6, v14, v3
	v_sub_f32_e32 v7, v6, v14
	v_mul_f32_e32 v8, v5, v6
	s_delay_alu instid0(VALU_DEP_1) | instskip(SKIP_1) | instid1(VALU_DEP_2)
	v_dual_fma_f32 v6, v5, v6, -v8 :: v_dual_sub_f32 v3, v3, v7
	v_cmp_class_f32_e64 vcc_lo, v8, 0x204
	v_fmac_f32_e32 v6, v5, v3
	s_delay_alu instid0(VALU_DEP_1) | instskip(NEXT) | instid1(VALU_DEP_1)
	v_add_f32_e32 v3, v8, v6
	v_cndmask_b32_e32 v7, v3, v8, vcc_lo
	s_delay_alu instid0(VALU_DEP_1) | instskip(SKIP_2) | instid1(VALU_DEP_2)
	v_cmp_eq_f32_e32 vcc_lo, 0x42b17218, v7
	v_cndmask_b32_e64 v9, 0, 0x37000000, vcc_lo
	v_cmp_neq_f32_e64 vcc_lo, 0x7f800000, |v7|
	v_sub_f32_e32 v10, v7, v9
	v_trunc_f32_e32 v7, v5
	s_delay_alu instid0(VALU_DEP_2) | instskip(NEXT) | instid1(VALU_DEP_1)
	v_mul_f32_e32 v11, 0x3fb8aa3b, v10
	v_fma_f32 v12, 0x3fb8aa3b, v10, -v11
	v_rndne_f32_e32 v13, v11
	s_delay_alu instid0(VALU_DEP_1) | instskip(SKIP_1) | instid1(VALU_DEP_1)
	v_dual_fmamk_f32 v12, v10, 0x32a5705f, v12 :: v_dual_sub_f32 v11, v11, v13
	v_sub_f32_e32 v3, v3, v8
	v_dual_add_f32 v11, v11, v12 :: v_dual_sub_f32 v3, v6, v3
	s_delay_alu instid0(VALU_DEP_1) | instskip(SKIP_2) | instid1(VALU_DEP_3)
	v_exp_f32_e32 v8, v11
	v_nop
	v_cvt_i32_f32_e32 v11, v13
	v_cndmask_b32_e32 v3, 0, v3, vcc_lo
	v_cmp_ngt_f32_e32 vcc_lo, 0xc2ce8ed0, v10
	s_delay_alu instid0(TRANS32_DEP_1) | instid1(VALU_DEP_3)
	v_ldexp_f32 v6, v8, v11
	s_delay_alu instid0(VALU_DEP_1) | instskip(NEXT) | instid1(VALU_DEP_1)
	v_dual_mul_f32 v8, 0.5, v5 :: v_dual_cndmask_b32 v6, 0, v6, vcc_lo
	v_trunc_f32_e32 v11, v8
	v_cmp_nlt_f32_e32 vcc_lo, 0x42b17218, v10
	s_delay_alu instid0(VALU_DEP_2) | instskip(NEXT) | instid1(VALU_DEP_4)
	v_cmp_neq_f32_e64 s0, v11, v8
	v_cndmask_b32_e32 v6, 0x7f800000, v6, vcc_lo
	v_cmp_eq_f32_e32 vcc_lo, v7, v5
	s_delay_alu instid0(VALU_DEP_2) | instskip(SKIP_1) | instid1(SALU_CYCLE_1)
	v_cmp_class_f32_e64 s1, v6, 0x204
	s_and_b32 s0, vcc_lo, s0
	v_dual_cndmask_b32 v7, 1.0, v4, s0 :: v_dual_add_f32 v3, v9, v3
	s_delay_alu instid0(VALU_DEP_1) | instskip(NEXT) | instid1(VALU_DEP_1)
	v_fma_f32 v3, v6, v3, v6
	v_cndmask_b32_e64 v3, v3, v6, s1
	v_cndmask_b32_e64 v6, 0x7f800000, 0, s5
	v_cmp_gt_f32_e64 s1, 0, v5
	s_delay_alu instid0(VALU_DEP_3) | instskip(SKIP_1) | instid1(SALU_CYCLE_1)
	v_bfi_b32 v3, 0x7fffffff, v3, v7
	s_xor_b32 s1, s1, s2
	v_cndmask_b32_e64 v8, 0x7f800000, 0, s1
	s_delay_alu instid0(VALU_DEP_2) | instskip(SKIP_3) | instid1(VALU_DEP_3)
	v_cndmask_b32_e32 v7, 0x7fc00000, v3, vcc_lo
	v_cmp_neq_f32_e64 vcc_lo, |v4|, 1.0
	v_cndmask_b32_e32 v6, 1.0, v6, vcc_lo
	v_cmp_gt_f32_e32 vcc_lo, 0, v4
	v_dual_cndmask_b32 v3, v3, v7, vcc_lo :: v_dual_cndmask_b32 v7, 0, v4, s0
	v_cmp_class_f32_e64 vcc_lo, v5, 0x204
	v_cmp_class_f32_e64 s0, v4, 0x204
	s_delay_alu instid0(VALU_DEP_3) | instskip(NEXT) | instid1(VALU_DEP_4)
	v_bfi_b32 v5, 0x7fffffff, v8, v7
	v_cndmask_b32_e32 v3, v3, v6, vcc_lo
	s_or_b32 vcc_lo, s2, s0
	s_delay_alu instid0(VALU_DEP_1) | instskip(SKIP_3) | instid1(VALU_DEP_3)
	v_cndmask_b32_e32 v3, v3, v5, vcc_lo
	v_cmp_o_f32_e32 vcc_lo, v4, v4
	s_wait_loadcnt 0x0
	v_cvt_f32_i32_e32 v5, v22
	v_cndmask_b32_e32 v3, 0x7fc00000, v3, vcc_lo
	s_delay_alu instid0(VALU_DEP_1)
	v_mul_f32_e32 v6, v3, v5
.LBB8_33:
	s_or_b32 exec_lo, exec_lo, s7
	s_delay_alu instid0(VALU_DEP_1)
	v_mul_f32_e32 v4, s8, v6
	s_cmp_eq_f32 s9, 0
	s_cbranch_scc0 .LBB8_19
.LBB8_34:
	v_mov_b32_e32 v5, s10
.LBB8_35:
	s_delay_alu instid0(VALU_DEP_1) | instskip(SKIP_1) | instid1(VALU_DEP_2)
	v_and_b32_e32 v1, 0x7fffffff, v4
	v_cmp_ngt_f32_e64 s2, 0x48000000, |v4|
                                        ; implicit-def: $vgpr7
                                        ; implicit-def: $vgpr6
	v_lshrrev_b32_e32 v3, 23, v1
	s_and_saveexec_b32 s0, s2
	s_delay_alu instid0(SALU_CYCLE_1)
	s_xor_b32 s4, exec_lo, s0
	s_cbranch_execz .LBB8_37
; %bb.36:
	s_mov_b32 s0, 0x7fffff
	v_mov_b32_e32 v7, 0
	v_and_or_b32 v6, v1, s0, 0x800000
	s_mov_b64 s[0:1], 0xfe5163ab
	s_delay_alu instid0(VALU_DEP_1) | instid1(SALU_CYCLE_1)
	v_mul_u64_e32 v[8:9], s[0:1], v[6:7]
	s_delay_alu instid0(VALU_DEP_1) | instskip(SKIP_2) | instid1(VALU_DEP_3)
	v_dual_mov_b32 v10, v9 :: v_dual_mov_b32 v11, v7
	v_dual_mov_b32 v13, v7 :: v_dual_mov_b32 v15, v7
	v_dual_mov_b32 v17, v7 :: v_dual_mov_b32 v19, v7
	v_mad_nc_u64_u32 v[10:11], 0x3c439041, v6, v[10:11]
	v_add_nc_u32_e32 v9, 0xffffff88, v3
	s_delay_alu instid0(VALU_DEP_1) | instskip(NEXT) | instid1(VALU_DEP_3)
	v_cmp_lt_u32_e32 vcc_lo, 63, v9
	v_mov_b32_e32 v12, v11
	v_cndmask_b32_e64 v11, 0, 0xffffffc0, vcc_lo
	s_delay_alu instid0(VALU_DEP_2) | instskip(NEXT) | instid1(VALU_DEP_1)
	v_mad_nc_u64_u32 v[12:13], 0xdb629599, v6, v[12:13]
	v_dual_mov_b32 v14, v13 :: v_dual_cndmask_b32 v8, v12, v8, vcc_lo
	s_delay_alu instid0(VALU_DEP_1) | instskip(NEXT) | instid1(VALU_DEP_1)
	v_mad_nc_u64_u32 v[14:15], 0xf534ddc0, v6, v[14:15]
	v_dual_mov_b32 v16, v15 :: v_dual_cndmask_b32 v10, v14, v10, vcc_lo
	s_delay_alu instid0(VALU_DEP_1) | instskip(NEXT) | instid1(VALU_DEP_1)
	v_mad_nc_u64_u32 v[16:17], 0xfc2757d1, v6, v[16:17]
	v_dual_mov_b32 v18, v17 :: v_dual_cndmask_b32 v15, v16, v12
	s_delay_alu instid0(VALU_DEP_1) | instskip(SKIP_1) | instid1(VALU_DEP_2)
	v_mad_nc_u64_u32 v[18:19], 0x4e441529, v6, v[18:19]
	v_add_nc_u32_e32 v9, v11, v9
	v_dual_mov_b32 v21, v7 :: v_dual_mov_b32 v20, v19
	s_delay_alu instid0(VALU_DEP_3) | instskip(NEXT) | instid1(VALU_DEP_3)
	v_cndmask_b32_e32 v13, v18, v14, vcc_lo
	v_cmp_lt_u32_e64 s0, 31, v9
	s_delay_alu instid0(VALU_DEP_3) | instskip(NEXT) | instid1(VALU_DEP_2)
	v_mad_nc_u64_u32 v[6:7], 0xa2f9836e, v6, v[20:21]
	v_cndmask_b32_e64 v11, 0, 0xffffffe0, s0
	s_delay_alu instid0(VALU_DEP_1) | instskip(NEXT) | instid1(VALU_DEP_3)
	v_dual_cndmask_b32 v8, v10, v8, s0 :: v_dual_add_nc_u32 v9, v11, v9
	v_cndmask_b32_e32 v6, v6, v16, vcc_lo
	s_delay_alu instid0(VALU_DEP_2) | instskip(SKIP_1) | instid1(VALU_DEP_2)
	v_cmp_lt_u32_e64 s1, 31, v9
	v_cndmask_b32_e32 v7, v7, v18, vcc_lo
	v_cndmask_b32_e64 v11, 0, 0xffffffe0, s1
	s_delay_alu instid0(VALU_DEP_1) | instskip(NEXT) | instid1(VALU_DEP_3)
	v_add_nc_u32_e32 v9, v11, v9
	v_dual_cndmask_b32 v11, v6, v13, s0 :: v_dual_cndmask_b32 v6, v7, v6, s0
	v_dual_cndmask_b32 v7, v13, v15, s0 :: v_dual_cndmask_b32 v14, v15, v10, s0
	s_delay_alu instid0(VALU_DEP_3) | instskip(SKIP_1) | instid1(VALU_DEP_4)
	v_sub_nc_u32_e32 v13, 32, v9
	v_cmp_eq_u32_e32 vcc_lo, 0, v9
	v_cndmask_b32_e64 v6, v6, v11, s1
	s_delay_alu instid0(VALU_DEP_4) | instskip(SKIP_1) | instid1(VALU_DEP_2)
	v_cndmask_b32_e64 v11, v11, v7, s1
	v_cndmask_b32_e64 v7, v7, v14, s1
	v_alignbit_b32 v15, v6, v11, v13
	s_delay_alu instid0(VALU_DEP_2) | instskip(NEXT) | instid1(VALU_DEP_1)
	v_alignbit_b32 v12, v11, v7, v13
	v_dual_cndmask_b32 v6, v15, v6 :: v_dual_cndmask_b32 v9, v12, v11
	s_delay_alu instid0(VALU_DEP_1) | instskip(SKIP_1) | instid1(VALU_DEP_3)
	v_bfe_u32 v10, v6, 29, 1
	v_cndmask_b32_e64 v8, v14, v8, s1
	v_alignbit_b32 v11, v6, v9, 30
	s_delay_alu instid0(VALU_DEP_3) | instskip(NEXT) | instid1(VALU_DEP_3)
	v_sub_nc_u32_e32 v12, 0, v10
	v_alignbit_b32 v13, v7, v8, v13
	s_delay_alu instid0(VALU_DEP_1) | instskip(NEXT) | instid1(VALU_DEP_1)
	v_dual_cndmask_b32 v7, v13, v7, vcc_lo :: v_dual_bitop2_b32 v11, v11, v12 bitop3:0x14
	v_clz_i32_u32_e32 v13, v11
	s_delay_alu instid0(VALU_DEP_2) | instskip(SKIP_1) | instid1(VALU_DEP_3)
	v_alignbit_b32 v9, v9, v7, 30
	v_alignbit_b32 v7, v7, v8, 30
	v_min_u32_e32 v13, 32, v13
	s_delay_alu instid0(VALU_DEP_3) | instskip(NEXT) | instid1(VALU_DEP_3)
	v_xor_b32_e32 v8, v9, v12
	v_dual_lshrrev_b32 v12, 29, v6 :: v_dual_bitop2_b32 v7, v7, v12 bitop3:0x14
	s_delay_alu instid0(VALU_DEP_3) | instskip(NEXT) | instid1(VALU_DEP_1)
	v_dual_sub_nc_u32 v9, 31, v13 :: v_dual_lshlrev_b32 v14, 23, v13
	v_alignbit_b32 v11, v11, v8, v9
	s_delay_alu instid0(VALU_DEP_3) | instskip(NEXT) | instid1(VALU_DEP_4)
	v_alignbit_b32 v7, v8, v7, v9
	v_lshlrev_b32_e32 v8, 31, v12
	s_delay_alu instid0(VALU_DEP_2) | instskip(NEXT) | instid1(VALU_DEP_2)
	v_alignbit_b32 v9, v11, v7, 9
	v_dual_lshrrev_b32 v11, 9, v11 :: v_dual_bitop2_b32 v12, 0.5, v8 bitop3:0x54
	v_or_b32_e32 v8, 0x33000000, v8
	s_delay_alu instid0(VALU_DEP_3) | instskip(NEXT) | instid1(VALU_DEP_3)
	v_clz_i32_u32_e32 v15, v9
	v_sub_nc_u32_e32 v12, v12, v14
	s_delay_alu instid0(VALU_DEP_2) | instskip(NEXT) | instid1(VALU_DEP_1)
	v_min_u32_e32 v14, 32, v15
	v_add_lshl_u32 v13, v14, v13, 23
	s_delay_alu instid0(VALU_DEP_3) | instskip(SKIP_1) | instid1(VALU_DEP_2)
	v_or_b32_e32 v11, v11, v12
	v_not_b32_e32 v12, v14
	v_dual_mul_f32 v15, 0x3fc90fda, v11 :: v_dual_sub_nc_u32 v8, v8, v13
	s_delay_alu instid0(VALU_DEP_2) | instskip(NEXT) | instid1(VALU_DEP_2)
	v_alignbit_b32 v7, v9, v7, v12
	v_fma_f32 v9, 0x3fc90fda, v11, -v15
	s_delay_alu instid0(VALU_DEP_2) | instskip(NEXT) | instid1(VALU_DEP_2)
	v_lshrrev_b32_e32 v7, 9, v7
	v_fmamk_f32 v9, v11, 0x33a22168, v9
	s_delay_alu instid0(VALU_DEP_2) | instskip(NEXT) | instid1(VALU_DEP_1)
	v_or_b32_e32 v7, v8, v7
	v_fmac_f32_e32 v9, 0x3fc90fda, v7
	s_delay_alu instid0(VALU_DEP_1) | instskip(NEXT) | instid1(VALU_DEP_1)
	v_dual_add_f32 v6, v15, v9 :: v_dual_lshrrev_b32 v7, 30, v6
	v_add_nc_u32_e32 v7, v10, v7
	s_or_saveexec_b32 s0, s4
	v_mul_f32_e64 v10, 0x3f22f983, |v4|
	s_xor_b32 exec_lo, exec_lo, s0
	s_branch .LBB8_38
.LBB8_37:
	s_or_saveexec_b32 s0, s4
	v_mul_f32_e64 v10, 0x3f22f983, |v4|
	s_xor_b32 exec_lo, exec_lo, s0
.LBB8_38:
	s_delay_alu instid0(VALU_DEP_1) | instskip(NEXT) | instid1(VALU_DEP_1)
	v_rndne_f32_e32 v7, v10
	v_fma_f32 v6, 0xbfc90fda, v7, |v4|
	s_delay_alu instid0(VALU_DEP_1) | instskip(NEXT) | instid1(VALU_DEP_1)
	v_fmamk_f32 v6, v7, 0xb3a22168, v6
	v_fmamk_f32 v6, v7, 0xa7c234c4, v6
	v_cvt_i32_f32_e32 v7, v7
; %bb.39:
	s_or_b32 exec_lo, exec_lo, s0
                                        ; implicit-def: $vgpr9
                                        ; implicit-def: $vgpr8
	s_and_saveexec_b32 s0, s2
	s_delay_alu instid0(SALU_CYCLE_1)
	s_xor_b32 s2, exec_lo, s0
	s_cbranch_execz .LBB8_41
; %bb.40:
	s_mov_b32 s0, 0x7fffff
	v_mov_b32_e32 v9, 0
	v_and_or_b32 v8, v1, s0, 0x800000
	s_mov_b64 s[0:1], 0xfe5163ab
	v_add_nc_u32_e32 v3, 0xffffff88, v3
	s_delay_alu instid0(VALU_DEP_2) | instskip(NEXT) | instid1(VALU_DEP_2)
	v_mul_u64_e32 v[10:11], s[0:1], v[8:9]
	v_cmp_lt_u32_e32 vcc_lo, 63, v3
	s_delay_alu instid0(VALU_DEP_2) | instskip(SKIP_2) | instid1(VALU_DEP_3)
	v_dual_mov_b32 v12, v11 :: v_dual_mov_b32 v13, v9
	v_dual_mov_b32 v15, v9 :: v_dual_mov_b32 v17, v9
	;; [unrolled: 1-line block ×3, first 2 shown]
	v_mad_nc_u64_u32 v[12:13], 0x3c439041, v8, v[12:13]
	v_cndmask_b32_e64 v11, 0, 0xffffffc0, vcc_lo
	s_delay_alu instid0(VALU_DEP_1) | instskip(NEXT) | instid1(VALU_DEP_3)
	v_dual_mov_b32 v23, v9 :: v_dual_add_nc_u32 v3, v11, v3
	v_mov_b32_e32 v14, v13
	s_delay_alu instid0(VALU_DEP_2) | instskip(NEXT) | instid1(VALU_DEP_2)
	v_cmp_lt_u32_e64 s0, 31, v3
	v_mad_nc_u64_u32 v[14:15], 0xdb629599, v8, v[14:15]
	s_delay_alu instid0(VALU_DEP_2) | instskip(NEXT) | instid1(VALU_DEP_1)
	v_cndmask_b32_e64 v11, 0, 0xffffffe0, s0
	v_add_nc_u32_e32 v3, v11, v3
	s_delay_alu instid0(VALU_DEP_3) | instskip(NEXT) | instid1(VALU_DEP_2)
	v_mov_b32_e32 v16, v15
	v_cmp_lt_u32_e64 s1, 31, v3
	v_cndmask_b32_e32 v10, v14, v10, vcc_lo
	s_delay_alu instid0(VALU_DEP_3) | instskip(NEXT) | instid1(VALU_DEP_3)
	v_mad_nc_u64_u32 v[16:17], 0xf534ddc0, v8, v[16:17]
	v_cndmask_b32_e64 v11, 0, 0xffffffe0, s1
	s_delay_alu instid0(VALU_DEP_1) | instskip(NEXT) | instid1(VALU_DEP_3)
	v_dual_add_nc_u32 v3, v11, v3 :: v_dual_cndmask_b32 v11, v16, v12, vcc_lo
	v_mov_b32_e32 v18, v17
	s_delay_alu instid0(VALU_DEP_1) | instskip(NEXT) | instid1(VALU_DEP_1)
	v_mad_nc_u64_u32 v[18:19], 0xfc2757d1, v8, v[18:19]
	v_dual_mov_b32 v20, v19 :: v_dual_cndmask_b32 v15, v18, v14
	s_delay_alu instid0(VALU_DEP_1) | instskip(NEXT) | instid1(VALU_DEP_1)
	v_mad_nc_u64_u32 v[20:21], 0x4e441529, v8, v[20:21]
	v_dual_mov_b32 v22, v21 :: v_dual_cndmask_b32 v13, v20, v16
	s_delay_alu instid0(VALU_DEP_1) | instskip(NEXT) | instid1(VALU_DEP_1)
	v_mad_nc_u64_u32 v[8:9], 0xa2f9836e, v8, v[22:23]
	v_dual_cndmask_b32 v8, v8, v18 :: v_dual_cndmask_b32 v9, v9, v20
	v_cmp_eq_u32_e32 vcc_lo, 0, v3
	s_delay_alu instid0(VALU_DEP_2) | instskip(SKIP_2) | instid1(VALU_DEP_3)
	v_dual_cndmask_b32 v12, v8, v13, s0 :: v_dual_cndmask_b32 v8, v9, v8, s0
	v_cndmask_b32_e64 v9, v13, v15, s0
	v_sub_nc_u32_e32 v13, 32, v3
	v_dual_cndmask_b32 v15, v15, v11, s0 :: v_dual_cndmask_b32 v8, v8, v12, s1
	s_delay_alu instid0(VALU_DEP_3) | instskip(NEXT) | instid1(VALU_DEP_1)
	v_cndmask_b32_e64 v12, v12, v9, s1
	v_alignbit_b32 v16, v8, v12, v13
	s_delay_alu instid0(VALU_DEP_1) | instskip(NEXT) | instid1(VALU_DEP_1)
	v_dual_cndmask_b32 v9, v9, v15, s1 :: v_dual_cndmask_b32 v3, v16, v8, vcc_lo
	v_alignbit_b32 v14, v12, v9, v13
	v_cndmask_b32_e64 v8, v11, v10, s0
	s_delay_alu instid0(VALU_DEP_3) | instskip(NEXT) | instid1(VALU_DEP_3)
	v_bfe_u32 v11, v3, 29, 1
	v_cndmask_b32_e32 v10, v14, v12, vcc_lo
	s_delay_alu instid0(VALU_DEP_2) | instskip(NEXT) | instid1(VALU_DEP_2)
	v_dual_cndmask_b32 v8, v15, v8, s1 :: v_dual_sub_nc_u32 v14, 0, v11
	v_alignbit_b32 v12, v3, v10, 30
	s_delay_alu instid0(VALU_DEP_2) | instskip(NEXT) | instid1(VALU_DEP_1)
	v_alignbit_b32 v13, v9, v8, v13
	v_dual_cndmask_b32 v9, v13, v9, vcc_lo :: v_dual_bitop2_b32 v12, v12, v14 bitop3:0x14
	s_delay_alu instid0(VALU_DEP_1) | instskip(NEXT) | instid1(VALU_DEP_2)
	v_clz_i32_u32_e32 v13, v12
	v_alignbit_b32 v10, v10, v9, 30
	v_alignbit_b32 v8, v9, v8, 30
	s_delay_alu instid0(VALU_DEP_3) | instskip(NEXT) | instid1(VALU_DEP_3)
	v_min_u32_e32 v13, 32, v13
	v_xor_b32_e32 v9, v10, v14
	s_delay_alu instid0(VALU_DEP_3) | instskip(NEXT) | instid1(VALU_DEP_3)
	v_dual_lshrrev_b32 v14, 29, v3 :: v_dual_bitop2_b32 v8, v8, v14 bitop3:0x14
	v_dual_lshrrev_b32 v3, 30, v3 :: v_dual_sub_nc_u32 v10, 31, v13
	v_lshlrev_b32_e32 v15, 23, v13
	s_delay_alu instid0(VALU_DEP_2) | instskip(NEXT) | instid1(VALU_DEP_4)
	v_alignbit_b32 v12, v12, v9, v10
	v_alignbit_b32 v8, v9, v8, v10
	v_lshlrev_b32_e32 v9, 31, v14
	s_delay_alu instid0(VALU_DEP_2) | instskip(NEXT) | instid1(VALU_DEP_2)
	v_alignbit_b32 v10, v12, v8, 9
	v_dual_lshrrev_b32 v12, 9, v12 :: v_dual_bitop2_b32 v14, 0.5, v9 bitop3:0x54
	v_or_b32_e32 v9, 0x33000000, v9
	s_delay_alu instid0(VALU_DEP_3) | instskip(NEXT) | instid1(VALU_DEP_3)
	v_clz_i32_u32_e32 v16, v10
	v_sub_nc_u32_e32 v14, v14, v15
	s_delay_alu instid0(VALU_DEP_2) | instskip(NEXT) | instid1(VALU_DEP_1)
	v_min_u32_e32 v15, 32, v16
	v_add_lshl_u32 v13, v15, v13, 23
	s_delay_alu instid0(VALU_DEP_1) | instskip(SKIP_1) | instid1(VALU_DEP_1)
	v_dual_sub_nc_u32 v9, v9, v13 :: v_dual_bitop2_b32 v12, v12, v14 bitop3:0x54
	v_not_b32_e32 v14, v15
	v_alignbit_b32 v8, v10, v8, v14
	s_delay_alu instid0(VALU_DEP_1) | instskip(NEXT) | instid1(VALU_DEP_4)
	v_lshrrev_b32_e32 v8, 9, v8
	v_mul_f32_e32 v16, 0x3fc90fda, v12
	s_delay_alu instid0(VALU_DEP_2) | instskip(NEXT) | instid1(VALU_DEP_2)
	v_or_b32_e32 v8, v9, v8
	v_fma_f32 v10, 0x3fc90fda, v12, -v16
	s_delay_alu instid0(VALU_DEP_1) | instskip(NEXT) | instid1(VALU_DEP_1)
	v_dual_fmamk_f32 v10, v12, 0x33a22168, v10 :: v_dual_add_nc_u32 v9, v11, v3
	v_fmac_f32_e32 v10, 0x3fc90fda, v8
	s_delay_alu instid0(VALU_DEP_1)
	v_add_f32_e32 v8, v16, v10
                                        ; implicit-def: $vgpr10
	s_and_not1_saveexec_b32 s0, s2
	s_cbranch_execnz .LBB8_42
	s_branch .LBB8_43
.LBB8_41:
	s_and_not1_saveexec_b32 s0, s2
.LBB8_42:
	v_rndne_f32_e32 v3, v10
	s_delay_alu instid0(VALU_DEP_1) | instskip(SKIP_1) | instid1(VALU_DEP_2)
	v_fma_f32 v8, 0xbfc90fda, v3, |v4|
	v_cvt_i32_f32_e32 v9, v3
	v_fmamk_f32 v8, v3, 0xb3a22168, v8
	s_delay_alu instid0(VALU_DEP_1)
	v_fmamk_f32 v8, v3, 0xa7c234c4, v8
.LBB8_43:
	s_or_b32 exec_lo, exec_lo, s0
	v_ashrrev_i32_e32 v3, 31, v2
	s_lshr_b32 s0, s3, 31
	s_mov_b32 s2, 0xb94c1982
	s_add_co_i32 s0, s3, s0
	s_mov_b32 s3, 0x37d75334
	s_ashr_i32 s0, s0, 1
	v_lshl_add_u64 v[10:11], v[2:3], 1, s[12:13]
	s_ashr_i32 s1, s0, 31
	v_mul_f32_e32 v3, v8, v8
	s_lshl_b64 s[0:1], s[0:1], 1
	s_delay_alu instid0(VALU_DEP_2) | instid1(SALU_CYCLE_1)
	v_add_nc_u64_e32 v[10:11], s[0:1], v[10:11]
	s_clause 0x1
	global_load_u16 v12, v[10:11], off
	global_load_u16 v13, v2, s[12:13] scale_offset
	s_wait_xcnt 0x0
	v_dual_mul_f32 v2, v6, v6 :: v_dual_bitop2_b32 v10, 1, v7 bitop3:0x40
	v_lshlrev_b32_e32 v7, 30, v7
	v_fmaak_f32 v15, s2, v3, 0x3c0881c4
	v_fmaak_f32 v16, s3, v3, 0xbab64f3b
	s_delay_alu instid0(VALU_DEP_4) | instskip(SKIP_1) | instid1(VALU_DEP_4)
	v_fmaak_f32 v14, s3, v2, 0xbab64f3b
	v_cmp_eq_u32_e32 vcc_lo, 0, v10
	v_fmaak_f32 v15, v3, v15, 0xbe2aaa9d
	s_delay_alu instid0(VALU_DEP_1) | instskip(NEXT) | instid1(VALU_DEP_1)
	v_dual_fmaak_f32 v14, v2, v14, 0x3d2aabf7 :: v_dual_mul_f32 v15, v3, v15
	v_dual_fmaak_f32 v11, s2, v2, 0x3c0881c4 :: v_dual_fmac_f32 v8, v8, v15
	s_delay_alu instid0(VALU_DEP_1) | instskip(SKIP_1) | instid1(VALU_DEP_2)
	v_fmaak_f32 v11, v2, v11, 0xbe2aaa9d
	v_dual_lshlrev_b32 v9, 30, v9 :: v_dual_bitop2_b32 v17, 1, v9 bitop3:0x40
	v_dual_fmaak_f32 v16, v3, v16, 0x3d2aabf7 :: v_dual_mul_f32 v11, v2, v11
	v_xor_b32_e32 v1, v1, v4
	s_delay_alu instid0(VALU_DEP_3) | instskip(NEXT) | instid1(VALU_DEP_3)
	v_and_b32_e32 v9, 0x80000000, v9
	v_fmaak_f32 v16, v3, v16, 0xbf000004
	s_delay_alu instid0(VALU_DEP_4) | instskip(NEXT) | instid1(VALU_DEP_2)
	v_fmac_f32_e32 v6, v6, v11
	v_fma_f32 v3, v3, v16, 1.0
	v_fmaak_f32 v14, v2, v14, 0xbf000004
	s_delay_alu instid0(VALU_DEP_1) | instskip(NEXT) | instid1(VALU_DEP_1)
	v_fma_f32 v2, v2, v14, 1.0
	v_cndmask_b32_e64 v2, -v6, v2, vcc_lo
	v_cmp_eq_u32_e32 vcc_lo, 0, v17
	s_delay_alu instid0(VALU_DEP_2) | instskip(SKIP_2) | instid1(VALU_DEP_2)
	v_bitop3_b32 v2, v7, v2, 0x80000000 bitop3:0x6c
	v_cndmask_b32_e32 v3, v3, v8, vcc_lo
	v_cmp_class_f32_e64 vcc_lo, v4, 0x1f8
	v_xor3_b32 v1, v1, v9, v3
	s_wait_loadcnt 0x1
	v_cvt_f32_f16_e32 v7, v12
	s_wait_loadcnt 0x0
	v_cvt_f32_f16_e32 v8, v13
	v_cndmask_b32_e32 v4, 0x7fc00000, v2, vcc_lo
	v_dual_cndmask_b32 v2, 0x7fc00000, v1 :: v_dual_ashrrev_i32 v1, 31, v0
	s_delay_alu instid0(VALU_DEP_1) | instskip(NEXT) | instid1(VALU_DEP_2)
	v_mul_f32_e32 v6, v5, v2
	v_lshl_add_u64 v[2:3], v[0:1], 1, s[14:15]
	s_delay_alu instid0(VALU_DEP_2) | instskip(SKIP_1) | instid1(VALU_DEP_3)
	v_dual_mul_f32 v1, v5, v4 :: v_dual_mul_f32 v4, v6, v7
	v_mul_f32_e32 v5, v6, v8
	v_add_nc_u64_e32 v[2:3], s[0:1], v[2:3]
	s_delay_alu instid0(VALU_DEP_3) | instskip(NEXT) | instid1(VALU_DEP_3)
	v_fma_mixlo_f16 v4, v1, v13, -v4 op_sel_hi:[0,1,0]
	v_fma_mixlo_f16 v1, v1, v12, v5 op_sel_hi:[0,1,0]
	s_clause 0x1
	global_store_b16 v0, v4, s[14:15] scale_offset
	global_store_b16 v[2:3], v1, off
.LBB8_44:
	s_endpgm
	.section	.rodata,"a",@progbits
	.p2align	6, 0x0
	.amdhsa_kernel _ZL10rope_multiILb1ELb0E6__halfEvPKT1_PS1_iiiiiiiiiiPKifff14rope_corr_dimsfPKf14mrope_sectionsb
		.amdhsa_group_segment_fixed_size 0
		.amdhsa_private_segment_fixed_size 0
		.amdhsa_kernarg_size 376
		.amdhsa_user_sgpr_count 2
		.amdhsa_user_sgpr_dispatch_ptr 0
		.amdhsa_user_sgpr_queue_ptr 0
		.amdhsa_user_sgpr_kernarg_segment_ptr 1
		.amdhsa_user_sgpr_dispatch_id 0
		.amdhsa_user_sgpr_kernarg_preload_length 0
		.amdhsa_user_sgpr_kernarg_preload_offset 0
		.amdhsa_user_sgpr_private_segment_size 0
		.amdhsa_wavefront_size32 1
		.amdhsa_uses_dynamic_stack 0
		.amdhsa_enable_private_segment 0
		.amdhsa_system_sgpr_workgroup_id_x 1
		.amdhsa_system_sgpr_workgroup_id_y 1
		.amdhsa_system_sgpr_workgroup_id_z 0
		.amdhsa_system_sgpr_workgroup_info 0
		.amdhsa_system_vgpr_workitem_id 1
		.amdhsa_next_free_vgpr 25
		.amdhsa_next_free_sgpr 25
		.amdhsa_named_barrier_count 0
		.amdhsa_reserve_vcc 1
		.amdhsa_float_round_mode_32 0
		.amdhsa_float_round_mode_16_64 0
		.amdhsa_float_denorm_mode_32 3
		.amdhsa_float_denorm_mode_16_64 3
		.amdhsa_fp16_overflow 0
		.amdhsa_memory_ordered 1
		.amdhsa_forward_progress 1
		.amdhsa_inst_pref_size 105
		.amdhsa_round_robin_scheduling 0
		.amdhsa_exception_fp_ieee_invalid_op 0
		.amdhsa_exception_fp_denorm_src 0
		.amdhsa_exception_fp_ieee_div_zero 0
		.amdhsa_exception_fp_ieee_overflow 0
		.amdhsa_exception_fp_ieee_underflow 0
		.amdhsa_exception_fp_ieee_inexact 0
		.amdhsa_exception_int_div_zero 0
	.end_amdhsa_kernel
	.section	.text._ZL10rope_multiILb1ELb0E6__halfEvPKT1_PS1_iiiiiiiiiiPKifff14rope_corr_dimsfPKf14mrope_sectionsb,"axG",@progbits,_ZL10rope_multiILb1ELb0E6__halfEvPKT1_PS1_iiiiiiiiiiPKifff14rope_corr_dimsfPKf14mrope_sectionsb,comdat
.Lfunc_end8:
	.size	_ZL10rope_multiILb1ELb0E6__halfEvPKT1_PS1_iiiiiiiiiiPKifff14rope_corr_dimsfPKf14mrope_sectionsb, .Lfunc_end8-_ZL10rope_multiILb1ELb0E6__halfEvPKT1_PS1_iiiiiiiiiiPKifff14rope_corr_dimsfPKf14mrope_sectionsb
                                        ; -- End function
	.set _ZL10rope_multiILb1ELb0E6__halfEvPKT1_PS1_iiiiiiiiiiPKifff14rope_corr_dimsfPKf14mrope_sectionsb.num_vgpr, 25
	.set _ZL10rope_multiILb1ELb0E6__halfEvPKT1_PS1_iiiiiiiiiiPKifff14rope_corr_dimsfPKf14mrope_sectionsb.num_agpr, 0
	.set _ZL10rope_multiILb1ELb0E6__halfEvPKT1_PS1_iiiiiiiiiiPKifff14rope_corr_dimsfPKf14mrope_sectionsb.numbered_sgpr, 25
	.set _ZL10rope_multiILb1ELb0E6__halfEvPKT1_PS1_iiiiiiiiiiPKifff14rope_corr_dimsfPKf14mrope_sectionsb.num_named_barrier, 0
	.set _ZL10rope_multiILb1ELb0E6__halfEvPKT1_PS1_iiiiiiiiiiPKifff14rope_corr_dimsfPKf14mrope_sectionsb.private_seg_size, 0
	.set _ZL10rope_multiILb1ELb0E6__halfEvPKT1_PS1_iiiiiiiiiiPKifff14rope_corr_dimsfPKf14mrope_sectionsb.uses_vcc, 1
	.set _ZL10rope_multiILb1ELb0E6__halfEvPKT1_PS1_iiiiiiiiiiPKifff14rope_corr_dimsfPKf14mrope_sectionsb.uses_flat_scratch, 0
	.set _ZL10rope_multiILb1ELb0E6__halfEvPKT1_PS1_iiiiiiiiiiPKifff14rope_corr_dimsfPKf14mrope_sectionsb.has_dyn_sized_stack, 0
	.set _ZL10rope_multiILb1ELb0E6__halfEvPKT1_PS1_iiiiiiiiiiPKifff14rope_corr_dimsfPKf14mrope_sectionsb.has_recursion, 0
	.set _ZL10rope_multiILb1ELb0E6__halfEvPKT1_PS1_iiiiiiiiiiPKifff14rope_corr_dimsfPKf14mrope_sectionsb.has_indirect_call, 0
	.section	.AMDGPU.csdata,"",@progbits
; Kernel info:
; codeLenInByte = 13392
; TotalNumSgprs: 27
; NumVgprs: 25
; ScratchSize: 0
; MemoryBound: 0
; FloatMode: 240
; IeeeMode: 1
; LDSByteSize: 0 bytes/workgroup (compile time only)
; SGPRBlocks: 0
; VGPRBlocks: 1
; NumSGPRsForWavesPerEU: 27
; NumVGPRsForWavesPerEU: 25
; NamedBarCnt: 0
; Occupancy: 16
; WaveLimiterHint : 0
; COMPUTE_PGM_RSRC2:SCRATCH_EN: 0
; COMPUTE_PGM_RSRC2:USER_SGPR: 2
; COMPUTE_PGM_RSRC2:TRAP_HANDLER: 0
; COMPUTE_PGM_RSRC2:TGID_X_EN: 1
; COMPUTE_PGM_RSRC2:TGID_Y_EN: 1
; COMPUTE_PGM_RSRC2:TGID_Z_EN: 0
; COMPUTE_PGM_RSRC2:TIDIG_COMP_CNT: 1
	.section	.text._ZL10rope_multiILb1ELb1E6__halfEvPKT1_PS1_iiiiiiiiiiPKifff14rope_corr_dimsfPKf14mrope_sectionsb,"axG",@progbits,_ZL10rope_multiILb1ELb1E6__halfEvPKT1_PS1_iiiiiiiiiiPKifff14rope_corr_dimsfPKf14mrope_sectionsb,comdat
	.globl	_ZL10rope_multiILb1ELb1E6__halfEvPKT1_PS1_iiiiiiiiiiPKifff14rope_corr_dimsfPKf14mrope_sectionsb ; -- Begin function _ZL10rope_multiILb1ELb1E6__halfEvPKT1_PS1_iiiiiiiiiiPKifff14rope_corr_dimsfPKf14mrope_sectionsb
	.p2align	8
	.type	_ZL10rope_multiILb1ELb1E6__halfEvPKT1_PS1_iiiiiiiiiiPKifff14rope_corr_dimsfPKf14mrope_sectionsb,@function
_ZL10rope_multiILb1ELb1E6__halfEvPKT1_PS1_iiiiiiiiiiPKifff14rope_corr_dimsfPKf14mrope_sectionsb: ; @_ZL10rope_multiILb1ELb1E6__halfEvPKT1_PS1_iiiiiiiiiiPKifff14rope_corr_dimsfPKf14mrope_sectionsb
; %bb.0:
	s_clause 0x1
	s_load_u16 s3, s[0:1], 0x86
	s_load_b256 s[4:11], s[0:1], 0x10
	s_bfe_u32 s2, ttmp6, 0x40010
	s_bfe_u32 s13, ttmp6, 0x40004
	s_add_co_i32 s2, s2, 1
	v_bfe_u32 v1, v0, 10, 10
	s_mul_i32 s12, ttmp7, s2
	s_getreg_b32 s2, hwreg(HW_REG_IB_STS2, 6, 4)
	s_add_co_i32 s13, s13, s12
	s_cmp_eq_u32 s2, 0
	s_cselect_b32 s12, ttmp7, s13
	s_wait_kmcnt 0x0
	s_mul_i32 s12, s12, s3
	s_mov_b32 s3, exec_lo
	v_add_lshl_u32 v4, s12, v1, 1
	s_delay_alu instid0(VALU_DEP_1)
	v_cmpx_gt_i32_e64 s4, v4
	s_cbranch_execz .LBB9_44
; %bb.1:
	s_add_nc_u64 s[12:13], s[0:1], 0x78
	s_bfe_u32 s4, ttmp6, 0x4000c
	s_load_b32 s3, s[12:13], 0xc
	s_add_co_i32 s4, s4, 1
	s_wait_xcnt 0x0
	s_and_b32 s12, ttmp6, 15
	s_mul_i32 s4, ttmp9, s4
	v_and_b32_e32 v0, 0x3ff, v0
	s_add_co_i32 s12, s12, s4
	s_load_b64 s[20:21], s[0:1], 0x30
	s_wait_kmcnt 0x0
	s_and_b32 s3, s3, 0xffff
	s_cmp_eq_u32 s2, 0
	s_mul_i32 s2, s6, s5
	s_cselect_b32 s4, ttmp9, s12
	s_abs_i32 s12, s2
	v_mad_u32 v0, s4, s3, v0
	s_cvt_f32_u32 s13, s12
	s_sub_co_i32 s4, 0, s12
	s_delay_alu instid0(SALU_CYCLE_2) | instskip(SKIP_1) | instid1(TRANS32_DEP_1)
	v_rcp_iflag_f32_e32 v1, s13
	v_nop
	v_readfirstlane_b32 s3, v1
	s_delay_alu instid0(VALU_DEP_3) | instskip(SKIP_1) | instid1(VALU_DEP_1)
	v_sub_nc_u32_e32 v1, 0, v0
	s_mul_f32 s3, s3, 0x4f7ffffe
	v_max_i32_e32 v1, v0, v1
	s_delay_alu instid0(SALU_CYCLE_2) | instskip(NEXT) | instid1(SALU_CYCLE_3)
	s_cvt_u32_f32 s3, s3
	s_mul_i32 s4, s4, s3
	s_delay_alu instid0(SALU_CYCLE_1) | instskip(NEXT) | instid1(SALU_CYCLE_1)
	s_mul_hi_u32 s4, s3, s4
	s_add_co_i32 s3, s3, s4
	s_delay_alu instid0(SALU_CYCLE_1) | instskip(SKIP_1) | instid1(VALU_DEP_1)
	v_mul_hi_u32 v2, v1, s3
	s_cvt_f32_u32 s3, s5
	v_mul_lo_u32 v3, v2, s12
	s_delay_alu instid0(VALU_DEP_1) | instskip(NEXT) | instid1(VALU_DEP_1)
	v_dual_sub_nc_u32 v1, v1, v3 :: v_dual_add_nc_u32 v3, 1, v2
	v_cmp_le_u32_e32 vcc_lo, s12, v1
	s_delay_alu instid0(VALU_DEP_2) | instskip(SKIP_1) | instid1(VALU_DEP_1)
	v_dual_cndmask_b32 v2, v2, v3, vcc_lo :: v_dual_bitop2_b32 v3, s2, v0 bitop3:0x14
	v_subrev_nc_u32_e32 v5, s12, v1
	v_dual_cndmask_b32 v1, v1, v5, vcc_lo :: v_dual_add_nc_u32 v5, 1, v2
	s_delay_alu instid0(VALU_DEP_1) | instskip(NEXT) | instid1(VALU_DEP_4)
	v_cmp_le_u32_e32 vcc_lo, s12, v1
	v_ashrrev_i32_e32 v3, 31, v3
	s_load_b128 s[12:15], s[0:1], 0x0
	s_delay_alu instid0(VALU_DEP_3) | instskip(SKIP_1) | instid1(VALU_DEP_1)
	v_cndmask_b32_e32 v1, v2, v5, vcc_lo
	v_rcp_iflag_f32_e32 v2, s3
	v_xor_b32_e32 v1, v1, v3
	s_delay_alu instid0(TRANS32_DEP_1) | instskip(NEXT) | instid1(VALU_DEP_2)
	v_readfirstlane_b32 s3, v2
	v_sub_nc_u32_e32 v3, v1, v3
	s_delay_alu instid0(VALU_DEP_1) | instskip(SKIP_2) | instid1(SALU_CYCLE_2)
	v_mul_lo_u32 v1, s2, v3
	s_mul_f32 s2, s3, 0x4f7ffffe
	s_sub_co_i32 s3, 0, s5
	s_cvt_u32_f32 s2, s2
	s_delay_alu instid0(SALU_CYCLE_3) | instskip(NEXT) | instid1(VALU_DEP_1)
	s_mul_i32 s3, s3, s2
	v_sub_nc_u32_e32 v0, v0, v1
	s_mul_hi_u32 s3, s2, s3
	s_delay_alu instid0(SALU_CYCLE_1)
	s_add_co_i32 s2, s2, s3
	s_delay_alu instid0(VALU_DEP_1) | instid1(SALU_CYCLE_1)
	v_mul_hi_u32 v1, v0, s2
	s_mov_b32 s2, exec_lo
	s_delay_alu instid0(VALU_DEP_1) | instskip(NEXT) | instid1(VALU_DEP_1)
	v_mul_lo_u32 v2, v1, s5
	v_dual_add_nc_u32 v5, 1, v1 :: v_dual_sub_nc_u32 v2, v0, v2
	s_delay_alu instid0(VALU_DEP_1) | instskip(SKIP_1) | instid1(VALU_DEP_2)
	v_subrev_nc_u32_e32 v6, s5, v2
	v_cmp_le_u32_e32 vcc_lo, s5, v2
	v_dual_cndmask_b32 v5, v1, v5 :: v_dual_cndmask_b32 v2, v2, v6
	s_delay_alu instid0(VALU_DEP_1) | instskip(NEXT) | instid1(VALU_DEP_2)
	v_dual_ashrrev_i32 v1, 1, v4 :: v_dual_add_nc_u32 v6, 1, v5
	v_cmp_le_u32_e32 vcc_lo, s5, v2
	s_delay_alu instid0(VALU_DEP_2) | instskip(SKIP_1) | instid1(VALU_DEP_4)
	v_mad_u32 v7, v3, s20, v1
	v_mad_u32 v8, v3, s9, v1
	v_cndmask_b32_e32 v3, v5, v6, vcc_lo
	s_delay_alu instid0(VALU_DEP_1) | instskip(NEXT) | instid1(VALU_DEP_4)
	v_mul_lo_u32 v2, v3, s5
	v_mad_u32 v5, v3, s11, v7
	s_delay_alu instid0(VALU_DEP_4) | instskip(NEXT) | instid1(VALU_DEP_3)
	v_mad_u32 v6, v3, s8, v8
	v_sub_nc_u32_e32 v2, v0, v2
	s_delay_alu instid0(VALU_DEP_1) | instskip(NEXT) | instid1(VALU_DEP_3)
	v_mad_u32 v0, v2, s10, v5
	v_mad_u32 v2, v2, s7, v6
	v_cmpx_le_i32_e64 s21, v4
	s_xor_b32 s2, exec_lo, s2
	s_cbranch_execz .LBB9_3
; %bb.2:
	s_delay_alu instid0(VALU_DEP_2)
	v_dual_add_nc_u32 v2, v2, v1 :: v_dual_add_nc_u32 v0, v0, v1
                                        ; implicit-def: $vgpr4
	s_wait_kmcnt 0x0
	global_load_u16 v3, v2, s[12:13] scale_offset
	s_wait_loadcnt 0x0
	global_store_b16 v0, v3, s[14:15] scale_offset
	global_load_u16 v1, v2, s[12:13] offset:2 scale_offset
                                        ; implicit-def: $vgpr2
                                        ; implicit-def: $vgpr3
	s_wait_loadcnt 0x0
	global_store_b16 v0, v1, s[14:15] offset:2 scale_offset
                                        ; implicit-def: $vgpr0
                                        ; implicit-def: $vgpr1
.LBB9_3:
	s_wait_xcnt 0x0
	s_and_not1_saveexec_b32 s2, s2
	s_cbranch_execz .LBB9_44
; %bb.4:
	s_clause 0x3
	s_load_b128 s[16:19], s[0:1], 0x60
	s_load_b64 s[22:23], s[0:1], 0x50
	s_load_b64 s[24:25], s[0:1], 0x38
	s_load_b128 s[8:11], s[0:1], 0x40
	v_ashrrev_i32_e32 v7, 31, v1
	s_wait_kmcnt 0x0
	s_add_co_i32 s2, s17, s16
	s_delay_alu instid0(SALU_CYCLE_1) | instskip(NEXT) | instid1(SALU_CYCLE_1)
	s_add_co_i32 s7, s2, s18
	s_add_co_i32 s3, s7, s19
	s_delay_alu instid0(SALU_CYCLE_1) | instskip(NEXT) | instid1(SALU_CYCLE_1)
	s_abs_i32 s3, s3
	s_cvt_f32_u32 s4, s3
	s_sub_co_i32 s5, 0, s3
	s_delay_alu instid0(SALU_CYCLE_2) | instskip(SKIP_1) | instid1(TRANS32_DEP_1)
	v_rcp_iflag_f32_e32 v5, s4
	v_nop
	v_readfirstlane_b32 s4, v5
	v_sub_nc_u32_e32 v5, 0, v1
	s_mul_f32 s4, s4, 0x4f7ffffe
	s_delay_alu instid0(VALU_DEP_1) | instskip(NEXT) | instid1(SALU_CYCLE_2)
	v_max_i32_e32 v5, v1, v5
	s_cvt_u32_f32 s4, s4
	s_delay_alu instid0(SALU_CYCLE_3) | instskip(NEXT) | instid1(SALU_CYCLE_1)
	s_mul_i32 s5, s5, s4
	s_mul_hi_u32 s5, s4, s5
	s_delay_alu instid0(SALU_CYCLE_1) | instskip(NEXT) | instid1(SALU_CYCLE_1)
	s_add_co_i32 s4, s4, s5
	v_mul_hi_u32 v6, v5, s4
	s_load_b32 s4, s[0:1], 0x70
	s_delay_alu instid0(VALU_DEP_1) | instskip(NEXT) | instid1(VALU_DEP_1)
	v_mul_lo_u32 v6, v6, s3
	v_sub_nc_u32_e32 v5, v5, v6
	s_delay_alu instid0(VALU_DEP_1) | instskip(SKIP_1) | instid1(VALU_DEP_2)
	v_subrev_nc_u32_e32 v6, s3, v5
	v_cmp_le_u32_e32 vcc_lo, s3, v5
	v_cndmask_b32_e32 v5, v5, v6, vcc_lo
	s_delay_alu instid0(VALU_DEP_1) | instskip(SKIP_3) | instid1(SALU_CYCLE_1)
	v_subrev_nc_u32_e32 v6, s3, v5
	v_cmp_le_u32_e32 vcc_lo, s3, v5
	s_wait_kmcnt 0x0
	s_and_b32 s3, s4, 1
	s_cmp_eq_u32 s3, 0
	v_cndmask_b32_e32 v5, v5, v6, vcc_lo
	s_delay_alu instid0(VALU_DEP_1) | instskip(NEXT) | instid1(VALU_DEP_1)
	v_xor_b32_e32 v5, v5, v7
	v_sub_nc_u32_e32 v5, v5, v7
	s_cbranch_scc0 .LBB9_18
; %bb.5:
                                        ; implicit-def: $vgpr6
	s_mov_b32 s3, exec_lo
	s_delay_alu instid0(VALU_DEP_1)
	v_cmpx_le_i32_e64 s16, v5
	s_xor_b32 s5, exec_lo, s3
	s_cbranch_execz .LBB9_15
; %bb.6:
	v_cmp_le_i32_e32 vcc_lo, s2, v5
                                        ; implicit-def: $vgpr6
	s_and_saveexec_b32 s2, vcc_lo
	s_delay_alu instid0(SALU_CYCLE_1)
	s_xor_b32 s19, exec_lo, s2
	s_cbranch_execz .LBB9_12
; %bb.7:
	v_cvt_f32_i32_e32 v6, v4
	s_cmp_neq_f32 s23, 1.0
	s_mov_b32 s2, 0x3e76c4e1
	s_cselect_b32 vcc_lo, -1, 0
	s_delay_alu instid0(VALU_DEP_1) | instskip(NEXT) | instid1(VALU_DEP_1)
	v_mul_f32_e32 v6, 0.5, v6
	v_cndmask_b32_e32 v7, 1.0, v6, vcc_lo
	s_delay_alu instid0(VALU_DEP_1) | instskip(SKIP_1) | instid1(VALU_DEP_1)
	v_cmp_neq_f32_e32 vcc_lo, 0, v7
	v_cndmask_b32_e64 v6, 1.0, s23, vcc_lo
	v_frexp_mant_f32_e64 v8, |v6|
	v_cmp_lt_f32_e64 s26, |v6|, 1.0
	v_cmp_eq_f32_e64 s4, 0, v6
	s_delay_alu instid0(VALU_DEP_3) | instskip(SKIP_1) | instid1(VALU_DEP_1)
	v_cmp_gt_f32_e32 vcc_lo, 0x3f2aaaab, v8
	v_cndmask_b32_e64 v9, 1.0, 2.0, vcc_lo
	v_mul_f32_e32 v8, v8, v9
	s_delay_alu instid0(VALU_DEP_1) | instskip(SKIP_1) | instid1(VALU_DEP_2)
	v_dual_add_f32 v11, 1.0, v8 :: v_dual_add_f32 v9, -1.0, v8
	v_cmp_neq_f32_e64 s20, v7, |v7|
	v_rcp_f32_e32 v14, v11
	v_add_f32_e32 v12, -1.0, v11
	s_xor_b32 s20, s20, s26
	s_delay_alu instid0(TRANS32_DEP_1) | instid1(VALU_DEP_1)
	v_dual_sub_f32 v8, v8, v12 :: v_dual_mul_f32 v15, v9, v14
	s_delay_alu instid0(VALU_DEP_1) | instskip(NEXT) | instid1(VALU_DEP_1)
	v_mul_f32_e32 v10, v11, v15
	v_fma_f32 v12, v15, v11, -v10
	s_delay_alu instid0(VALU_DEP_1) | instskip(NEXT) | instid1(VALU_DEP_1)
	v_fmac_f32_e32 v12, v15, v8
	v_add_f32_e32 v8, v10, v12
	s_delay_alu instid0(VALU_DEP_1) | instskip(NEXT) | instid1(VALU_DEP_1)
	v_dual_sub_f32 v11, v9, v8 :: v_dual_mov_b32 v13, v8
	v_pk_add_f32 v[8:9], v[8:9], v[10:11] neg_lo:[0,1] neg_hi:[0,1]
	s_delay_alu instid0(VALU_DEP_1) | instskip(NEXT) | instid1(VALU_DEP_1)
	v_pk_add_f32 v[8:9], v[8:9], v[12:13] neg_lo:[0,1] neg_hi:[0,1]
	v_add_f32_e32 v8, v8, v9
	s_delay_alu instid0(VALU_DEP_1) | instskip(NEXT) | instid1(VALU_DEP_1)
	v_add_f32_e32 v8, v11, v8
	v_mul_f32_e32 v9, v14, v8
	s_delay_alu instid0(VALU_DEP_1) | instskip(NEXT) | instid1(VALU_DEP_1)
	v_add_f32_e32 v8, v15, v9
	v_sub_f32_e32 v10, v8, v15
	s_delay_alu instid0(VALU_DEP_1) | instskip(NEXT) | instid1(VALU_DEP_1)
	v_sub_f32_e32 v20, v9, v10
	v_add_f32_e32 v10, v20, v20
	v_mul_f32_e32 v11, v8, v8
	s_delay_alu instid0(VALU_DEP_1) | instskip(NEXT) | instid1(VALU_DEP_1)
	v_fma_f32 v9, v8, v8, -v11
	v_fmac_f32_e32 v9, v8, v10
	s_delay_alu instid0(VALU_DEP_1) | instskip(NEXT) | instid1(VALU_DEP_1)
	v_add_f32_e32 v10, v11, v9
	v_dual_fmaak_f32 v12, s2, v10, 0x3e91f4c4 :: v_dual_sub_f32 v11, v10, v11
	s_delay_alu instid0(VALU_DEP_1) | instskip(SKIP_1) | instid1(VALU_DEP_2)
	v_fmaak_f32 v14, v10, v12, 0x3ecccdef
	v_cvt_f64_f32_e64 v[12:13], |v6|
	v_dual_sub_f32 v18, v9, v11 :: v_dual_mul_f32 v15, v10, v14
	s_delay_alu instid0(VALU_DEP_1) | instskip(NEXT) | instid1(VALU_DEP_1)
	v_fma_f32 v9, v10, v14, -v15
	v_fmac_f32_e32 v9, v18, v14
	s_delay_alu instid0(VALU_DEP_1) | instskip(NEXT) | instid1(VALU_DEP_1)
	v_add_f32_e32 v11, v15, v9
	v_sub_f32_e32 v14, v11, v15
	v_add_f32_e32 v15, 0x3f2aaaaa, v11
	s_delay_alu instid0(VALU_DEP_1) | instskip(SKIP_1) | instid1(VALU_DEP_2)
	v_dual_sub_f32 v9, v9, v14 :: v_dual_add_f32 v14, 0xbf2aaaaa, v15
	v_frexp_exp_i32_f64_e32 v19, v[12:13]
	v_sub_f32_e32 v11, v11, v14
	s_delay_alu instid0(VALU_DEP_3) | instskip(NEXT) | instid1(VALU_DEP_1)
	v_add_f32_e32 v9, 0x31739010, v9
	v_pk_mul_f32 v[12:13], v[8:9], v[10:11]
	s_delay_alu instid0(VALU_DEP_1) | instskip(NEXT) | instid1(VALU_DEP_1)
	v_fma_f32 v14, v10, v8, -v12
	v_fmac_f32_e32 v14, v10, v20
	s_delay_alu instid0(VALU_DEP_1) | instskip(SKIP_1) | instid1(VALU_DEP_1)
	v_fmac_f32_e32 v14, v18, v8
	v_pk_add_f32 v[16:17], v[8:9], v[10:11]
	v_mov_b32_e32 v13, v17
	v_subrev_co_ci_u32_e64 v9, null, 0, v19, vcc_lo
	s_delay_alu instid0(VALU_DEP_2) | instskip(NEXT) | instid1(VALU_DEP_2)
	v_pk_add_f32 v[10:11], v[12:13], v[14:15]
	v_cvt_f32_i32_e32 v9, v9
	s_delay_alu instid0(VALU_DEP_2) | instskip(NEXT) | instid1(VALU_DEP_3)
	v_mov_b32_e32 v16, v11
	v_dual_sub_f32 v13, v15, v11 :: v_dual_sub_f32 v15, v10, v12
	s_delay_alu instid0(VALU_DEP_2) | instskip(NEXT) | instid1(VALU_DEP_2)
	v_pk_mul_f32 v[18:19], v[10:11], v[16:17]
	v_dual_add_f32 v13, v17, v13 :: v_dual_sub_f32 v14, v14, v15
	s_delay_alu instid0(VALU_DEP_2) | instskip(NEXT) | instid1(VALU_DEP_1)
	v_fma_f32 v12, v10, v11, -v18
	v_fmac_f32_e32 v12, v10, v13
	s_delay_alu instid0(VALU_DEP_1) | instskip(SKIP_2) | instid1(VALU_DEP_3)
	v_fmac_f32_e32 v12, v14, v11
	v_mul_f32_e32 v16, 0x3f317218, v9
	v_ldexp_f32 v11, v8, 1
	v_add_f32_e32 v17, v18, v12
	s_delay_alu instid0(VALU_DEP_3) | instskip(NEXT) | instid1(VALU_DEP_2)
	v_fma_f32 v10, 0x3f317218, v9, -v16
	v_dual_mov_b32 v19, v11 :: v_dual_mov_b32 v14, v17
	s_delay_alu instid0(VALU_DEP_2) | instskip(NEXT) | instid1(VALU_DEP_1)
	v_fmamk_f32 v10, v9, 0xb102e308, v10
	v_pk_add_f32 v[8:9], v[16:17], v[10:11]
	v_mov_b32_e32 v13, v17
	v_ldexp_f32 v11, v20, 1
	s_delay_alu instid0(VALU_DEP_3) | instskip(NEXT) | instid1(VALU_DEP_1)
	v_dual_mov_b32 v15, v9 :: v_dual_mov_b32 v22, v9
	v_pk_add_f32 v[14:15], v[14:15], v[18:19] neg_lo:[0,1] neg_hi:[0,1]
	s_delay_alu instid0(VALU_DEP_1) | instskip(NEXT) | instid1(VALU_DEP_1)
	v_pk_add_f32 v[12:13], v[12:13], v[14:15] neg_lo:[0,1] neg_hi:[0,1]
	v_add_f32_e32 v11, v11, v12
	s_delay_alu instid0(VALU_DEP_1) | instskip(NEXT) | instid1(VALU_DEP_1)
	v_dual_add_f32 v17, v11, v13 :: v_dual_mov_b32 v11, v8
	v_pk_add_f32 v[12:13], v[8:9], v[16:17]
	v_pk_add_f32 v[14:15], v[8:9], v[16:17] neg_lo:[0,1] neg_hi:[0,1]
	s_delay_alu instid0(VALU_DEP_2) | instskip(NEXT) | instid1(VALU_DEP_1)
	v_mov_b32_e32 v15, v13
	v_pk_add_f32 v[18:19], v[10:11], v[14:15]
	v_pk_add_f32 v[10:11], v[10:11], v[14:15] neg_lo:[0,1] neg_hi:[0,1]
	s_delay_alu instid0(VALU_DEP_2) | instskip(NEXT) | instid1(VALU_DEP_1)
	v_dual_mov_b32 v16, v19 :: v_dual_mov_b32 v11, v19
	v_pk_add_f32 v[20:21], v[16:17], v[8:9] neg_lo:[0,1] neg_hi:[0,1]
	v_dual_mov_b32 v18, v13 :: v_dual_mov_b32 v9, v8
	s_delay_alu instid0(VALU_DEP_2) | instskip(SKIP_1) | instid1(VALU_DEP_2)
	v_dual_mov_b32 v8, v17 :: v_dual_mov_b32 v23, v20
	v_mov_b32_e32 v17, v20
	v_pk_add_f32 v[14:15], v[18:19], v[22:23] neg_lo:[0,1] neg_hi:[0,1]
	s_delay_alu instid0(VALU_DEP_2) | instskip(SKIP_1) | instid1(VALU_DEP_3)
	v_pk_add_f32 v[12:13], v[12:13], v[16:17] neg_lo:[0,1] neg_hi:[0,1]
	v_mov_b32_e32 v12, v10
	v_pk_add_f32 v[8:9], v[8:9], v[14:15] neg_lo:[0,1] neg_hi:[0,1]
	s_delay_alu instid0(VALU_DEP_1) | instskip(NEXT) | instid1(VALU_DEP_1)
	v_pk_add_f32 v[12:13], v[12:13], v[8:9]
	v_mov_b32_e32 v14, v13
	s_delay_alu instid0(VALU_DEP_1) | instskip(NEXT) | instid1(VALU_DEP_1)
	v_pk_add_f32 v[14:15], v[12:13], v[14:15]
	v_pk_add_f32 v[16:17], v[16:17], v[14:15]
	s_delay_alu instid0(VALU_DEP_1) | instskip(NEXT) | instid1(VALU_DEP_1)
	v_dual_mov_b32 v9, v14 :: v_dual_mov_b32 v13, v16
	v_pk_add_f32 v[18:19], v[12:13], v[10:11] neg_lo:[0,1] neg_hi:[0,1]
	s_delay_alu instid0(VALU_DEP_1) | instskip(NEXT) | instid1(VALU_DEP_2)
	v_sub_f32_e32 v11, v12, v18
	v_pk_add_f32 v[8:9], v[8:9], v[18:19] neg_lo:[0,1] neg_hi:[0,1]
	s_delay_alu instid0(VALU_DEP_2) | instskip(NEXT) | instid1(VALU_DEP_1)
	v_sub_f32_e32 v10, v10, v11
	v_add_f32_e32 v8, v8, v10
	s_delay_alu instid0(VALU_DEP_1) | instskip(NEXT) | instid1(VALU_DEP_1)
	v_add_f32_e32 v8, v8, v9
	v_add_f32_e32 v9, v16, v8
	s_delay_alu instid0(VALU_DEP_1) | instskip(NEXT) | instid1(VALU_DEP_1)
	v_dual_sub_f32 v10, v9, v16 :: v_dual_mul_f32 v11, v7, v9
	v_dual_sub_f32 v8, v8, v10 :: v_dual_fma_f32 v9, v7, v9, -v11
	v_cmp_class_f32_e64 vcc_lo, v11, 0x204
	s_delay_alu instid0(VALU_DEP_2) | instskip(NEXT) | instid1(VALU_DEP_1)
	v_fmac_f32_e32 v9, v7, v8
	v_add_f32_e32 v8, v11, v9
	s_delay_alu instid0(VALU_DEP_1) | instskip(NEXT) | instid1(VALU_DEP_1)
	v_cndmask_b32_e32 v10, v8, v11, vcc_lo
	v_cmp_eq_f32_e32 vcc_lo, 0x42b17218, v10
	v_cndmask_b32_e64 v12, 0, 0x37000000, vcc_lo
	v_cmp_neq_f32_e64 vcc_lo, 0x7f800000, |v10|
	s_delay_alu instid0(VALU_DEP_2) | instskip(SKIP_1) | instid1(VALU_DEP_2)
	v_dual_sub_f32 v13, v10, v12 :: v_dual_sub_f32 v8, v8, v11
	v_trunc_f32_e32 v10, v7
	v_mul_f32_e32 v14, 0x3fb8aa3b, v13
	s_delay_alu instid0(VALU_DEP_3) | instskip(NEXT) | instid1(VALU_DEP_2)
	v_sub_f32_e32 v8, v9, v8
	v_fma_f32 v15, 0x3fb8aa3b, v13, -v14
	v_rndne_f32_e32 v16, v14
	s_delay_alu instid0(VALU_DEP_3) | instskip(SKIP_1) | instid1(VALU_DEP_3)
	v_cndmask_b32_e32 v8, 0, v8, vcc_lo
	v_cmp_ngt_f32_e32 vcc_lo, 0xc2ce8ed0, v13
	v_dual_fmamk_f32 v15, v13, 0x32a5705f, v15 :: v_dual_sub_f32 v14, v14, v16
	s_delay_alu instid0(VALU_DEP_1) | instskip(NEXT) | instid1(VALU_DEP_1)
	v_add_f32_e32 v14, v14, v15
	v_exp_f32_e32 v11, v14
	v_nop
	v_cvt_i32_f32_e32 v14, v16
	s_delay_alu instid0(TRANS32_DEP_1) | instid1(VALU_DEP_1)
	v_ldexp_f32 v9, v11, v14
	s_delay_alu instid0(VALU_DEP_1) | instskip(NEXT) | instid1(VALU_DEP_1)
	v_dual_mul_f32 v11, 0.5, v7 :: v_dual_cndmask_b32 v9, 0, v9, vcc_lo
	v_trunc_f32_e32 v14, v11
	v_cmp_nlt_f32_e32 vcc_lo, 0x42b17218, v13
	v_add_f32_e32 v8, v12, v8
	s_delay_alu instid0(VALU_DEP_3) | instskip(SKIP_2) | instid1(VALU_DEP_2)
	v_cmp_neq_f32_e64 s2, v14, v11
	v_cndmask_b32_e32 v9, 0x7f800000, v9, vcc_lo
	v_cmp_eq_f32_e32 vcc_lo, v10, v7
	v_cmp_class_f32_e64 s3, v9, 0x204
	s_and_b32 s2, vcc_lo, s2
	s_delay_alu instid0(SALU_CYCLE_1) | instskip(NEXT) | instid1(VALU_DEP_1)
	v_dual_fma_f32 v8, v9, v8, v9 :: v_dual_cndmask_b32 v10, 1.0, v6, s2
	v_cndmask_b32_e64 v8, v8, v9, s3
	v_cndmask_b32_e64 v9, 0x7f800000, 0, s20
	v_cmp_gt_f32_e64 s3, 0, v7
	s_delay_alu instid0(VALU_DEP_3) | instskip(SKIP_1) | instid1(SALU_CYCLE_1)
	v_bfi_b32 v8, 0x7fffffff, v8, v10
	s_xor_b32 s3, s3, s4
	v_cndmask_b32_e64 v11, 0x7f800000, 0, s3
	s_delay_alu instid0(VALU_DEP_2) | instskip(SKIP_3) | instid1(VALU_DEP_4)
	v_cndmask_b32_e32 v10, 0x7fc00000, v8, vcc_lo
	v_cmp_neq_f32_e64 vcc_lo, |v6|, 1.0
	v_cndmask_b32_e32 v9, 1.0, v9, vcc_lo
	v_cmp_gt_f32_e32 vcc_lo, 0, v6
	v_cndmask_b32_e32 v8, v8, v10, vcc_lo
	v_cmp_class_f32_e64 vcc_lo, v7, 0x204
	v_cndmask_b32_e64 v10, 0, v6, s2
	v_cmp_class_f32_e64 s2, v6, 0x204
	s_delay_alu instid0(VALU_DEP_4) | instskip(NEXT) | instid1(VALU_DEP_3)
	v_cndmask_b32_e32 v7, v8, v9, vcc_lo
	v_bfi_b32 v8, 0x7fffffff, v11, v10
	s_or_b32 vcc_lo, s4, s2
	v_cmp_o_f32_e64 s2, v6, v6
                                        ; implicit-def: $vgpr6
	s_delay_alu instid0(VALU_DEP_2) | instskip(NEXT) | instid1(VALU_DEP_1)
	v_cndmask_b32_e32 v7, v7, v8, vcc_lo
	v_cndmask_b32_e64 v7, 0x7fc00000, v7, s2
	s_mov_b32 s2, exec_lo
	v_cmpx_le_i32_e64 s7, v5
	s_xor_b32 s2, exec_lo, s2
	s_cbranch_execz .LBB9_9
; %bb.8:
	v_mad_u32 v6, s6, 3, v3
	global_load_b32 v6, v6, s[24:25] scale_offset
	s_wait_loadcnt 0x0
	v_cvt_f32_i32_e32 v6, v6
	s_delay_alu instid0(VALU_DEP_1)
	v_mul_f32_e32 v6, v7, v6
                                        ; implicit-def: $vgpr7
.LBB9_9:
	s_and_not1_saveexec_b32 s2, s2
	s_cbranch_execz .LBB9_11
; %bb.10:
	v_lshl_add_u32 v6, s6, 1, v3
	global_load_b32 v6, v6, s[24:25] scale_offset
	s_wait_loadcnt 0x0
	v_cvt_f32_i32_e32 v6, v6
	s_delay_alu instid0(VALU_DEP_1)
	v_mul_f32_e32 v6, v7, v6
.LBB9_11:
	s_or_b32 exec_lo, exec_lo, s2
.LBB9_12:
	s_and_not1_saveexec_b32 s7, s19
	s_cbranch_execz .LBB9_14
; %bb.13:
	v_cvt_f32_i32_e32 v6, v4
	s_cmp_neq_f32 s23, 1.0
	s_mov_b32 s2, 0x3e76c4e1
	s_cselect_b32 vcc_lo, -1, 0
	s_delay_alu instid0(VALU_DEP_1) | instskip(NEXT) | instid1(VALU_DEP_1)
	v_mul_f32_e32 v6, 0.5, v6
	v_cndmask_b32_e32 v7, 1.0, v6, vcc_lo
	s_delay_alu instid0(VALU_DEP_1) | instskip(SKIP_1) | instid1(VALU_DEP_1)
	v_cmp_neq_f32_e32 vcc_lo, 0, v7
	v_cndmask_b32_e64 v6, 1.0, s23, vcc_lo
	v_frexp_mant_f32_e64 v8, |v6|
	v_cmp_lt_f32_e64 s20, |v6|, 1.0
	v_cmp_eq_f32_e64 s4, 0, v6
	s_delay_alu instid0(VALU_DEP_3) | instskip(SKIP_1) | instid1(VALU_DEP_1)
	v_cmp_gt_f32_e32 vcc_lo, 0x3f2aaaab, v8
	v_cndmask_b32_e64 v9, 1.0, 2.0, vcc_lo
	v_mul_f32_e32 v8, v8, v9
	s_delay_alu instid0(VALU_DEP_1) | instskip(SKIP_1) | instid1(VALU_DEP_2)
	v_dual_add_f32 v11, 1.0, v8 :: v_dual_add_f32 v9, -1.0, v8
	v_cmp_neq_f32_e64 s19, v7, |v7|
	v_rcp_f32_e32 v14, v11
	v_add_f32_e32 v12, -1.0, v11
	s_xor_b32 s19, s19, s20
	s_delay_alu instid0(TRANS32_DEP_1) | instid1(VALU_DEP_1)
	v_dual_sub_f32 v8, v8, v12 :: v_dual_mul_f32 v15, v9, v14
	s_delay_alu instid0(VALU_DEP_1) | instskip(NEXT) | instid1(VALU_DEP_1)
	v_mul_f32_e32 v10, v11, v15
	v_fma_f32 v12, v15, v11, -v10
	s_delay_alu instid0(VALU_DEP_1) | instskip(NEXT) | instid1(VALU_DEP_1)
	v_fmac_f32_e32 v12, v15, v8
	v_add_f32_e32 v8, v10, v12
	s_delay_alu instid0(VALU_DEP_1) | instskip(NEXT) | instid1(VALU_DEP_1)
	v_dual_sub_f32 v11, v9, v8 :: v_dual_mov_b32 v13, v8
	v_pk_add_f32 v[8:9], v[8:9], v[10:11] neg_lo:[0,1] neg_hi:[0,1]
	s_delay_alu instid0(VALU_DEP_1) | instskip(NEXT) | instid1(VALU_DEP_1)
	v_pk_add_f32 v[8:9], v[8:9], v[12:13] neg_lo:[0,1] neg_hi:[0,1]
	v_add_f32_e32 v8, v8, v9
	s_delay_alu instid0(VALU_DEP_1) | instskip(NEXT) | instid1(VALU_DEP_1)
	v_add_f32_e32 v8, v11, v8
	v_mul_f32_e32 v9, v14, v8
	s_delay_alu instid0(VALU_DEP_1) | instskip(NEXT) | instid1(VALU_DEP_1)
	v_add_f32_e32 v8, v15, v9
	v_sub_f32_e32 v10, v8, v15
	s_delay_alu instid0(VALU_DEP_1) | instskip(NEXT) | instid1(VALU_DEP_1)
	v_sub_f32_e32 v20, v9, v10
	v_add_f32_e32 v10, v20, v20
	v_mul_f32_e32 v11, v8, v8
	s_delay_alu instid0(VALU_DEP_1) | instskip(NEXT) | instid1(VALU_DEP_1)
	v_fma_f32 v9, v8, v8, -v11
	v_fmac_f32_e32 v9, v8, v10
	s_delay_alu instid0(VALU_DEP_1) | instskip(NEXT) | instid1(VALU_DEP_1)
	v_add_f32_e32 v10, v11, v9
	v_dual_fmaak_f32 v12, s2, v10, 0x3e91f4c4 :: v_dual_sub_f32 v11, v10, v11
	s_delay_alu instid0(VALU_DEP_1) | instskip(NEXT) | instid1(VALU_DEP_2)
	v_fmaak_f32 v14, v10, v12, 0x3ecccdef
	v_sub_f32_e32 v18, v9, v11
	v_add_nc_u32_e32 v11, s6, v3
	v_cvt_f64_f32_e64 v[12:13], |v6|
	s_delay_alu instid0(VALU_DEP_4) | instskip(SKIP_2) | instid1(VALU_DEP_1)
	v_mul_f32_e32 v15, v10, v14
	global_load_b32 v24, v11, s[24:25] scale_offset
	v_fma_f32 v9, v10, v14, -v15
	v_fmac_f32_e32 v9, v18, v14
	s_wait_xcnt 0x0
	s_delay_alu instid0(VALU_DEP_1) | instskip(NEXT) | instid1(VALU_DEP_1)
	v_add_f32_e32 v11, v15, v9
	v_sub_f32_e32 v14, v11, v15
	v_add_f32_e32 v15, 0x3f2aaaaa, v11
	s_delay_alu instid0(VALU_DEP_1) | instskip(SKIP_1) | instid1(VALU_DEP_2)
	v_dual_sub_f32 v9, v9, v14 :: v_dual_add_f32 v14, 0xbf2aaaaa, v15
	v_frexp_exp_i32_f64_e32 v19, v[12:13]
	v_add_f32_e32 v9, 0x31739010, v9
	s_delay_alu instid0(VALU_DEP_3) | instskip(NEXT) | instid1(VALU_DEP_1)
	v_sub_f32_e32 v11, v11, v14
	v_pk_mul_f32 v[12:13], v[8:9], v[10:11]
	s_delay_alu instid0(VALU_DEP_1) | instskip(NEXT) | instid1(VALU_DEP_1)
	v_fma_f32 v14, v10, v8, -v12
	v_fmac_f32_e32 v14, v10, v20
	s_delay_alu instid0(VALU_DEP_1) | instskip(SKIP_1) | instid1(VALU_DEP_1)
	v_fmac_f32_e32 v14, v18, v8
	v_pk_add_f32 v[16:17], v[8:9], v[10:11]
	v_mov_b32_e32 v13, v17
	v_subrev_co_ci_u32_e64 v9, null, 0, v19, vcc_lo
	s_delay_alu instid0(VALU_DEP_2) | instskip(NEXT) | instid1(VALU_DEP_2)
	v_pk_add_f32 v[10:11], v[12:13], v[14:15]
	v_cvt_f32_i32_e32 v9, v9
	s_delay_alu instid0(VALU_DEP_2) | instskip(NEXT) | instid1(VALU_DEP_3)
	v_mov_b32_e32 v16, v11
	v_dual_sub_f32 v13, v15, v11 :: v_dual_sub_f32 v15, v10, v12
	s_delay_alu instid0(VALU_DEP_2) | instskip(NEXT) | instid1(VALU_DEP_2)
	v_pk_mul_f32 v[18:19], v[10:11], v[16:17]
	v_sub_f32_e32 v14, v14, v15
	s_delay_alu instid0(VALU_DEP_2) | instskip(NEXT) | instid1(VALU_DEP_1)
	v_dual_fma_f32 v12, v10, v11, -v18 :: v_dual_add_f32 v13, v17, v13
	v_fmac_f32_e32 v12, v10, v13
	s_delay_alu instid0(VALU_DEP_1) | instskip(SKIP_2) | instid1(VALU_DEP_3)
	v_fmac_f32_e32 v12, v14, v11
	v_mul_f32_e32 v16, 0x3f317218, v9
	v_ldexp_f32 v11, v8, 1
	v_add_f32_e32 v17, v18, v12
	s_delay_alu instid0(VALU_DEP_3) | instskip(NEXT) | instid1(VALU_DEP_2)
	v_fma_f32 v10, 0x3f317218, v9, -v16
	v_dual_mov_b32 v19, v11 :: v_dual_mov_b32 v14, v17
	s_delay_alu instid0(VALU_DEP_2) | instskip(NEXT) | instid1(VALU_DEP_1)
	v_fmamk_f32 v10, v9, 0xb102e308, v10
	v_pk_add_f32 v[8:9], v[16:17], v[10:11]
	v_ldexp_f32 v11, v20, 1
	s_delay_alu instid0(VALU_DEP_2) | instskip(NEXT) | instid1(VALU_DEP_1)
	v_dual_mov_b32 v13, v17 :: v_dual_mov_b32 v15, v9
	v_pk_add_f32 v[14:15], v[14:15], v[18:19] neg_lo:[0,1] neg_hi:[0,1]
	s_delay_alu instid0(VALU_DEP_1) | instskip(NEXT) | instid1(VALU_DEP_1)
	v_pk_add_f32 v[12:13], v[12:13], v[14:15] neg_lo:[0,1] neg_hi:[0,1]
	v_add_f32_e32 v11, v11, v12
	s_delay_alu instid0(VALU_DEP_1) | instskip(NEXT) | instid1(VALU_DEP_1)
	v_dual_add_f32 v17, v11, v13 :: v_dual_mov_b32 v11, v8
	v_pk_add_f32 v[12:13], v[8:9], v[16:17]
	v_pk_add_f32 v[14:15], v[8:9], v[16:17] neg_lo:[0,1] neg_hi:[0,1]
	s_delay_alu instid0(VALU_DEP_2) | instskip(NEXT) | instid1(VALU_DEP_1)
	v_dual_mov_b32 v22, v9 :: v_dual_mov_b32 v15, v13
	v_pk_add_f32 v[18:19], v[10:11], v[14:15]
	s_delay_alu instid0(VALU_DEP_1) | instskip(SKIP_1) | instid1(VALU_DEP_2)
	v_dual_mov_b32 v18, v13 :: v_dual_mov_b32 v16, v19
	v_pk_add_f32 v[10:11], v[10:11], v[14:15] neg_lo:[0,1] neg_hi:[0,1]
	v_pk_add_f32 v[20:21], v[16:17], v[8:9] neg_lo:[0,1] neg_hi:[0,1]
	v_dual_mov_b32 v9, v8 :: v_dual_mov_b32 v8, v17
	s_delay_alu instid0(VALU_DEP_2) | instskip(NEXT) | instid1(VALU_DEP_1)
	v_dual_mov_b32 v17, v20 :: v_dual_mov_b32 v23, v20
	v_pk_add_f32 v[12:13], v[12:13], v[16:17] neg_lo:[0,1] neg_hi:[0,1]
	s_delay_alu instid0(VALU_DEP_2) | instskip(SKIP_1) | instid1(VALU_DEP_2)
	v_pk_add_f32 v[14:15], v[18:19], v[22:23] neg_lo:[0,1] neg_hi:[0,1]
	v_mov_b32_e32 v12, v10
	v_pk_add_f32 v[8:9], v[8:9], v[14:15] neg_lo:[0,1] neg_hi:[0,1]
	s_delay_alu instid0(VALU_DEP_1) | instskip(NEXT) | instid1(VALU_DEP_1)
	v_pk_add_f32 v[12:13], v[12:13], v[8:9]
	v_mov_b32_e32 v14, v13
	s_delay_alu instid0(VALU_DEP_1) | instskip(NEXT) | instid1(VALU_DEP_1)
	v_pk_add_f32 v[14:15], v[12:13], v[14:15]
	v_pk_add_f32 v[16:17], v[16:17], v[14:15]
	s_delay_alu instid0(VALU_DEP_1) | instskip(NEXT) | instid1(VALU_DEP_1)
	v_dual_mov_b32 v11, v19 :: v_dual_mov_b32 v13, v16
	v_pk_add_f32 v[18:19], v[12:13], v[10:11] neg_lo:[0,1] neg_hi:[0,1]
	s_delay_alu instid0(VALU_DEP_1) | instskip(NEXT) | instid1(VALU_DEP_1)
	v_dual_mov_b32 v9, v14 :: v_dual_sub_f32 v11, v12, v18
	v_pk_add_f32 v[8:9], v[8:9], v[18:19] neg_lo:[0,1] neg_hi:[0,1]
	s_delay_alu instid0(VALU_DEP_2) | instskip(NEXT) | instid1(VALU_DEP_1)
	v_sub_f32_e32 v10, v10, v11
	v_add_f32_e32 v8, v8, v10
	s_delay_alu instid0(VALU_DEP_1) | instskip(NEXT) | instid1(VALU_DEP_1)
	v_add_f32_e32 v8, v8, v9
	v_add_f32_e32 v9, v16, v8
	s_delay_alu instid0(VALU_DEP_1) | instskip(NEXT) | instid1(VALU_DEP_1)
	v_dual_sub_f32 v10, v9, v16 :: v_dual_mul_f32 v11, v7, v9
	v_sub_f32_e32 v8, v8, v10
	s_delay_alu instid0(VALU_DEP_2) | instskip(SKIP_1) | instid1(VALU_DEP_1)
	v_cmp_class_f32_e64 vcc_lo, v11, 0x204
	v_fma_f32 v9, v7, v9, -v11
	v_fmac_f32_e32 v9, v7, v8
	s_delay_alu instid0(VALU_DEP_1) | instskip(NEXT) | instid1(VALU_DEP_1)
	v_add_f32_e32 v8, v11, v9
	v_cndmask_b32_e32 v10, v8, v11, vcc_lo
	s_delay_alu instid0(VALU_DEP_1) | instskip(SKIP_2) | instid1(VALU_DEP_2)
	v_cmp_eq_f32_e32 vcc_lo, 0x42b17218, v10
	v_cndmask_b32_e64 v12, 0, 0x37000000, vcc_lo
	v_cmp_neq_f32_e64 vcc_lo, 0x7f800000, |v10|
	v_dual_sub_f32 v13, v10, v12 :: v_dual_sub_f32 v8, v8, v11
	v_trunc_f32_e32 v10, v7
	s_delay_alu instid0(VALU_DEP_2) | instskip(NEXT) | instid1(VALU_DEP_1)
	v_mul_f32_e32 v14, 0x3fb8aa3b, v13
	v_fma_f32 v15, 0x3fb8aa3b, v13, -v14
	v_rndne_f32_e32 v16, v14
	s_delay_alu instid0(VALU_DEP_1) | instskip(NEXT) | instid1(VALU_DEP_1)
	v_dual_fmamk_f32 v15, v13, 0x32a5705f, v15 :: v_dual_sub_f32 v14, v14, v16
	v_dual_add_f32 v14, v14, v15 :: v_dual_sub_f32 v8, v9, v8
	s_delay_alu instid0(VALU_DEP_1)
	v_exp_f32_e32 v11, v14
	v_nop
	v_cvt_i32_f32_e32 v14, v16
	s_delay_alu instid0(TRANS32_DEP_1) | instid1(VALU_DEP_1)
	v_ldexp_f32 v9, v11, v14
	v_dual_mul_f32 v11, 0.5, v7 :: v_dual_cndmask_b32 v8, 0, v8
	v_cmp_ngt_f32_e32 vcc_lo, 0xc2ce8ed0, v13
	s_delay_alu instid0(VALU_DEP_2) | instskip(NEXT) | instid1(VALU_DEP_4)
	v_trunc_f32_e32 v14, v11
	v_cndmask_b32_e32 v9, 0, v9, vcc_lo
	v_cmp_nlt_f32_e32 vcc_lo, 0x42b17218, v13
	s_delay_alu instid0(VALU_DEP_3) | instskip(NEXT) | instid1(VALU_DEP_3)
	v_cmp_neq_f32_e64 s2, v14, v11
	v_cndmask_b32_e32 v9, 0x7f800000, v9, vcc_lo
	v_cmp_eq_f32_e32 vcc_lo, v10, v7
	s_delay_alu instid0(VALU_DEP_2) | instskip(SKIP_1) | instid1(SALU_CYCLE_1)
	v_cmp_class_f32_e64 s3, v9, 0x204
	s_and_b32 s2, vcc_lo, s2
	v_dual_cndmask_b32 v10, 1.0, v6, s2 :: v_dual_add_f32 v8, v12, v8
	s_delay_alu instid0(VALU_DEP_1) | instskip(NEXT) | instid1(VALU_DEP_1)
	v_fma_f32 v8, v9, v8, v9
	v_cndmask_b32_e64 v8, v8, v9, s3
	v_cndmask_b32_e64 v9, 0x7f800000, 0, s19
	v_cmp_gt_f32_e64 s3, 0, v7
	s_delay_alu instid0(VALU_DEP_3) | instskip(SKIP_1) | instid1(SALU_CYCLE_1)
	v_bfi_b32 v8, 0x7fffffff, v8, v10
	s_xor_b32 s3, s3, s4
	v_cndmask_b32_e64 v11, 0x7f800000, 0, s3
	s_delay_alu instid0(VALU_DEP_2) | instskip(SKIP_3) | instid1(VALU_DEP_4)
	v_cndmask_b32_e32 v10, 0x7fc00000, v8, vcc_lo
	v_cmp_neq_f32_e64 vcc_lo, |v6|, 1.0
	v_cndmask_b32_e32 v9, 1.0, v9, vcc_lo
	v_cmp_gt_f32_e32 vcc_lo, 0, v6
	v_cndmask_b32_e32 v8, v8, v10, vcc_lo
	v_cndmask_b32_e64 v10, 0, v6, s2
	v_cmp_class_f32_e64 vcc_lo, v7, 0x204
	v_cmp_class_f32_e64 s2, v6, 0x204
	s_delay_alu instid0(VALU_DEP_4) | instskip(NEXT) | instid1(VALU_DEP_4)
	v_cndmask_b32_e32 v7, v8, v9, vcc_lo
	v_bfi_b32 v8, 0x7fffffff, v11, v10
	s_or_b32 vcc_lo, s4, s2
	s_delay_alu instid0(VALU_DEP_1) | instskip(SKIP_3) | instid1(VALU_DEP_3)
	v_cndmask_b32_e32 v7, v7, v8, vcc_lo
	v_cmp_o_f32_e32 vcc_lo, v6, v6
	s_wait_loadcnt 0x0
	v_cvt_f32_i32_e32 v8, v24
	v_cndmask_b32_e32 v6, 0x7fc00000, v7, vcc_lo
	s_delay_alu instid0(VALU_DEP_1)
	v_mul_f32_e32 v6, v6, v8
.LBB9_14:
	s_or_b32 exec_lo, exec_lo, s7
.LBB9_15:
	s_and_not1_saveexec_b32 s5, s5
	s_cbranch_execz .LBB9_17
; %bb.16:
	v_cvt_f32_i32_e32 v6, v4
	s_cmp_neq_f32 s23, 1.0
	s_mov_b32 s2, 0x3e76c4e1
	global_load_b32 v24, v3, s[24:25] scale_offset
	s_cselect_b32 vcc_lo, -1, 0
	v_mul_f32_e32 v6, 0.5, v6
	s_delay_alu instid0(VALU_DEP_1) | instskip(NEXT) | instid1(VALU_DEP_1)
	v_cndmask_b32_e32 v7, 1.0, v6, vcc_lo
	v_cmp_neq_f32_e32 vcc_lo, 0, v7
	v_cndmask_b32_e64 v6, 1.0, s23, vcc_lo
	s_delay_alu instid0(VALU_DEP_1) | instskip(SKIP_2) | instid1(VALU_DEP_3)
	v_frexp_mant_f32_e64 v8, |v6|
	v_cmp_lt_f32_e64 s19, |v6|, 1.0
	v_cmp_eq_f32_e64 s4, 0, v6
	v_cmp_gt_f32_e32 vcc_lo, 0x3f2aaaab, v8
	v_cndmask_b32_e64 v9, 1.0, 2.0, vcc_lo
	s_delay_alu instid0(VALU_DEP_1) | instskip(NEXT) | instid1(VALU_DEP_1)
	v_mul_f32_e32 v8, v8, v9
	v_dual_add_f32 v11, 1.0, v8 :: v_dual_add_f32 v9, -1.0, v8
	v_cmp_neq_f32_e64 s7, v7, |v7|
	s_delay_alu instid0(VALU_DEP_2)
	v_rcp_f32_e32 v14, v11
	v_add_f32_e32 v12, -1.0, v11
	s_xor_b32 s7, s7, s19
	s_delay_alu instid0(TRANS32_DEP_1) | instid1(VALU_DEP_1)
	v_dual_sub_f32 v8, v8, v12 :: v_dual_mul_f32 v15, v9, v14
	s_delay_alu instid0(VALU_DEP_1) | instskip(NEXT) | instid1(VALU_DEP_1)
	v_mul_f32_e32 v10, v11, v15
	v_fma_f32 v12, v15, v11, -v10
	s_delay_alu instid0(VALU_DEP_1) | instskip(NEXT) | instid1(VALU_DEP_1)
	v_fmac_f32_e32 v12, v15, v8
	v_add_f32_e32 v8, v10, v12
	s_delay_alu instid0(VALU_DEP_1) | instskip(NEXT) | instid1(VALU_DEP_1)
	v_dual_sub_f32 v11, v9, v8 :: v_dual_mov_b32 v13, v8
	v_pk_add_f32 v[8:9], v[8:9], v[10:11] neg_lo:[0,1] neg_hi:[0,1]
	s_delay_alu instid0(VALU_DEP_1) | instskip(NEXT) | instid1(VALU_DEP_1)
	v_pk_add_f32 v[8:9], v[8:9], v[12:13] neg_lo:[0,1] neg_hi:[0,1]
	v_add_f32_e32 v8, v8, v9
	s_delay_alu instid0(VALU_DEP_1) | instskip(NEXT) | instid1(VALU_DEP_1)
	v_add_f32_e32 v8, v11, v8
	v_mul_f32_e32 v9, v14, v8
	s_delay_alu instid0(VALU_DEP_1) | instskip(NEXT) | instid1(VALU_DEP_1)
	v_add_f32_e32 v8, v15, v9
	v_sub_f32_e32 v10, v8, v15
	s_delay_alu instid0(VALU_DEP_1) | instskip(NEXT) | instid1(VALU_DEP_1)
	v_sub_f32_e32 v20, v9, v10
	v_add_f32_e32 v10, v20, v20
	v_mul_f32_e32 v11, v8, v8
	s_delay_alu instid0(VALU_DEP_1) | instskip(NEXT) | instid1(VALU_DEP_1)
	v_fma_f32 v9, v8, v8, -v11
	v_fmac_f32_e32 v9, v8, v10
	s_delay_alu instid0(VALU_DEP_1) | instskip(NEXT) | instid1(VALU_DEP_1)
	v_add_f32_e32 v10, v11, v9
	v_dual_fmaak_f32 v12, s2, v10, 0x3e91f4c4 :: v_dual_sub_f32 v11, v10, v11
	s_delay_alu instid0(VALU_DEP_1) | instskip(SKIP_1) | instid1(VALU_DEP_2)
	v_fmaak_f32 v14, v10, v12, 0x3ecccdef
	v_cvt_f64_f32_e64 v[12:13], |v6|
	v_dual_sub_f32 v18, v9, v11 :: v_dual_mul_f32 v15, v10, v14
	s_delay_alu instid0(VALU_DEP_1) | instskip(NEXT) | instid1(VALU_DEP_1)
	v_fma_f32 v9, v10, v14, -v15
	v_fmac_f32_e32 v9, v18, v14
	s_delay_alu instid0(VALU_DEP_1) | instskip(NEXT) | instid1(VALU_DEP_1)
	v_add_f32_e32 v11, v15, v9
	v_sub_f32_e32 v14, v11, v15
	v_add_f32_e32 v15, 0x3f2aaaaa, v11
	s_delay_alu instid0(VALU_DEP_1) | instskip(SKIP_1) | instid1(VALU_DEP_2)
	v_dual_sub_f32 v9, v9, v14 :: v_dual_add_f32 v14, 0xbf2aaaaa, v15
	v_frexp_exp_i32_f64_e32 v19, v[12:13]
	v_sub_f32_e32 v11, v11, v14
	s_delay_alu instid0(VALU_DEP_3) | instskip(NEXT) | instid1(VALU_DEP_1)
	v_add_f32_e32 v9, 0x31739010, v9
	v_pk_mul_f32 v[12:13], v[8:9], v[10:11]
	s_delay_alu instid0(VALU_DEP_1) | instskip(NEXT) | instid1(VALU_DEP_1)
	v_fma_f32 v14, v10, v8, -v12
	v_fmac_f32_e32 v14, v10, v20
	s_delay_alu instid0(VALU_DEP_1) | instskip(SKIP_1) | instid1(VALU_DEP_1)
	v_fmac_f32_e32 v14, v18, v8
	v_pk_add_f32 v[16:17], v[8:9], v[10:11]
	v_mov_b32_e32 v13, v17
	v_subrev_co_ci_u32_e64 v9, null, 0, v19, vcc_lo
	s_delay_alu instid0(VALU_DEP_2) | instskip(NEXT) | instid1(VALU_DEP_2)
	v_pk_add_f32 v[10:11], v[12:13], v[14:15]
	v_cvt_f32_i32_e32 v9, v9
	s_delay_alu instid0(VALU_DEP_2) | instskip(NEXT) | instid1(VALU_DEP_3)
	v_mov_b32_e32 v16, v11
	v_dual_sub_f32 v13, v15, v11 :: v_dual_sub_f32 v15, v10, v12
	s_delay_alu instid0(VALU_DEP_2) | instskip(NEXT) | instid1(VALU_DEP_2)
	v_pk_mul_f32 v[18:19], v[10:11], v[16:17]
	v_dual_add_f32 v13, v17, v13 :: v_dual_sub_f32 v14, v14, v15
	s_delay_alu instid0(VALU_DEP_2) | instskip(NEXT) | instid1(VALU_DEP_1)
	v_fma_f32 v12, v10, v11, -v18
	v_fmac_f32_e32 v12, v10, v13
	s_delay_alu instid0(VALU_DEP_1) | instskip(SKIP_2) | instid1(VALU_DEP_3)
	v_fmac_f32_e32 v12, v14, v11
	v_mul_f32_e32 v16, 0x3f317218, v9
	v_ldexp_f32 v11, v8, 1
	v_add_f32_e32 v17, v18, v12
	s_delay_alu instid0(VALU_DEP_3) | instskip(NEXT) | instid1(VALU_DEP_2)
	v_fma_f32 v10, 0x3f317218, v9, -v16
	v_dual_mov_b32 v19, v11 :: v_dual_mov_b32 v14, v17
	s_delay_alu instid0(VALU_DEP_2) | instskip(NEXT) | instid1(VALU_DEP_1)
	v_fmamk_f32 v10, v9, 0xb102e308, v10
	v_pk_add_f32 v[8:9], v[16:17], v[10:11]
	v_mov_b32_e32 v13, v17
	v_ldexp_f32 v11, v20, 1
	s_delay_alu instid0(VALU_DEP_3) | instskip(NEXT) | instid1(VALU_DEP_1)
	v_dual_mov_b32 v15, v9 :: v_dual_mov_b32 v22, v9
	v_pk_add_f32 v[14:15], v[14:15], v[18:19] neg_lo:[0,1] neg_hi:[0,1]
	s_delay_alu instid0(VALU_DEP_1) | instskip(NEXT) | instid1(VALU_DEP_1)
	v_pk_add_f32 v[12:13], v[12:13], v[14:15] neg_lo:[0,1] neg_hi:[0,1]
	v_add_f32_e32 v11, v11, v12
	s_delay_alu instid0(VALU_DEP_1) | instskip(NEXT) | instid1(VALU_DEP_1)
	v_dual_add_f32 v17, v11, v13 :: v_dual_mov_b32 v11, v8
	v_pk_add_f32 v[12:13], v[8:9], v[16:17]
	v_pk_add_f32 v[14:15], v[8:9], v[16:17] neg_lo:[0,1] neg_hi:[0,1]
	s_delay_alu instid0(VALU_DEP_2) | instskip(NEXT) | instid1(VALU_DEP_1)
	v_mov_b32_e32 v15, v13
	v_pk_add_f32 v[18:19], v[10:11], v[14:15]
	v_pk_add_f32 v[10:11], v[10:11], v[14:15] neg_lo:[0,1] neg_hi:[0,1]
	s_delay_alu instid0(VALU_DEP_2) | instskip(NEXT) | instid1(VALU_DEP_1)
	v_dual_mov_b32 v16, v19 :: v_dual_mov_b32 v11, v19
	v_pk_add_f32 v[20:21], v[16:17], v[8:9] neg_lo:[0,1] neg_hi:[0,1]
	v_dual_mov_b32 v18, v13 :: v_dual_mov_b32 v9, v8
	s_delay_alu instid0(VALU_DEP_2) | instskip(SKIP_1) | instid1(VALU_DEP_2)
	v_dual_mov_b32 v8, v17 :: v_dual_mov_b32 v23, v20
	v_mov_b32_e32 v17, v20
	v_pk_add_f32 v[14:15], v[18:19], v[22:23] neg_lo:[0,1] neg_hi:[0,1]
	s_delay_alu instid0(VALU_DEP_2) | instskip(SKIP_1) | instid1(VALU_DEP_3)
	v_pk_add_f32 v[12:13], v[12:13], v[16:17] neg_lo:[0,1] neg_hi:[0,1]
	v_mov_b32_e32 v12, v10
	v_pk_add_f32 v[8:9], v[8:9], v[14:15] neg_lo:[0,1] neg_hi:[0,1]
	s_delay_alu instid0(VALU_DEP_1) | instskip(NEXT) | instid1(VALU_DEP_1)
	v_pk_add_f32 v[12:13], v[12:13], v[8:9]
	v_mov_b32_e32 v14, v13
	s_delay_alu instid0(VALU_DEP_1) | instskip(NEXT) | instid1(VALU_DEP_1)
	v_pk_add_f32 v[14:15], v[12:13], v[14:15]
	v_pk_add_f32 v[16:17], v[16:17], v[14:15]
	s_delay_alu instid0(VALU_DEP_1) | instskip(NEXT) | instid1(VALU_DEP_1)
	v_dual_mov_b32 v9, v14 :: v_dual_mov_b32 v13, v16
	v_pk_add_f32 v[18:19], v[12:13], v[10:11] neg_lo:[0,1] neg_hi:[0,1]
	s_delay_alu instid0(VALU_DEP_1) | instskip(NEXT) | instid1(VALU_DEP_2)
	v_sub_f32_e32 v11, v12, v18
	v_pk_add_f32 v[8:9], v[8:9], v[18:19] neg_lo:[0,1] neg_hi:[0,1]
	s_delay_alu instid0(VALU_DEP_2) | instskip(NEXT) | instid1(VALU_DEP_1)
	v_sub_f32_e32 v10, v10, v11
	v_add_f32_e32 v8, v8, v10
	s_delay_alu instid0(VALU_DEP_1) | instskip(NEXT) | instid1(VALU_DEP_1)
	v_add_f32_e32 v8, v8, v9
	v_add_f32_e32 v9, v16, v8
	s_delay_alu instid0(VALU_DEP_1) | instskip(NEXT) | instid1(VALU_DEP_1)
	v_dual_sub_f32 v10, v9, v16 :: v_dual_mul_f32 v11, v7, v9
	v_dual_sub_f32 v8, v8, v10 :: v_dual_fma_f32 v9, v7, v9, -v11
	v_cmp_class_f32_e64 vcc_lo, v11, 0x204
	s_delay_alu instid0(VALU_DEP_2) | instskip(NEXT) | instid1(VALU_DEP_1)
	v_fmac_f32_e32 v9, v7, v8
	v_add_f32_e32 v8, v11, v9
	s_delay_alu instid0(VALU_DEP_1) | instskip(NEXT) | instid1(VALU_DEP_1)
	v_cndmask_b32_e32 v10, v8, v11, vcc_lo
	v_cmp_eq_f32_e32 vcc_lo, 0x42b17218, v10
	v_cndmask_b32_e64 v12, 0, 0x37000000, vcc_lo
	v_cmp_neq_f32_e64 vcc_lo, 0x7f800000, |v10|
	s_delay_alu instid0(VALU_DEP_2) | instskip(SKIP_1) | instid1(VALU_DEP_2)
	v_dual_sub_f32 v13, v10, v12 :: v_dual_sub_f32 v8, v8, v11
	v_trunc_f32_e32 v10, v7
	v_mul_f32_e32 v14, 0x3fb8aa3b, v13
	s_delay_alu instid0(VALU_DEP_3) | instskip(NEXT) | instid1(VALU_DEP_2)
	v_sub_f32_e32 v8, v9, v8
	v_fma_f32 v15, 0x3fb8aa3b, v13, -v14
	v_rndne_f32_e32 v16, v14
	s_delay_alu instid0(VALU_DEP_3) | instskip(SKIP_1) | instid1(VALU_DEP_3)
	v_cndmask_b32_e32 v8, 0, v8, vcc_lo
	v_cmp_ngt_f32_e32 vcc_lo, 0xc2ce8ed0, v13
	v_dual_fmamk_f32 v15, v13, 0x32a5705f, v15 :: v_dual_sub_f32 v14, v14, v16
	s_delay_alu instid0(VALU_DEP_1) | instskip(NEXT) | instid1(VALU_DEP_1)
	v_add_f32_e32 v14, v14, v15
	v_exp_f32_e32 v11, v14
	v_nop
	v_cvt_i32_f32_e32 v14, v16
	s_delay_alu instid0(TRANS32_DEP_1) | instid1(VALU_DEP_1)
	v_ldexp_f32 v9, v11, v14
	s_delay_alu instid0(VALU_DEP_1) | instskip(NEXT) | instid1(VALU_DEP_1)
	v_dual_mul_f32 v11, 0.5, v7 :: v_dual_cndmask_b32 v9, 0, v9, vcc_lo
	v_trunc_f32_e32 v14, v11
	v_cmp_nlt_f32_e32 vcc_lo, 0x42b17218, v13
	v_add_f32_e32 v8, v12, v8
	s_delay_alu instid0(VALU_DEP_3) | instskip(SKIP_2) | instid1(VALU_DEP_2)
	v_cmp_neq_f32_e64 s2, v14, v11
	v_cndmask_b32_e32 v9, 0x7f800000, v9, vcc_lo
	v_cmp_eq_f32_e32 vcc_lo, v10, v7
	v_cmp_class_f32_e64 s3, v9, 0x204
	s_and_b32 s2, vcc_lo, s2
	s_delay_alu instid0(SALU_CYCLE_1) | instskip(NEXT) | instid1(VALU_DEP_1)
	v_dual_fma_f32 v8, v9, v8, v9 :: v_dual_cndmask_b32 v10, 1.0, v6, s2
	v_cndmask_b32_e64 v8, v8, v9, s3
	v_cndmask_b32_e64 v9, 0x7f800000, 0, s7
	v_cmp_gt_f32_e64 s3, 0, v7
	s_delay_alu instid0(VALU_DEP_3) | instskip(SKIP_1) | instid1(SALU_CYCLE_1)
	v_bfi_b32 v8, 0x7fffffff, v8, v10
	s_xor_b32 s3, s3, s4
	v_cndmask_b32_e64 v11, 0x7f800000, 0, s3
	s_delay_alu instid0(VALU_DEP_2) | instskip(SKIP_3) | instid1(VALU_DEP_4)
	v_cndmask_b32_e32 v10, 0x7fc00000, v8, vcc_lo
	v_cmp_neq_f32_e64 vcc_lo, |v6|, 1.0
	v_cndmask_b32_e32 v9, 1.0, v9, vcc_lo
	v_cmp_gt_f32_e32 vcc_lo, 0, v6
	v_cndmask_b32_e32 v8, v8, v10, vcc_lo
	v_cmp_class_f32_e64 vcc_lo, v7, 0x204
	v_cndmask_b32_e64 v10, 0, v6, s2
	v_cmp_class_f32_e64 s2, v6, 0x204
	s_delay_alu instid0(VALU_DEP_4) | instskip(NEXT) | instid1(VALU_DEP_3)
	v_cndmask_b32_e32 v7, v8, v9, vcc_lo
	v_bfi_b32 v8, 0x7fffffff, v11, v10
	s_or_b32 vcc_lo, s4, s2
	s_delay_alu instid0(VALU_DEP_1) | instskip(SKIP_3) | instid1(VALU_DEP_3)
	v_cndmask_b32_e32 v7, v7, v8, vcc_lo
	v_cmp_o_f32_e32 vcc_lo, v6, v6
	s_wait_loadcnt 0x0
	v_cvt_f32_i32_e32 v8, v24
	v_cndmask_b32_e32 v6, 0x7fc00000, v7, vcc_lo
	s_delay_alu instid0(VALU_DEP_1)
	v_mul_f32_e32 v6, v6, v8
.LBB9_17:
	s_wait_xcnt 0x0
	s_or_b32 exec_lo, exec_lo, s5
	s_cbranch_execz .LBB9_19
	s_branch .LBB9_32
.LBB9_18:
                                        ; implicit-def: $vgpr6
.LBB9_19:
	s_delay_alu instid0(VALU_DEP_1) | instskip(SKIP_1) | instid1(SALU_CYCLE_1)
	v_mul_hi_i32 v6, 0x55555556, v5
	s_mul_i32 s2, s17, 3
	v_cmp_le_i32_e64 s2, s2, v5
	s_delay_alu instid0(VALU_DEP_2) | instskip(NEXT) | instid1(VALU_DEP_1)
	v_lshrrev_b32_e32 v7, 31, v6
	v_add_nc_u32_e32 v6, v6, v7
	s_delay_alu instid0(VALU_DEP_1) | instskip(NEXT) | instid1(VALU_DEP_1)
	v_lshl_add_u32 v6, v6, 1, v6
	v_sub_nc_u32_e32 v7, v5, v6
                                        ; implicit-def: $vgpr6
	s_delay_alu instid0(VALU_DEP_1) | instskip(SKIP_1) | instid1(SALU_CYCLE_1)
	v_cmp_ne_u32_e32 vcc_lo, 1, v7
	s_or_b32 s2, vcc_lo, s2
	s_and_saveexec_b32 s3, s2
	s_delay_alu instid0(SALU_CYCLE_1)
	s_xor_b32 s5, exec_lo, s3
	s_cbranch_execz .LBB9_29
; %bb.20:
	s_mul_i32 s2, s18, 3
	v_cmp_ne_u32_e32 vcc_lo, 2, v7
	v_cmp_le_i32_e64 s2, s2, v5
                                        ; implicit-def: $vgpr6
	s_or_b32 s2, vcc_lo, s2
	s_delay_alu instid0(SALU_CYCLE_1) | instskip(NEXT) | instid1(SALU_CYCLE_1)
	s_and_saveexec_b32 s3, s2
	s_xor_b32 s7, exec_lo, s3
	s_cbranch_execz .LBB9_26
; %bb.21:
	s_mul_i32 s2, s16, 3
	v_cmp_ne_u32_e32 vcc_lo, 0, v7
	v_cmp_le_i32_e64 s2, s2, v5
                                        ; implicit-def: $vgpr6
	s_or_b32 s2, vcc_lo, s2
	s_delay_alu instid0(SALU_CYCLE_1) | instskip(NEXT) | instid1(SALU_CYCLE_1)
	s_and_saveexec_b32 s3, s2
	s_xor_b32 s16, exec_lo, s3
	s_cbranch_execz .LBB9_23
; %bb.22:
	v_cvt_f32_i32_e32 v4, v4
	s_cmp_neq_f32 s23, 1.0
	s_mov_b32 s2, 0x3e76c4e1
	v_mad_u32 v3, s6, 3, v3
	s_cselect_b32 vcc_lo, -1, 0
	v_mul_f32_e32 v4, 0.5, v4
	s_delay_alu instid0(VALU_DEP_1) | instskip(SKIP_3) | instid1(VALU_DEP_1)
	v_cndmask_b32_e32 v5, 1.0, v4, vcc_lo
	global_load_b32 v22, v3, s[24:25] scale_offset
	v_cmp_neq_f32_e32 vcc_lo, 0, v5
	v_cndmask_b32_e64 v4, 1.0, s23, vcc_lo
	v_frexp_mant_f32_e64 v6, |v4|
	v_cmp_lt_f32_e64 s18, |v4|, 1.0
	v_cmp_eq_f32_e64 s4, 0, v4
	s_delay_alu instid0(VALU_DEP_3) | instskip(SKIP_1) | instid1(VALU_DEP_1)
	v_cmp_gt_f32_e32 vcc_lo, 0x3f2aaaab, v6
	v_cndmask_b32_e64 v7, 1.0, 2.0, vcc_lo
	v_mul_f32_e32 v6, v6, v7
	s_delay_alu instid0(VALU_DEP_1) | instskip(SKIP_1) | instid1(VALU_DEP_2)
	v_dual_add_f32 v9, 1.0, v6 :: v_dual_add_f32 v7, -1.0, v6
	v_cmp_neq_f32_e64 s17, v5, |v5|
	v_rcp_f32_e32 v12, v9
	v_add_f32_e32 v10, -1.0, v9
	s_xor_b32 s17, s17, s18
	s_delay_alu instid0(TRANS32_DEP_1) | instid1(VALU_DEP_1)
	v_dual_sub_f32 v6, v6, v10 :: v_dual_mul_f32 v13, v7, v12
	s_delay_alu instid0(VALU_DEP_1) | instskip(NEXT) | instid1(VALU_DEP_1)
	v_mul_f32_e32 v8, v9, v13
	v_fma_f32 v10, v13, v9, -v8
	s_delay_alu instid0(VALU_DEP_1) | instskip(NEXT) | instid1(VALU_DEP_1)
	v_fmac_f32_e32 v10, v13, v6
	v_add_f32_e32 v6, v8, v10
	s_delay_alu instid0(VALU_DEP_1) | instskip(NEXT) | instid1(VALU_DEP_1)
	v_dual_sub_f32 v9, v7, v6 :: v_dual_mov_b32 v11, v6
	v_pk_add_f32 v[6:7], v[6:7], v[8:9] neg_lo:[0,1] neg_hi:[0,1]
	s_delay_alu instid0(VALU_DEP_1) | instskip(NEXT) | instid1(VALU_DEP_1)
	v_pk_add_f32 v[6:7], v[6:7], v[10:11] neg_lo:[0,1] neg_hi:[0,1]
	v_add_f32_e32 v6, v6, v7
	s_delay_alu instid0(VALU_DEP_1) | instskip(NEXT) | instid1(VALU_DEP_1)
	v_add_f32_e32 v6, v9, v6
	v_mul_f32_e32 v7, v12, v6
	s_delay_alu instid0(VALU_DEP_1) | instskip(NEXT) | instid1(VALU_DEP_1)
	v_add_f32_e32 v6, v13, v7
	v_sub_f32_e32 v8, v6, v13
	s_delay_alu instid0(VALU_DEP_1) | instskip(NEXT) | instid1(VALU_DEP_1)
	v_sub_f32_e32 v18, v7, v8
	v_add_f32_e32 v8, v18, v18
	v_mul_f32_e32 v9, v6, v6
	s_delay_alu instid0(VALU_DEP_1) | instskip(NEXT) | instid1(VALU_DEP_1)
	v_fma_f32 v7, v6, v6, -v9
	v_fmac_f32_e32 v7, v6, v8
	s_delay_alu instid0(VALU_DEP_1) | instskip(NEXT) | instid1(VALU_DEP_1)
	v_add_f32_e32 v8, v9, v7
	v_dual_fmaak_f32 v10, s2, v8, 0x3e91f4c4 :: v_dual_sub_f32 v9, v8, v9
	s_delay_alu instid0(VALU_DEP_1) | instskip(SKIP_1) | instid1(VALU_DEP_2)
	v_fmaak_f32 v12, v8, v10, 0x3ecccdef
	v_cvt_f64_f32_e64 v[10:11], |v4|
	v_dual_sub_f32 v16, v7, v9 :: v_dual_mul_f32 v13, v8, v12
	s_delay_alu instid0(VALU_DEP_1) | instskip(NEXT) | instid1(VALU_DEP_1)
	v_fma_f32 v7, v8, v12, -v13
	v_fmac_f32_e32 v7, v16, v12
	s_wait_xcnt 0x0
	s_delay_alu instid0(VALU_DEP_1) | instskip(NEXT) | instid1(VALU_DEP_1)
	v_add_f32_e32 v3, v13, v7
	v_sub_f32_e32 v9, v3, v13
	v_add_f32_e32 v13, 0x3f2aaaaa, v3
	s_delay_alu instid0(VALU_DEP_2) | instskip(NEXT) | instid1(VALU_DEP_2)
	v_sub_f32_e32 v7, v7, v9
	v_add_f32_e32 v9, 0xbf2aaaaa, v13
	v_frexp_exp_i32_f64_e32 v17, v[10:11]
	s_delay_alu instid0(VALU_DEP_3) | instskip(NEXT) | instid1(VALU_DEP_3)
	v_add_f32_e32 v7, 0x31739010, v7
	v_sub_f32_e32 v9, v3, v9
	s_delay_alu instid0(VALU_DEP_1) | instskip(SKIP_1) | instid1(VALU_DEP_1)
	v_pk_mul_f32 v[10:11], v[6:7], v[8:9]
	v_pk_add_f32 v[14:15], v[6:7], v[8:9]
	v_dual_fma_f32 v12, v8, v6, -v10 :: v_dual_mov_b32 v11, v15
	s_delay_alu instid0(VALU_DEP_1) | instskip(NEXT) | instid1(VALU_DEP_1)
	v_fmac_f32_e32 v12, v8, v18
	v_fmac_f32_e32 v12, v16, v6
	s_delay_alu instid0(VALU_DEP_1) | instskip(SKIP_1) | instid1(VALU_DEP_2)
	v_pk_add_f32 v[8:9], v[10:11], v[12:13]
	v_subrev_co_ci_u32_e64 v3, null, 0, v17, vcc_lo
	v_mov_b32_e32 v14, v9
	s_delay_alu instid0(VALU_DEP_3) | instskip(NEXT) | instid1(VALU_DEP_3)
	v_dual_sub_f32 v7, v13, v9 :: v_dual_sub_f32 v11, v8, v10
	v_cvt_f32_i32_e32 v3, v3
	s_delay_alu instid0(VALU_DEP_3) | instskip(NEXT) | instid1(VALU_DEP_3)
	v_pk_mul_f32 v[16:17], v[8:9], v[14:15]
	v_add_f32_e32 v7, v15, v7
	s_delay_alu instid0(VALU_DEP_4) | instskip(NEXT) | instid1(VALU_DEP_3)
	v_sub_f32_e32 v11, v12, v11
	v_fma_f32 v10, v8, v9, -v16
	s_delay_alu instid0(VALU_DEP_1) | instskip(NEXT) | instid1(VALU_DEP_1)
	v_fmac_f32_e32 v10, v8, v7
	v_fmac_f32_e32 v10, v11, v9
	v_mul_f32_e32 v14, 0x3f317218, v3
	v_ldexp_f32 v9, v6, 1
	s_delay_alu instid0(VALU_DEP_3) | instskip(NEXT) | instid1(VALU_DEP_3)
	v_add_f32_e32 v15, v16, v10
	v_fma_f32 v7, 0x3f317218, v3, -v14
	s_delay_alu instid0(VALU_DEP_2) | instskip(NEXT) | instid1(VALU_DEP_2)
	v_dual_mov_b32 v17, v9 :: v_dual_mov_b32 v11, v15
	v_fmamk_f32 v8, v3, 0xb102e308, v7
	v_ldexp_f32 v3, v18, 1
	s_delay_alu instid0(VALU_DEP_2) | instskip(NEXT) | instid1(VALU_DEP_1)
	v_pk_add_f32 v[6:7], v[14:15], v[8:9]
	v_dual_mov_b32 v12, v15 :: v_dual_mov_b32 v13, v7
	s_delay_alu instid0(VALU_DEP_2) | instskip(NEXT) | instid1(VALU_DEP_2)
	v_dual_mov_b32 v9, v6 :: v_dual_mov_b32 v20, v7
	v_pk_add_f32 v[12:13], v[12:13], v[16:17] neg_lo:[0,1] neg_hi:[0,1]
	s_delay_alu instid0(VALU_DEP_1) | instskip(NEXT) | instid1(VALU_DEP_1)
	v_pk_add_f32 v[10:11], v[10:11], v[12:13] neg_lo:[0,1] neg_hi:[0,1]
	v_add_f32_e32 v3, v3, v10
	s_delay_alu instid0(VALU_DEP_1) | instskip(NEXT) | instid1(VALU_DEP_1)
	v_add_f32_e32 v15, v3, v11
	v_pk_add_f32 v[10:11], v[6:7], v[14:15]
	v_pk_add_f32 v[12:13], v[6:7], v[14:15] neg_lo:[0,1] neg_hi:[0,1]
	s_delay_alu instid0(VALU_DEP_2) | instskip(NEXT) | instid1(VALU_DEP_1)
	v_mov_b32_e32 v13, v11
	v_pk_add_f32 v[16:17], v[8:9], v[12:13]
	v_mov_b32_e32 v16, v11
	v_pk_add_f32 v[8:9], v[8:9], v[12:13] neg_lo:[0,1] neg_hi:[0,1]
	s_delay_alu instid0(VALU_DEP_3) | instskip(NEXT) | instid1(VALU_DEP_1)
	v_dual_mov_b32 v14, v17 :: v_dual_mov_b32 v9, v17
	v_pk_add_f32 v[18:19], v[14:15], v[6:7] neg_lo:[0,1] neg_hi:[0,1]
	v_dual_mov_b32 v7, v6 :: v_dual_mov_b32 v6, v15
	s_delay_alu instid0(VALU_DEP_2) | instskip(NEXT) | instid1(VALU_DEP_1)
	v_dual_mov_b32 v21, v18 :: v_dual_mov_b32 v3, v18
	v_pk_add_f32 v[12:13], v[16:17], v[20:21] neg_lo:[0,1] neg_hi:[0,1]
	s_delay_alu instid0(VALU_DEP_2) | instskip(SKIP_1) | instid1(VALU_DEP_3)
	v_pk_add_f32 v[10:11], v[10:11], v[2:3] neg_lo:[0,1] neg_hi:[0,1]
	v_mov_b32_e32 v10, v8
	v_pk_add_f32 v[6:7], v[6:7], v[12:13] neg_lo:[0,1] neg_hi:[0,1]
	s_delay_alu instid0(VALU_DEP_1) | instskip(NEXT) | instid1(VALU_DEP_1)
	v_pk_add_f32 v[10:11], v[10:11], v[6:7]
	v_mov_b32_e32 v12, v11
	s_delay_alu instid0(VALU_DEP_1) | instskip(NEXT) | instid1(VALU_DEP_1)
	v_pk_add_f32 v[12:13], v[10:11], v[12:13]
	v_pk_add_f32 v[14:15], v[14:15], v[12:13]
	s_delay_alu instid0(VALU_DEP_1) | instskip(NEXT) | instid1(VALU_DEP_1)
	v_dual_mov_b32 v7, v12 :: v_dual_mov_b32 v11, v14
	v_pk_add_f32 v[16:17], v[10:11], v[8:9] neg_lo:[0,1] neg_hi:[0,1]
	s_delay_alu instid0(VALU_DEP_1) | instskip(NEXT) | instid1(VALU_DEP_2)
	v_sub_f32_e32 v3, v10, v16
	v_pk_add_f32 v[6:7], v[6:7], v[16:17] neg_lo:[0,1] neg_hi:[0,1]
	s_delay_alu instid0(VALU_DEP_2) | instskip(NEXT) | instid1(VALU_DEP_1)
	v_sub_f32_e32 v3, v8, v3
	v_add_f32_e32 v3, v6, v3
	s_delay_alu instid0(VALU_DEP_1) | instskip(NEXT) | instid1(VALU_DEP_1)
	v_add_f32_e32 v3, v3, v7
	v_add_f32_e32 v6, v14, v3
	s_delay_alu instid0(VALU_DEP_1) | instskip(NEXT) | instid1(VALU_DEP_1)
	v_sub_f32_e32 v7, v6, v14
	v_dual_mul_f32 v8, v5, v6 :: v_dual_sub_f32 v3, v3, v7
	s_delay_alu instid0(VALU_DEP_1) | instskip(SKIP_1) | instid1(VALU_DEP_2)
	v_fma_f32 v6, v5, v6, -v8
	v_cmp_class_f32_e64 vcc_lo, v8, 0x204
	v_fmac_f32_e32 v6, v5, v3
	s_delay_alu instid0(VALU_DEP_1) | instskip(NEXT) | instid1(VALU_DEP_1)
	v_add_f32_e32 v3, v8, v6
	v_cndmask_b32_e32 v7, v3, v8, vcc_lo
	s_delay_alu instid0(VALU_DEP_1) | instskip(SKIP_2) | instid1(VALU_DEP_2)
	v_cmp_eq_f32_e32 vcc_lo, 0x42b17218, v7
	v_cndmask_b32_e64 v9, 0, 0x37000000, vcc_lo
	v_cmp_neq_f32_e64 vcc_lo, 0x7f800000, |v7|
	v_sub_f32_e32 v10, v7, v9
	v_trunc_f32_e32 v7, v5
	s_delay_alu instid0(VALU_DEP_2) | instskip(NEXT) | instid1(VALU_DEP_1)
	v_mul_f32_e32 v11, 0x3fb8aa3b, v10
	v_fma_f32 v12, 0x3fb8aa3b, v10, -v11
	v_rndne_f32_e32 v13, v11
	s_delay_alu instid0(VALU_DEP_1) | instskip(SKIP_1) | instid1(VALU_DEP_1)
	v_dual_fmamk_f32 v12, v10, 0x32a5705f, v12 :: v_dual_sub_f32 v11, v11, v13
	v_sub_f32_e32 v3, v3, v8
	v_dual_add_f32 v11, v11, v12 :: v_dual_sub_f32 v3, v6, v3
	s_delay_alu instid0(VALU_DEP_1) | instskip(SKIP_2) | instid1(VALU_DEP_3)
	v_exp_f32_e32 v8, v11
	v_nop
	v_cvt_i32_f32_e32 v11, v13
	v_cndmask_b32_e32 v3, 0, v3, vcc_lo
	v_cmp_ngt_f32_e32 vcc_lo, 0xc2ce8ed0, v10
	s_delay_alu instid0(TRANS32_DEP_1) | instid1(VALU_DEP_3)
	v_ldexp_f32 v6, v8, v11
	s_delay_alu instid0(VALU_DEP_1) | instskip(NEXT) | instid1(VALU_DEP_1)
	v_dual_mul_f32 v8, 0.5, v5 :: v_dual_cndmask_b32 v6, 0, v6, vcc_lo
	v_trunc_f32_e32 v11, v8
	v_cmp_nlt_f32_e32 vcc_lo, 0x42b17218, v10
	s_delay_alu instid0(VALU_DEP_2) | instskip(NEXT) | instid1(VALU_DEP_4)
	v_cmp_neq_f32_e64 s2, v11, v8
	v_cndmask_b32_e32 v6, 0x7f800000, v6, vcc_lo
	v_cmp_eq_f32_e32 vcc_lo, v7, v5
	s_delay_alu instid0(VALU_DEP_2) | instskip(SKIP_1) | instid1(SALU_CYCLE_1)
	v_cmp_class_f32_e64 s3, v6, 0x204
	s_and_b32 s2, vcc_lo, s2
	v_dual_cndmask_b32 v7, 1.0, v4, s2 :: v_dual_add_f32 v3, v9, v3
	s_delay_alu instid0(VALU_DEP_1) | instskip(NEXT) | instid1(VALU_DEP_1)
	v_fma_f32 v3, v6, v3, v6
	v_cndmask_b32_e64 v3, v3, v6, s3
	v_cndmask_b32_e64 v6, 0x7f800000, 0, s17
	v_cmp_gt_f32_e64 s3, 0, v5
	s_delay_alu instid0(VALU_DEP_3) | instskip(SKIP_1) | instid1(SALU_CYCLE_1)
	v_bfi_b32 v3, 0x7fffffff, v3, v7
	s_xor_b32 s3, s3, s4
	v_cndmask_b32_e64 v8, 0x7f800000, 0, s3
	s_delay_alu instid0(VALU_DEP_2) | instskip(SKIP_3) | instid1(VALU_DEP_3)
	v_cndmask_b32_e32 v7, 0x7fc00000, v3, vcc_lo
	v_cmp_neq_f32_e64 vcc_lo, |v4|, 1.0
	v_cndmask_b32_e32 v6, 1.0, v6, vcc_lo
	v_cmp_gt_f32_e32 vcc_lo, 0, v4
	v_dual_cndmask_b32 v3, v3, v7, vcc_lo :: v_dual_cndmask_b32 v7, 0, v4, s2
	v_cmp_class_f32_e64 vcc_lo, v5, 0x204
	v_cmp_class_f32_e64 s2, v4, 0x204
	s_delay_alu instid0(VALU_DEP_3) | instskip(NEXT) | instid1(VALU_DEP_4)
	v_bfi_b32 v5, 0x7fffffff, v8, v7
	v_cndmask_b32_e32 v3, v3, v6, vcc_lo
	s_or_b32 vcc_lo, s4, s2
	s_delay_alu instid0(VALU_DEP_1) | instskip(SKIP_3) | instid1(VALU_DEP_3)
	v_cndmask_b32_e32 v3, v3, v5, vcc_lo
	v_cmp_o_f32_e32 vcc_lo, v4, v4
	s_wait_loadcnt 0x0
	v_cvt_f32_i32_e32 v5, v22
                                        ; implicit-def: $vgpr4
	v_cndmask_b32_e32 v3, 0x7fc00000, v3, vcc_lo
	s_delay_alu instid0(VALU_DEP_1)
	v_mul_f32_e32 v6, v3, v5
                                        ; implicit-def: $vgpr3
.LBB9_23:
	s_and_not1_saveexec_b32 s16, s16
	s_cbranch_execz .LBB9_25
; %bb.24:
	v_cvt_f32_i32_e32 v4, v4
	s_cmp_neq_f32 s23, 1.0
	s_mov_b32 s2, 0x3e76c4e1
	global_load_b32 v22, v3, s[24:25] scale_offset
	s_cselect_b32 vcc_lo, -1, 0
	v_mul_f32_e32 v4, 0.5, v4
	s_delay_alu instid0(VALU_DEP_1) | instskip(NEXT) | instid1(VALU_DEP_1)
	v_cndmask_b32_e32 v5, 1.0, v4, vcc_lo
	v_cmp_neq_f32_e32 vcc_lo, 0, v5
	v_cndmask_b32_e64 v4, 1.0, s23, vcc_lo
	s_delay_alu instid0(VALU_DEP_1) | instskip(SKIP_2) | instid1(VALU_DEP_3)
	v_frexp_mant_f32_e64 v6, |v4|
	v_cmp_lt_f32_e64 s18, |v4|, 1.0
	v_cmp_eq_f32_e64 s4, 0, v4
	v_cmp_gt_f32_e32 vcc_lo, 0x3f2aaaab, v6
	v_cndmask_b32_e64 v7, 1.0, 2.0, vcc_lo
	s_delay_alu instid0(VALU_DEP_1) | instskip(NEXT) | instid1(VALU_DEP_1)
	v_mul_f32_e32 v6, v6, v7
	v_dual_add_f32 v9, 1.0, v6 :: v_dual_add_f32 v7, -1.0, v6
	v_cmp_neq_f32_e64 s17, v5, |v5|
	s_delay_alu instid0(VALU_DEP_2)
	v_rcp_f32_e32 v12, v9
	v_add_f32_e32 v10, -1.0, v9
	s_xor_b32 s17, s17, s18
	s_delay_alu instid0(TRANS32_DEP_1) | instid1(VALU_DEP_1)
	v_dual_sub_f32 v6, v6, v10 :: v_dual_mul_f32 v13, v7, v12
	s_delay_alu instid0(VALU_DEP_1) | instskip(NEXT) | instid1(VALU_DEP_1)
	v_mul_f32_e32 v8, v9, v13
	v_fma_f32 v10, v13, v9, -v8
	s_delay_alu instid0(VALU_DEP_1) | instskip(NEXT) | instid1(VALU_DEP_1)
	v_fmac_f32_e32 v10, v13, v6
	v_add_f32_e32 v6, v8, v10
	s_delay_alu instid0(VALU_DEP_1) | instskip(NEXT) | instid1(VALU_DEP_1)
	v_dual_sub_f32 v9, v7, v6 :: v_dual_mov_b32 v11, v6
	v_pk_add_f32 v[6:7], v[6:7], v[8:9] neg_lo:[0,1] neg_hi:[0,1]
	s_delay_alu instid0(VALU_DEP_1) | instskip(NEXT) | instid1(VALU_DEP_1)
	v_pk_add_f32 v[6:7], v[6:7], v[10:11] neg_lo:[0,1] neg_hi:[0,1]
	v_add_f32_e32 v6, v6, v7
	s_delay_alu instid0(VALU_DEP_1) | instskip(NEXT) | instid1(VALU_DEP_1)
	v_add_f32_e32 v6, v9, v6
	v_mul_f32_e32 v7, v12, v6
	s_delay_alu instid0(VALU_DEP_1) | instskip(NEXT) | instid1(VALU_DEP_1)
	v_add_f32_e32 v6, v13, v7
	v_sub_f32_e32 v8, v6, v13
	s_delay_alu instid0(VALU_DEP_1) | instskip(NEXT) | instid1(VALU_DEP_1)
	v_sub_f32_e32 v18, v7, v8
	v_add_f32_e32 v8, v18, v18
	v_mul_f32_e32 v9, v6, v6
	s_delay_alu instid0(VALU_DEP_1) | instskip(NEXT) | instid1(VALU_DEP_1)
	v_fma_f32 v7, v6, v6, -v9
	v_fmac_f32_e32 v7, v6, v8
	s_delay_alu instid0(VALU_DEP_1) | instskip(NEXT) | instid1(VALU_DEP_1)
	v_add_f32_e32 v8, v9, v7
	v_dual_fmaak_f32 v10, s2, v8, 0x3e91f4c4 :: v_dual_sub_f32 v9, v8, v9
	s_delay_alu instid0(VALU_DEP_1) | instskip(SKIP_1) | instid1(VALU_DEP_2)
	v_fmaak_f32 v12, v8, v10, 0x3ecccdef
	v_cvt_f64_f32_e64 v[10:11], |v4|
	v_dual_sub_f32 v16, v7, v9 :: v_dual_mul_f32 v13, v8, v12
	s_delay_alu instid0(VALU_DEP_1) | instskip(NEXT) | instid1(VALU_DEP_1)
	v_fma_f32 v7, v8, v12, -v13
	v_fmac_f32_e32 v7, v16, v12
	s_wait_xcnt 0x0
	s_delay_alu instid0(VALU_DEP_1) | instskip(NEXT) | instid1(VALU_DEP_1)
	v_add_f32_e32 v3, v13, v7
	v_sub_f32_e32 v9, v3, v13
	v_add_f32_e32 v13, 0x3f2aaaaa, v3
	s_delay_alu instid0(VALU_DEP_2) | instskip(NEXT) | instid1(VALU_DEP_2)
	v_sub_f32_e32 v7, v7, v9
	v_add_f32_e32 v9, 0xbf2aaaaa, v13
	v_frexp_exp_i32_f64_e32 v17, v[10:11]
	s_delay_alu instid0(VALU_DEP_3) | instskip(NEXT) | instid1(VALU_DEP_3)
	v_add_f32_e32 v7, 0x31739010, v7
	v_sub_f32_e32 v9, v3, v9
	s_delay_alu instid0(VALU_DEP_1) | instskip(SKIP_1) | instid1(VALU_DEP_1)
	v_pk_mul_f32 v[10:11], v[6:7], v[8:9]
	v_pk_add_f32 v[14:15], v[6:7], v[8:9]
	v_dual_fma_f32 v12, v8, v6, -v10 :: v_dual_mov_b32 v11, v15
	s_delay_alu instid0(VALU_DEP_1) | instskip(NEXT) | instid1(VALU_DEP_1)
	v_fmac_f32_e32 v12, v8, v18
	v_fmac_f32_e32 v12, v16, v6
	s_delay_alu instid0(VALU_DEP_1) | instskip(SKIP_1) | instid1(VALU_DEP_2)
	v_pk_add_f32 v[8:9], v[10:11], v[12:13]
	v_subrev_co_ci_u32_e64 v3, null, 0, v17, vcc_lo
	v_mov_b32_e32 v14, v9
	s_delay_alu instid0(VALU_DEP_3) | instskip(NEXT) | instid1(VALU_DEP_3)
	v_dual_sub_f32 v7, v13, v9 :: v_dual_sub_f32 v11, v8, v10
	v_cvt_f32_i32_e32 v3, v3
	s_delay_alu instid0(VALU_DEP_3) | instskip(NEXT) | instid1(VALU_DEP_3)
	v_pk_mul_f32 v[16:17], v[8:9], v[14:15]
	v_add_f32_e32 v7, v15, v7
	s_delay_alu instid0(VALU_DEP_4) | instskip(NEXT) | instid1(VALU_DEP_3)
	v_sub_f32_e32 v11, v12, v11
	v_fma_f32 v10, v8, v9, -v16
	s_delay_alu instid0(VALU_DEP_1) | instskip(NEXT) | instid1(VALU_DEP_1)
	v_fmac_f32_e32 v10, v8, v7
	v_fmac_f32_e32 v10, v11, v9
	v_mul_f32_e32 v14, 0x3f317218, v3
	v_ldexp_f32 v9, v6, 1
	s_delay_alu instid0(VALU_DEP_3) | instskip(NEXT) | instid1(VALU_DEP_3)
	v_add_f32_e32 v15, v16, v10
	v_fma_f32 v7, 0x3f317218, v3, -v14
	s_delay_alu instid0(VALU_DEP_2) | instskip(NEXT) | instid1(VALU_DEP_2)
	v_dual_mov_b32 v17, v9 :: v_dual_mov_b32 v11, v15
	v_fmamk_f32 v8, v3, 0xb102e308, v7
	v_ldexp_f32 v3, v18, 1
	s_delay_alu instid0(VALU_DEP_2) | instskip(NEXT) | instid1(VALU_DEP_1)
	v_pk_add_f32 v[6:7], v[14:15], v[8:9]
	v_dual_mov_b32 v12, v15 :: v_dual_mov_b32 v13, v7
	s_delay_alu instid0(VALU_DEP_2) | instskip(NEXT) | instid1(VALU_DEP_2)
	v_dual_mov_b32 v9, v6 :: v_dual_mov_b32 v20, v7
	v_pk_add_f32 v[12:13], v[12:13], v[16:17] neg_lo:[0,1] neg_hi:[0,1]
	s_delay_alu instid0(VALU_DEP_1) | instskip(NEXT) | instid1(VALU_DEP_1)
	v_pk_add_f32 v[10:11], v[10:11], v[12:13] neg_lo:[0,1] neg_hi:[0,1]
	v_add_f32_e32 v3, v3, v10
	s_delay_alu instid0(VALU_DEP_1) | instskip(NEXT) | instid1(VALU_DEP_1)
	v_add_f32_e32 v15, v3, v11
	v_pk_add_f32 v[10:11], v[6:7], v[14:15]
	v_pk_add_f32 v[12:13], v[6:7], v[14:15] neg_lo:[0,1] neg_hi:[0,1]
	s_delay_alu instid0(VALU_DEP_2) | instskip(NEXT) | instid1(VALU_DEP_1)
	v_mov_b32_e32 v13, v11
	v_pk_add_f32 v[16:17], v[8:9], v[12:13]
	v_mov_b32_e32 v16, v11
	v_pk_add_f32 v[8:9], v[8:9], v[12:13] neg_lo:[0,1] neg_hi:[0,1]
	s_delay_alu instid0(VALU_DEP_3) | instskip(NEXT) | instid1(VALU_DEP_1)
	v_dual_mov_b32 v14, v17 :: v_dual_mov_b32 v9, v17
	v_pk_add_f32 v[18:19], v[14:15], v[6:7] neg_lo:[0,1] neg_hi:[0,1]
	v_dual_mov_b32 v7, v6 :: v_dual_mov_b32 v6, v15
	s_delay_alu instid0(VALU_DEP_2) | instskip(NEXT) | instid1(VALU_DEP_1)
	v_dual_mov_b32 v21, v18 :: v_dual_mov_b32 v3, v18
	v_pk_add_f32 v[12:13], v[16:17], v[20:21] neg_lo:[0,1] neg_hi:[0,1]
	s_delay_alu instid0(VALU_DEP_2) | instskip(SKIP_1) | instid1(VALU_DEP_3)
	v_pk_add_f32 v[10:11], v[10:11], v[2:3] neg_lo:[0,1] neg_hi:[0,1]
	v_mov_b32_e32 v10, v8
	v_pk_add_f32 v[6:7], v[6:7], v[12:13] neg_lo:[0,1] neg_hi:[0,1]
	s_delay_alu instid0(VALU_DEP_1) | instskip(NEXT) | instid1(VALU_DEP_1)
	v_pk_add_f32 v[10:11], v[10:11], v[6:7]
	v_mov_b32_e32 v12, v11
	s_delay_alu instid0(VALU_DEP_1) | instskip(NEXT) | instid1(VALU_DEP_1)
	v_pk_add_f32 v[12:13], v[10:11], v[12:13]
	v_pk_add_f32 v[14:15], v[14:15], v[12:13]
	s_delay_alu instid0(VALU_DEP_1) | instskip(NEXT) | instid1(VALU_DEP_1)
	v_dual_mov_b32 v7, v12 :: v_dual_mov_b32 v11, v14
	v_pk_add_f32 v[16:17], v[10:11], v[8:9] neg_lo:[0,1] neg_hi:[0,1]
	s_delay_alu instid0(VALU_DEP_1) | instskip(NEXT) | instid1(VALU_DEP_2)
	v_sub_f32_e32 v3, v10, v16
	v_pk_add_f32 v[6:7], v[6:7], v[16:17] neg_lo:[0,1] neg_hi:[0,1]
	s_delay_alu instid0(VALU_DEP_2) | instskip(NEXT) | instid1(VALU_DEP_1)
	v_sub_f32_e32 v3, v8, v3
	v_add_f32_e32 v3, v6, v3
	s_delay_alu instid0(VALU_DEP_1) | instskip(NEXT) | instid1(VALU_DEP_1)
	v_add_f32_e32 v3, v3, v7
	v_add_f32_e32 v6, v14, v3
	s_delay_alu instid0(VALU_DEP_1) | instskip(NEXT) | instid1(VALU_DEP_1)
	v_sub_f32_e32 v7, v6, v14
	v_dual_mul_f32 v8, v5, v6 :: v_dual_sub_f32 v3, v3, v7
	s_delay_alu instid0(VALU_DEP_1) | instskip(SKIP_1) | instid1(VALU_DEP_2)
	v_fma_f32 v6, v5, v6, -v8
	v_cmp_class_f32_e64 vcc_lo, v8, 0x204
	v_fmac_f32_e32 v6, v5, v3
	s_delay_alu instid0(VALU_DEP_1) | instskip(NEXT) | instid1(VALU_DEP_1)
	v_add_f32_e32 v3, v8, v6
	v_cndmask_b32_e32 v7, v3, v8, vcc_lo
	s_delay_alu instid0(VALU_DEP_1) | instskip(SKIP_2) | instid1(VALU_DEP_2)
	v_cmp_eq_f32_e32 vcc_lo, 0x42b17218, v7
	v_cndmask_b32_e64 v9, 0, 0x37000000, vcc_lo
	v_cmp_neq_f32_e64 vcc_lo, 0x7f800000, |v7|
	v_sub_f32_e32 v10, v7, v9
	v_trunc_f32_e32 v7, v5
	s_delay_alu instid0(VALU_DEP_2) | instskip(NEXT) | instid1(VALU_DEP_1)
	v_mul_f32_e32 v11, 0x3fb8aa3b, v10
	v_fma_f32 v12, 0x3fb8aa3b, v10, -v11
	v_rndne_f32_e32 v13, v11
	s_delay_alu instid0(VALU_DEP_1) | instskip(SKIP_1) | instid1(VALU_DEP_1)
	v_dual_fmamk_f32 v12, v10, 0x32a5705f, v12 :: v_dual_sub_f32 v11, v11, v13
	v_sub_f32_e32 v3, v3, v8
	v_dual_add_f32 v11, v11, v12 :: v_dual_sub_f32 v3, v6, v3
	s_delay_alu instid0(VALU_DEP_1) | instskip(SKIP_2) | instid1(VALU_DEP_3)
	v_exp_f32_e32 v8, v11
	v_nop
	v_cvt_i32_f32_e32 v11, v13
	v_cndmask_b32_e32 v3, 0, v3, vcc_lo
	v_cmp_ngt_f32_e32 vcc_lo, 0xc2ce8ed0, v10
	s_delay_alu instid0(TRANS32_DEP_1) | instid1(VALU_DEP_3)
	v_ldexp_f32 v6, v8, v11
	s_delay_alu instid0(VALU_DEP_1) | instskip(NEXT) | instid1(VALU_DEP_1)
	v_dual_mul_f32 v8, 0.5, v5 :: v_dual_cndmask_b32 v6, 0, v6, vcc_lo
	v_trunc_f32_e32 v11, v8
	v_cmp_nlt_f32_e32 vcc_lo, 0x42b17218, v10
	s_delay_alu instid0(VALU_DEP_2) | instskip(NEXT) | instid1(VALU_DEP_4)
	v_cmp_neq_f32_e64 s2, v11, v8
	v_cndmask_b32_e32 v6, 0x7f800000, v6, vcc_lo
	v_cmp_eq_f32_e32 vcc_lo, v7, v5
	s_delay_alu instid0(VALU_DEP_2) | instskip(SKIP_1) | instid1(SALU_CYCLE_1)
	v_cmp_class_f32_e64 s3, v6, 0x204
	s_and_b32 s2, vcc_lo, s2
	v_dual_cndmask_b32 v7, 1.0, v4, s2 :: v_dual_add_f32 v3, v9, v3
	s_delay_alu instid0(VALU_DEP_1) | instskip(NEXT) | instid1(VALU_DEP_1)
	v_fma_f32 v3, v6, v3, v6
	v_cndmask_b32_e64 v3, v3, v6, s3
	v_cndmask_b32_e64 v6, 0x7f800000, 0, s17
	v_cmp_gt_f32_e64 s3, 0, v5
	s_delay_alu instid0(VALU_DEP_3) | instskip(SKIP_1) | instid1(SALU_CYCLE_1)
	v_bfi_b32 v3, 0x7fffffff, v3, v7
	s_xor_b32 s3, s3, s4
	v_cndmask_b32_e64 v8, 0x7f800000, 0, s3
	s_delay_alu instid0(VALU_DEP_2) | instskip(SKIP_3) | instid1(VALU_DEP_3)
	v_cndmask_b32_e32 v7, 0x7fc00000, v3, vcc_lo
	v_cmp_neq_f32_e64 vcc_lo, |v4|, 1.0
	v_cndmask_b32_e32 v6, 1.0, v6, vcc_lo
	v_cmp_gt_f32_e32 vcc_lo, 0, v4
	v_dual_cndmask_b32 v3, v3, v7, vcc_lo :: v_dual_cndmask_b32 v7, 0, v4, s2
	v_cmp_class_f32_e64 vcc_lo, v5, 0x204
	v_cmp_class_f32_e64 s2, v4, 0x204
	s_delay_alu instid0(VALU_DEP_3) | instskip(NEXT) | instid1(VALU_DEP_4)
	v_bfi_b32 v5, 0x7fffffff, v8, v7
	v_cndmask_b32_e32 v3, v3, v6, vcc_lo
	s_or_b32 vcc_lo, s4, s2
	s_delay_alu instid0(VALU_DEP_1) | instskip(SKIP_3) | instid1(VALU_DEP_3)
	v_cndmask_b32_e32 v3, v3, v5, vcc_lo
	v_cmp_o_f32_e32 vcc_lo, v4, v4
	s_wait_loadcnt 0x0
	v_cvt_f32_i32_e32 v5, v22
	v_cndmask_b32_e32 v3, 0x7fc00000, v3, vcc_lo
	s_delay_alu instid0(VALU_DEP_1)
	v_mul_f32_e32 v6, v3, v5
.LBB9_25:
	s_or_b32 exec_lo, exec_lo, s16
                                        ; implicit-def: $vgpr3
                                        ; implicit-def: $vgpr4
.LBB9_26:
	s_and_not1_saveexec_b32 s7, s7
	s_cbranch_execz .LBB9_28
; %bb.27:
	v_cvt_f32_i32_e32 v4, v4
	s_cmp_neq_f32 s23, 1.0
	s_mov_b32 s2, 0x3e76c4e1
	v_lshl_add_u32 v3, s6, 1, v3
	s_cselect_b32 vcc_lo, -1, 0
	v_mul_f32_e32 v4, 0.5, v4
	global_load_b32 v22, v3, s[24:25] scale_offset
	v_cndmask_b32_e32 v5, 1.0, v4, vcc_lo
	s_delay_alu instid0(VALU_DEP_1) | instskip(SKIP_1) | instid1(VALU_DEP_1)
	v_cmp_neq_f32_e32 vcc_lo, 0, v5
	v_cndmask_b32_e64 v4, 1.0, s23, vcc_lo
	v_frexp_mant_f32_e64 v6, |v4|
	v_cmp_lt_f32_e64 s17, |v4|, 1.0
	v_cmp_eq_f32_e64 s4, 0, v4
	s_delay_alu instid0(VALU_DEP_3) | instskip(SKIP_1) | instid1(VALU_DEP_1)
	v_cmp_gt_f32_e32 vcc_lo, 0x3f2aaaab, v6
	v_cndmask_b32_e64 v7, 1.0, 2.0, vcc_lo
	v_mul_f32_e32 v6, v6, v7
	s_delay_alu instid0(VALU_DEP_1) | instskip(SKIP_1) | instid1(VALU_DEP_2)
	v_dual_add_f32 v9, 1.0, v6 :: v_dual_add_f32 v7, -1.0, v6
	v_cmp_neq_f32_e64 s16, v5, |v5|
	v_rcp_f32_e32 v12, v9
	v_add_f32_e32 v10, -1.0, v9
	s_xor_b32 s16, s16, s17
	s_delay_alu instid0(TRANS32_DEP_1) | instid1(VALU_DEP_1)
	v_dual_sub_f32 v6, v6, v10 :: v_dual_mul_f32 v13, v7, v12
	s_delay_alu instid0(VALU_DEP_1) | instskip(NEXT) | instid1(VALU_DEP_1)
	v_mul_f32_e32 v8, v9, v13
	v_fma_f32 v10, v13, v9, -v8
	s_delay_alu instid0(VALU_DEP_1) | instskip(NEXT) | instid1(VALU_DEP_1)
	v_fmac_f32_e32 v10, v13, v6
	v_add_f32_e32 v6, v8, v10
	s_delay_alu instid0(VALU_DEP_1) | instskip(NEXT) | instid1(VALU_DEP_1)
	v_dual_sub_f32 v9, v7, v6 :: v_dual_mov_b32 v11, v6
	v_pk_add_f32 v[6:7], v[6:7], v[8:9] neg_lo:[0,1] neg_hi:[0,1]
	s_delay_alu instid0(VALU_DEP_1) | instskip(NEXT) | instid1(VALU_DEP_1)
	v_pk_add_f32 v[6:7], v[6:7], v[10:11] neg_lo:[0,1] neg_hi:[0,1]
	v_add_f32_e32 v6, v6, v7
	s_delay_alu instid0(VALU_DEP_1) | instskip(NEXT) | instid1(VALU_DEP_1)
	v_add_f32_e32 v6, v9, v6
	v_mul_f32_e32 v7, v12, v6
	s_delay_alu instid0(VALU_DEP_1) | instskip(NEXT) | instid1(VALU_DEP_1)
	v_add_f32_e32 v6, v13, v7
	v_sub_f32_e32 v8, v6, v13
	s_delay_alu instid0(VALU_DEP_1) | instskip(NEXT) | instid1(VALU_DEP_1)
	v_sub_f32_e32 v18, v7, v8
	v_add_f32_e32 v8, v18, v18
	v_mul_f32_e32 v9, v6, v6
	s_delay_alu instid0(VALU_DEP_1) | instskip(NEXT) | instid1(VALU_DEP_1)
	v_fma_f32 v7, v6, v6, -v9
	v_fmac_f32_e32 v7, v6, v8
	s_delay_alu instid0(VALU_DEP_1) | instskip(NEXT) | instid1(VALU_DEP_1)
	v_add_f32_e32 v8, v9, v7
	v_dual_fmaak_f32 v10, s2, v8, 0x3e91f4c4 :: v_dual_sub_f32 v9, v8, v9
	s_delay_alu instid0(VALU_DEP_1) | instskip(SKIP_1) | instid1(VALU_DEP_2)
	v_fmaak_f32 v12, v8, v10, 0x3ecccdef
	v_cvt_f64_f32_e64 v[10:11], |v4|
	v_dual_sub_f32 v16, v7, v9 :: v_dual_mul_f32 v13, v8, v12
	s_delay_alu instid0(VALU_DEP_1) | instskip(NEXT) | instid1(VALU_DEP_1)
	v_fma_f32 v7, v8, v12, -v13
	v_fmac_f32_e32 v7, v16, v12
	s_wait_xcnt 0x0
	s_delay_alu instid0(VALU_DEP_1) | instskip(NEXT) | instid1(VALU_DEP_1)
	v_add_f32_e32 v3, v13, v7
	v_sub_f32_e32 v9, v3, v13
	v_add_f32_e32 v13, 0x3f2aaaaa, v3
	s_delay_alu instid0(VALU_DEP_2) | instskip(NEXT) | instid1(VALU_DEP_2)
	v_sub_f32_e32 v7, v7, v9
	v_add_f32_e32 v9, 0xbf2aaaaa, v13
	v_frexp_exp_i32_f64_e32 v17, v[10:11]
	s_delay_alu instid0(VALU_DEP_3) | instskip(NEXT) | instid1(VALU_DEP_3)
	v_add_f32_e32 v7, 0x31739010, v7
	v_sub_f32_e32 v9, v3, v9
	s_delay_alu instid0(VALU_DEP_1) | instskip(SKIP_1) | instid1(VALU_DEP_1)
	v_pk_mul_f32 v[10:11], v[6:7], v[8:9]
	v_pk_add_f32 v[14:15], v[6:7], v[8:9]
	v_dual_fma_f32 v12, v8, v6, -v10 :: v_dual_mov_b32 v11, v15
	s_delay_alu instid0(VALU_DEP_1) | instskip(NEXT) | instid1(VALU_DEP_1)
	v_fmac_f32_e32 v12, v8, v18
	v_fmac_f32_e32 v12, v16, v6
	s_delay_alu instid0(VALU_DEP_1) | instskip(SKIP_1) | instid1(VALU_DEP_2)
	v_pk_add_f32 v[8:9], v[10:11], v[12:13]
	v_subrev_co_ci_u32_e64 v3, null, 0, v17, vcc_lo
	v_mov_b32_e32 v14, v9
	s_delay_alu instid0(VALU_DEP_3) | instskip(NEXT) | instid1(VALU_DEP_3)
	v_dual_sub_f32 v7, v13, v9 :: v_dual_sub_f32 v11, v8, v10
	v_cvt_f32_i32_e32 v3, v3
	s_delay_alu instid0(VALU_DEP_3) | instskip(NEXT) | instid1(VALU_DEP_3)
	v_pk_mul_f32 v[16:17], v[8:9], v[14:15]
	v_add_f32_e32 v7, v15, v7
	s_delay_alu instid0(VALU_DEP_4) | instskip(NEXT) | instid1(VALU_DEP_3)
	v_sub_f32_e32 v11, v12, v11
	v_fma_f32 v10, v8, v9, -v16
	s_delay_alu instid0(VALU_DEP_1) | instskip(NEXT) | instid1(VALU_DEP_1)
	v_fmac_f32_e32 v10, v8, v7
	v_fmac_f32_e32 v10, v11, v9
	v_mul_f32_e32 v14, 0x3f317218, v3
	v_ldexp_f32 v9, v6, 1
	s_delay_alu instid0(VALU_DEP_3) | instskip(NEXT) | instid1(VALU_DEP_3)
	v_add_f32_e32 v15, v16, v10
	v_fma_f32 v7, 0x3f317218, v3, -v14
	s_delay_alu instid0(VALU_DEP_2) | instskip(NEXT) | instid1(VALU_DEP_2)
	v_dual_mov_b32 v17, v9 :: v_dual_mov_b32 v11, v15
	v_fmamk_f32 v8, v3, 0xb102e308, v7
	v_ldexp_f32 v3, v18, 1
	s_delay_alu instid0(VALU_DEP_2) | instskip(NEXT) | instid1(VALU_DEP_1)
	v_pk_add_f32 v[6:7], v[14:15], v[8:9]
	v_dual_mov_b32 v12, v15 :: v_dual_mov_b32 v13, v7
	s_delay_alu instid0(VALU_DEP_2) | instskip(NEXT) | instid1(VALU_DEP_2)
	v_dual_mov_b32 v9, v6 :: v_dual_mov_b32 v20, v7
	v_pk_add_f32 v[12:13], v[12:13], v[16:17] neg_lo:[0,1] neg_hi:[0,1]
	s_delay_alu instid0(VALU_DEP_1) | instskip(NEXT) | instid1(VALU_DEP_1)
	v_pk_add_f32 v[10:11], v[10:11], v[12:13] neg_lo:[0,1] neg_hi:[0,1]
	v_add_f32_e32 v3, v3, v10
	s_delay_alu instid0(VALU_DEP_1) | instskip(NEXT) | instid1(VALU_DEP_1)
	v_add_f32_e32 v15, v3, v11
	v_pk_add_f32 v[10:11], v[6:7], v[14:15]
	v_pk_add_f32 v[12:13], v[6:7], v[14:15] neg_lo:[0,1] neg_hi:[0,1]
	s_delay_alu instid0(VALU_DEP_2) | instskip(NEXT) | instid1(VALU_DEP_1)
	v_mov_b32_e32 v13, v11
	v_pk_add_f32 v[16:17], v[8:9], v[12:13]
	v_mov_b32_e32 v16, v11
	v_pk_add_f32 v[8:9], v[8:9], v[12:13] neg_lo:[0,1] neg_hi:[0,1]
	s_delay_alu instid0(VALU_DEP_3) | instskip(NEXT) | instid1(VALU_DEP_1)
	v_dual_mov_b32 v14, v17 :: v_dual_mov_b32 v9, v17
	v_pk_add_f32 v[18:19], v[14:15], v[6:7] neg_lo:[0,1] neg_hi:[0,1]
	v_dual_mov_b32 v7, v6 :: v_dual_mov_b32 v6, v15
	s_delay_alu instid0(VALU_DEP_2) | instskip(NEXT) | instid1(VALU_DEP_1)
	v_dual_mov_b32 v21, v18 :: v_dual_mov_b32 v3, v18
	v_pk_add_f32 v[12:13], v[16:17], v[20:21] neg_lo:[0,1] neg_hi:[0,1]
	s_delay_alu instid0(VALU_DEP_2) | instskip(SKIP_1) | instid1(VALU_DEP_3)
	v_pk_add_f32 v[10:11], v[10:11], v[2:3] neg_lo:[0,1] neg_hi:[0,1]
	v_mov_b32_e32 v10, v8
	v_pk_add_f32 v[6:7], v[6:7], v[12:13] neg_lo:[0,1] neg_hi:[0,1]
	s_delay_alu instid0(VALU_DEP_1) | instskip(NEXT) | instid1(VALU_DEP_1)
	v_pk_add_f32 v[10:11], v[10:11], v[6:7]
	v_mov_b32_e32 v12, v11
	s_delay_alu instid0(VALU_DEP_1) | instskip(NEXT) | instid1(VALU_DEP_1)
	v_pk_add_f32 v[12:13], v[10:11], v[12:13]
	v_pk_add_f32 v[14:15], v[14:15], v[12:13]
	s_delay_alu instid0(VALU_DEP_1) | instskip(NEXT) | instid1(VALU_DEP_1)
	v_dual_mov_b32 v7, v12 :: v_dual_mov_b32 v11, v14
	v_pk_add_f32 v[16:17], v[10:11], v[8:9] neg_lo:[0,1] neg_hi:[0,1]
	s_delay_alu instid0(VALU_DEP_1) | instskip(NEXT) | instid1(VALU_DEP_2)
	v_sub_f32_e32 v3, v10, v16
	v_pk_add_f32 v[6:7], v[6:7], v[16:17] neg_lo:[0,1] neg_hi:[0,1]
	s_delay_alu instid0(VALU_DEP_2) | instskip(NEXT) | instid1(VALU_DEP_1)
	v_sub_f32_e32 v3, v8, v3
	v_add_f32_e32 v3, v6, v3
	s_delay_alu instid0(VALU_DEP_1) | instskip(NEXT) | instid1(VALU_DEP_1)
	v_add_f32_e32 v3, v3, v7
	v_add_f32_e32 v6, v14, v3
	s_delay_alu instid0(VALU_DEP_1) | instskip(NEXT) | instid1(VALU_DEP_1)
	v_sub_f32_e32 v7, v6, v14
	v_dual_mul_f32 v8, v5, v6 :: v_dual_sub_f32 v3, v3, v7
	s_delay_alu instid0(VALU_DEP_1) | instskip(SKIP_1) | instid1(VALU_DEP_2)
	v_fma_f32 v6, v5, v6, -v8
	v_cmp_class_f32_e64 vcc_lo, v8, 0x204
	v_fmac_f32_e32 v6, v5, v3
	s_delay_alu instid0(VALU_DEP_1) | instskip(NEXT) | instid1(VALU_DEP_1)
	v_add_f32_e32 v3, v8, v6
	v_cndmask_b32_e32 v7, v3, v8, vcc_lo
	s_delay_alu instid0(VALU_DEP_1) | instskip(SKIP_2) | instid1(VALU_DEP_2)
	v_cmp_eq_f32_e32 vcc_lo, 0x42b17218, v7
	v_cndmask_b32_e64 v9, 0, 0x37000000, vcc_lo
	v_cmp_neq_f32_e64 vcc_lo, 0x7f800000, |v7|
	v_sub_f32_e32 v10, v7, v9
	v_trunc_f32_e32 v7, v5
	s_delay_alu instid0(VALU_DEP_2) | instskip(NEXT) | instid1(VALU_DEP_1)
	v_mul_f32_e32 v11, 0x3fb8aa3b, v10
	v_fma_f32 v12, 0x3fb8aa3b, v10, -v11
	v_rndne_f32_e32 v13, v11
	s_delay_alu instid0(VALU_DEP_1) | instskip(SKIP_1) | instid1(VALU_DEP_1)
	v_dual_fmamk_f32 v12, v10, 0x32a5705f, v12 :: v_dual_sub_f32 v11, v11, v13
	v_sub_f32_e32 v3, v3, v8
	v_dual_add_f32 v11, v11, v12 :: v_dual_sub_f32 v3, v6, v3
	s_delay_alu instid0(VALU_DEP_1) | instskip(SKIP_2) | instid1(VALU_DEP_3)
	v_exp_f32_e32 v8, v11
	v_nop
	v_cvt_i32_f32_e32 v11, v13
	v_cndmask_b32_e32 v3, 0, v3, vcc_lo
	v_cmp_ngt_f32_e32 vcc_lo, 0xc2ce8ed0, v10
	s_delay_alu instid0(TRANS32_DEP_1) | instid1(VALU_DEP_3)
	v_ldexp_f32 v6, v8, v11
	s_delay_alu instid0(VALU_DEP_1) | instskip(NEXT) | instid1(VALU_DEP_1)
	v_dual_mul_f32 v8, 0.5, v5 :: v_dual_cndmask_b32 v6, 0, v6, vcc_lo
	v_trunc_f32_e32 v11, v8
	v_cmp_nlt_f32_e32 vcc_lo, 0x42b17218, v10
	s_delay_alu instid0(VALU_DEP_2) | instskip(NEXT) | instid1(VALU_DEP_4)
	v_cmp_neq_f32_e64 s2, v11, v8
	v_cndmask_b32_e32 v6, 0x7f800000, v6, vcc_lo
	v_cmp_eq_f32_e32 vcc_lo, v7, v5
	s_delay_alu instid0(VALU_DEP_2) | instskip(SKIP_1) | instid1(SALU_CYCLE_1)
	v_cmp_class_f32_e64 s3, v6, 0x204
	s_and_b32 s2, vcc_lo, s2
	v_dual_cndmask_b32 v7, 1.0, v4, s2 :: v_dual_add_f32 v3, v9, v3
	s_delay_alu instid0(VALU_DEP_1) | instskip(NEXT) | instid1(VALU_DEP_1)
	v_fma_f32 v3, v6, v3, v6
	v_cndmask_b32_e64 v3, v3, v6, s3
	v_cndmask_b32_e64 v6, 0x7f800000, 0, s16
	v_cmp_gt_f32_e64 s3, 0, v5
	s_delay_alu instid0(VALU_DEP_3) | instskip(SKIP_1) | instid1(SALU_CYCLE_1)
	v_bfi_b32 v3, 0x7fffffff, v3, v7
	s_xor_b32 s3, s3, s4
	v_cndmask_b32_e64 v8, 0x7f800000, 0, s3
	s_delay_alu instid0(VALU_DEP_2) | instskip(SKIP_3) | instid1(VALU_DEP_3)
	v_cndmask_b32_e32 v7, 0x7fc00000, v3, vcc_lo
	v_cmp_neq_f32_e64 vcc_lo, |v4|, 1.0
	v_cndmask_b32_e32 v6, 1.0, v6, vcc_lo
	v_cmp_gt_f32_e32 vcc_lo, 0, v4
	v_dual_cndmask_b32 v3, v3, v7, vcc_lo :: v_dual_cndmask_b32 v7, 0, v4, s2
	v_cmp_class_f32_e64 vcc_lo, v5, 0x204
	v_cmp_class_f32_e64 s2, v4, 0x204
	s_delay_alu instid0(VALU_DEP_3) | instskip(NEXT) | instid1(VALU_DEP_4)
	v_bfi_b32 v5, 0x7fffffff, v8, v7
	v_cndmask_b32_e32 v3, v3, v6, vcc_lo
	s_or_b32 vcc_lo, s4, s2
	s_delay_alu instid0(VALU_DEP_1) | instskip(SKIP_3) | instid1(VALU_DEP_3)
	v_cndmask_b32_e32 v3, v3, v5, vcc_lo
	v_cmp_o_f32_e32 vcc_lo, v4, v4
	s_wait_loadcnt 0x0
	v_cvt_f32_i32_e32 v5, v22
	v_cndmask_b32_e32 v3, 0x7fc00000, v3, vcc_lo
	s_delay_alu instid0(VALU_DEP_1)
	v_mul_f32_e32 v6, v3, v5
.LBB9_28:
	s_or_b32 exec_lo, exec_lo, s7
                                        ; implicit-def: $vgpr3
                                        ; implicit-def: $vgpr4
.LBB9_29:
	s_and_not1_saveexec_b32 s5, s5
	s_cbranch_execz .LBB9_31
; %bb.30:
	v_cvt_f32_i32_e32 v4, v4
	s_cmp_neq_f32 s23, 1.0
	s_mov_b32 s2, 0x3e76c4e1
	s_delay_alu instid0(VALU_DEP_1) | instskip(SKIP_3) | instid1(VALU_DEP_1)
	v_dual_mul_f32 v4, 0.5, v4 :: v_dual_add_nc_u32 v3, s6, v3
	s_cselect_b32 vcc_lo, -1, 0
	global_load_b32 v22, v3, s[24:25] scale_offset
	v_cndmask_b32_e32 v5, 1.0, v4, vcc_lo
	v_cmp_neq_f32_e32 vcc_lo, 0, v5
	v_cndmask_b32_e64 v4, 1.0, s23, vcc_lo
	s_delay_alu instid0(VALU_DEP_1) | instskip(SKIP_2) | instid1(VALU_DEP_3)
	v_frexp_mant_f32_e64 v6, |v4|
	v_cmp_lt_f32_e64 s7, |v4|, 1.0
	v_cmp_eq_f32_e64 s4, 0, v4
	v_cmp_gt_f32_e32 vcc_lo, 0x3f2aaaab, v6
	v_cndmask_b32_e64 v7, 1.0, 2.0, vcc_lo
	s_delay_alu instid0(VALU_DEP_1) | instskip(NEXT) | instid1(VALU_DEP_1)
	v_mul_f32_e32 v6, v6, v7
	v_dual_add_f32 v9, 1.0, v6 :: v_dual_add_f32 v7, -1.0, v6
	v_cmp_neq_f32_e64 s6, v5, |v5|
	s_delay_alu instid0(VALU_DEP_2)
	v_rcp_f32_e32 v12, v9
	v_add_f32_e32 v10, -1.0, v9
	s_xor_b32 s6, s6, s7
	s_delay_alu instid0(TRANS32_DEP_1) | instid1(VALU_DEP_1)
	v_dual_sub_f32 v6, v6, v10 :: v_dual_mul_f32 v13, v7, v12
	s_delay_alu instid0(VALU_DEP_1) | instskip(NEXT) | instid1(VALU_DEP_1)
	v_mul_f32_e32 v8, v9, v13
	v_fma_f32 v10, v13, v9, -v8
	s_delay_alu instid0(VALU_DEP_1) | instskip(NEXT) | instid1(VALU_DEP_1)
	v_fmac_f32_e32 v10, v13, v6
	v_add_f32_e32 v6, v8, v10
	s_delay_alu instid0(VALU_DEP_1) | instskip(NEXT) | instid1(VALU_DEP_1)
	v_dual_sub_f32 v9, v7, v6 :: v_dual_mov_b32 v11, v6
	v_pk_add_f32 v[6:7], v[6:7], v[8:9] neg_lo:[0,1] neg_hi:[0,1]
	s_delay_alu instid0(VALU_DEP_1) | instskip(NEXT) | instid1(VALU_DEP_1)
	v_pk_add_f32 v[6:7], v[6:7], v[10:11] neg_lo:[0,1] neg_hi:[0,1]
	v_add_f32_e32 v6, v6, v7
	s_delay_alu instid0(VALU_DEP_1) | instskip(NEXT) | instid1(VALU_DEP_1)
	v_add_f32_e32 v6, v9, v6
	v_mul_f32_e32 v7, v12, v6
	s_delay_alu instid0(VALU_DEP_1) | instskip(NEXT) | instid1(VALU_DEP_1)
	v_add_f32_e32 v6, v13, v7
	v_sub_f32_e32 v8, v6, v13
	s_delay_alu instid0(VALU_DEP_1) | instskip(NEXT) | instid1(VALU_DEP_1)
	v_sub_f32_e32 v18, v7, v8
	v_add_f32_e32 v8, v18, v18
	v_mul_f32_e32 v9, v6, v6
	s_delay_alu instid0(VALU_DEP_1) | instskip(NEXT) | instid1(VALU_DEP_1)
	v_fma_f32 v7, v6, v6, -v9
	v_fmac_f32_e32 v7, v6, v8
	s_delay_alu instid0(VALU_DEP_1) | instskip(NEXT) | instid1(VALU_DEP_1)
	v_add_f32_e32 v8, v9, v7
	v_dual_fmaak_f32 v10, s2, v8, 0x3e91f4c4 :: v_dual_sub_f32 v9, v8, v9
	s_delay_alu instid0(VALU_DEP_1) | instskip(SKIP_1) | instid1(VALU_DEP_2)
	v_fmaak_f32 v12, v8, v10, 0x3ecccdef
	v_cvt_f64_f32_e64 v[10:11], |v4|
	v_dual_sub_f32 v16, v7, v9 :: v_dual_mul_f32 v13, v8, v12
	s_delay_alu instid0(VALU_DEP_1) | instskip(NEXT) | instid1(VALU_DEP_1)
	v_fma_f32 v7, v8, v12, -v13
	v_fmac_f32_e32 v7, v16, v12
	s_wait_xcnt 0x0
	s_delay_alu instid0(VALU_DEP_1) | instskip(NEXT) | instid1(VALU_DEP_1)
	v_add_f32_e32 v3, v13, v7
	v_sub_f32_e32 v9, v3, v13
	v_add_f32_e32 v13, 0x3f2aaaaa, v3
	s_delay_alu instid0(VALU_DEP_2) | instskip(NEXT) | instid1(VALU_DEP_2)
	v_sub_f32_e32 v7, v7, v9
	v_add_f32_e32 v9, 0xbf2aaaaa, v13
	v_frexp_exp_i32_f64_e32 v17, v[10:11]
	s_delay_alu instid0(VALU_DEP_3) | instskip(NEXT) | instid1(VALU_DEP_3)
	v_add_f32_e32 v7, 0x31739010, v7
	v_sub_f32_e32 v9, v3, v9
	s_delay_alu instid0(VALU_DEP_1) | instskip(SKIP_1) | instid1(VALU_DEP_2)
	v_pk_mul_f32 v[10:11], v[6:7], v[8:9]
	v_pk_add_f32 v[14:15], v[6:7], v[8:9]
	v_fma_f32 v12, v8, v6, -v10
	s_delay_alu instid0(VALU_DEP_1) | instskip(NEXT) | instid1(VALU_DEP_1)
	v_dual_fmac_f32 v12, v8, v18 :: v_dual_mov_b32 v11, v15
	v_fmac_f32_e32 v12, v16, v6
	s_delay_alu instid0(VALU_DEP_1) | instskip(SKIP_1) | instid1(VALU_DEP_2)
	v_pk_add_f32 v[8:9], v[10:11], v[12:13]
	v_subrev_co_ci_u32_e64 v3, null, 0, v17, vcc_lo
	v_mov_b32_e32 v14, v9
	s_delay_alu instid0(VALU_DEP_3) | instskip(NEXT) | instid1(VALU_DEP_3)
	v_dual_sub_f32 v7, v13, v9 :: v_dual_sub_f32 v11, v8, v10
	v_cvt_f32_i32_e32 v3, v3
	s_delay_alu instid0(VALU_DEP_3) | instskip(NEXT) | instid1(VALU_DEP_3)
	v_pk_mul_f32 v[16:17], v[8:9], v[14:15]
	v_add_f32_e32 v7, v15, v7
	s_delay_alu instid0(VALU_DEP_4) | instskip(NEXT) | instid1(VALU_DEP_3)
	v_sub_f32_e32 v11, v12, v11
	v_fma_f32 v10, v8, v9, -v16
	s_delay_alu instid0(VALU_DEP_1) | instskip(NEXT) | instid1(VALU_DEP_1)
	v_fmac_f32_e32 v10, v8, v7
	v_fmac_f32_e32 v10, v11, v9
	v_mul_f32_e32 v14, 0x3f317218, v3
	v_ldexp_f32 v9, v6, 1
	s_delay_alu instid0(VALU_DEP_3) | instskip(NEXT) | instid1(VALU_DEP_3)
	v_add_f32_e32 v15, v16, v10
	v_fma_f32 v7, 0x3f317218, v3, -v14
	s_delay_alu instid0(VALU_DEP_2) | instskip(NEXT) | instid1(VALU_DEP_2)
	v_dual_mov_b32 v17, v9 :: v_dual_mov_b32 v12, v15
	v_fmamk_f32 v8, v3, 0xb102e308, v7
	v_ldexp_f32 v3, v18, 1
	v_mov_b32_e32 v11, v15
	s_delay_alu instid0(VALU_DEP_3) | instskip(NEXT) | instid1(VALU_DEP_1)
	v_pk_add_f32 v[6:7], v[14:15], v[8:9]
	v_dual_mov_b32 v13, v7 :: v_dual_mov_b32 v9, v6
	v_mov_b32_e32 v20, v7
	s_delay_alu instid0(VALU_DEP_2) | instskip(NEXT) | instid1(VALU_DEP_1)
	v_pk_add_f32 v[12:13], v[12:13], v[16:17] neg_lo:[0,1] neg_hi:[0,1]
	v_pk_add_f32 v[10:11], v[10:11], v[12:13] neg_lo:[0,1] neg_hi:[0,1]
	s_delay_alu instid0(VALU_DEP_1) | instskip(NEXT) | instid1(VALU_DEP_1)
	v_add_f32_e32 v3, v3, v10
	v_add_f32_e32 v15, v3, v11
	s_delay_alu instid0(VALU_DEP_1) | instskip(SKIP_1) | instid1(VALU_DEP_2)
	v_pk_add_f32 v[10:11], v[6:7], v[14:15]
	v_pk_add_f32 v[12:13], v[6:7], v[14:15] neg_lo:[0,1] neg_hi:[0,1]
	v_mov_b32_e32 v13, v11
	s_delay_alu instid0(VALU_DEP_1) | instskip(SKIP_2) | instid1(VALU_DEP_3)
	v_pk_add_f32 v[16:17], v[8:9], v[12:13]
	v_mov_b32_e32 v16, v11
	v_pk_add_f32 v[8:9], v[8:9], v[12:13] neg_lo:[0,1] neg_hi:[0,1]
	v_mov_b32_e32 v14, v17
	s_delay_alu instid0(VALU_DEP_1) | instskip(NEXT) | instid1(VALU_DEP_1)
	v_pk_add_f32 v[18:19], v[14:15], v[6:7] neg_lo:[0,1] neg_hi:[0,1]
	v_dual_mov_b32 v7, v6 :: v_dual_mov_b32 v21, v18
	v_dual_mov_b32 v6, v15 :: v_dual_mov_b32 v3, v18
	s_delay_alu instid0(VALU_DEP_2) | instskip(NEXT) | instid1(VALU_DEP_2)
	v_pk_add_f32 v[12:13], v[16:17], v[20:21] neg_lo:[0,1] neg_hi:[0,1]
	v_pk_add_f32 v[10:11], v[10:11], v[2:3] neg_lo:[0,1] neg_hi:[0,1]
	v_mov_b32_e32 v10, v8
	s_delay_alu instid0(VALU_DEP_3) | instskip(NEXT) | instid1(VALU_DEP_1)
	v_pk_add_f32 v[6:7], v[6:7], v[12:13] neg_lo:[0,1] neg_hi:[0,1]
	v_pk_add_f32 v[10:11], v[10:11], v[6:7]
	s_delay_alu instid0(VALU_DEP_1) | instskip(NEXT) | instid1(VALU_DEP_1)
	v_mov_b32_e32 v12, v11
	v_pk_add_f32 v[12:13], v[10:11], v[12:13]
	s_delay_alu instid0(VALU_DEP_1) | instskip(NEXT) | instid1(VALU_DEP_1)
	v_pk_add_f32 v[14:15], v[14:15], v[12:13]
	v_dual_mov_b32 v9, v17 :: v_dual_mov_b32 v11, v14
	s_delay_alu instid0(VALU_DEP_1) | instskip(NEXT) | instid1(VALU_DEP_1)
	v_pk_add_f32 v[16:17], v[10:11], v[8:9] neg_lo:[0,1] neg_hi:[0,1]
	v_dual_mov_b32 v7, v12 :: v_dual_sub_f32 v3, v10, v16
	s_delay_alu instid0(VALU_DEP_1) | instskip(NEXT) | instid1(VALU_DEP_2)
	v_pk_add_f32 v[6:7], v[6:7], v[16:17] neg_lo:[0,1] neg_hi:[0,1]
	v_sub_f32_e32 v3, v8, v3
	s_delay_alu instid0(VALU_DEP_1) | instskip(NEXT) | instid1(VALU_DEP_1)
	v_add_f32_e32 v3, v6, v3
	v_add_f32_e32 v3, v3, v7
	s_delay_alu instid0(VALU_DEP_1) | instskip(NEXT) | instid1(VALU_DEP_1)
	v_add_f32_e32 v6, v14, v3
	v_sub_f32_e32 v7, v6, v14
	v_mul_f32_e32 v8, v5, v6
	s_delay_alu instid0(VALU_DEP_1) | instskip(SKIP_1) | instid1(VALU_DEP_2)
	v_dual_fma_f32 v6, v5, v6, -v8 :: v_dual_sub_f32 v3, v3, v7
	v_cmp_class_f32_e64 vcc_lo, v8, 0x204
	v_fmac_f32_e32 v6, v5, v3
	s_delay_alu instid0(VALU_DEP_1) | instskip(NEXT) | instid1(VALU_DEP_1)
	v_add_f32_e32 v3, v8, v6
	v_cndmask_b32_e32 v7, v3, v8, vcc_lo
	s_delay_alu instid0(VALU_DEP_1) | instskip(SKIP_2) | instid1(VALU_DEP_2)
	v_cmp_eq_f32_e32 vcc_lo, 0x42b17218, v7
	v_cndmask_b32_e64 v9, 0, 0x37000000, vcc_lo
	v_cmp_neq_f32_e64 vcc_lo, 0x7f800000, |v7|
	v_sub_f32_e32 v10, v7, v9
	v_trunc_f32_e32 v7, v5
	s_delay_alu instid0(VALU_DEP_2) | instskip(NEXT) | instid1(VALU_DEP_1)
	v_mul_f32_e32 v11, 0x3fb8aa3b, v10
	v_fma_f32 v12, 0x3fb8aa3b, v10, -v11
	v_rndne_f32_e32 v13, v11
	s_delay_alu instid0(VALU_DEP_1) | instskip(SKIP_1) | instid1(VALU_DEP_1)
	v_dual_fmamk_f32 v12, v10, 0x32a5705f, v12 :: v_dual_sub_f32 v11, v11, v13
	v_sub_f32_e32 v3, v3, v8
	v_dual_add_f32 v11, v11, v12 :: v_dual_sub_f32 v3, v6, v3
	s_delay_alu instid0(VALU_DEP_1) | instskip(SKIP_2) | instid1(VALU_DEP_3)
	v_exp_f32_e32 v8, v11
	v_nop
	v_cvt_i32_f32_e32 v11, v13
	v_cndmask_b32_e32 v3, 0, v3, vcc_lo
	v_cmp_ngt_f32_e32 vcc_lo, 0xc2ce8ed0, v10
	s_delay_alu instid0(TRANS32_DEP_1) | instid1(VALU_DEP_3)
	v_ldexp_f32 v6, v8, v11
	s_delay_alu instid0(VALU_DEP_1) | instskip(NEXT) | instid1(VALU_DEP_1)
	v_dual_mul_f32 v8, 0.5, v5 :: v_dual_cndmask_b32 v6, 0, v6, vcc_lo
	v_trunc_f32_e32 v11, v8
	v_cmp_nlt_f32_e32 vcc_lo, 0x42b17218, v10
	s_delay_alu instid0(VALU_DEP_2) | instskip(NEXT) | instid1(VALU_DEP_4)
	v_cmp_neq_f32_e64 s2, v11, v8
	v_cndmask_b32_e32 v6, 0x7f800000, v6, vcc_lo
	v_cmp_eq_f32_e32 vcc_lo, v7, v5
	s_delay_alu instid0(VALU_DEP_2) | instskip(SKIP_1) | instid1(SALU_CYCLE_1)
	v_cmp_class_f32_e64 s3, v6, 0x204
	s_and_b32 s2, vcc_lo, s2
	v_dual_cndmask_b32 v7, 1.0, v4, s2 :: v_dual_add_f32 v3, v9, v3
	s_delay_alu instid0(VALU_DEP_1) | instskip(NEXT) | instid1(VALU_DEP_1)
	v_fma_f32 v3, v6, v3, v6
	v_cndmask_b32_e64 v3, v3, v6, s3
	v_cndmask_b32_e64 v6, 0x7f800000, 0, s6
	v_cmp_gt_f32_e64 s3, 0, v5
	s_delay_alu instid0(VALU_DEP_3) | instskip(SKIP_1) | instid1(SALU_CYCLE_1)
	v_bfi_b32 v3, 0x7fffffff, v3, v7
	s_xor_b32 s3, s3, s4
	v_cndmask_b32_e64 v8, 0x7f800000, 0, s3
	s_delay_alu instid0(VALU_DEP_2) | instskip(SKIP_3) | instid1(VALU_DEP_3)
	v_cndmask_b32_e32 v7, 0x7fc00000, v3, vcc_lo
	v_cmp_neq_f32_e64 vcc_lo, |v4|, 1.0
	v_cndmask_b32_e32 v6, 1.0, v6, vcc_lo
	v_cmp_gt_f32_e32 vcc_lo, 0, v4
	v_dual_cndmask_b32 v3, v3, v7, vcc_lo :: v_dual_cndmask_b32 v7, 0, v4, s2
	v_cmp_class_f32_e64 vcc_lo, v5, 0x204
	v_cmp_class_f32_e64 s2, v4, 0x204
	s_delay_alu instid0(VALU_DEP_3) | instskip(NEXT) | instid1(VALU_DEP_4)
	v_bfi_b32 v5, 0x7fffffff, v8, v7
	v_cndmask_b32_e32 v3, v3, v6, vcc_lo
	s_or_b32 vcc_lo, s4, s2
	s_delay_alu instid0(VALU_DEP_1) | instskip(SKIP_3) | instid1(VALU_DEP_3)
	v_cndmask_b32_e32 v3, v3, v5, vcc_lo
	v_cmp_o_f32_e32 vcc_lo, v4, v4
	s_wait_loadcnt 0x0
	v_cvt_f32_i32_e32 v5, v22
	v_cndmask_b32_e32 v3, 0x7fc00000, v3, vcc_lo
	s_delay_alu instid0(VALU_DEP_1)
	v_mul_f32_e32 v6, v3, v5
.LBB9_31:
	s_or_b32 exec_lo, exec_lo, s5
.LBB9_32:
	s_load_b64 s[0:1], s[0:1], 0x58
	s_cmp_eq_f32 s9, 0
	s_wait_kmcnt 0x0
	global_load_b32 v3, v1, s[0:1] scale_offset
	s_wait_loadcnt 0x0
	v_div_scale_f32 v4, null, v3, v3, v6
	v_div_scale_f32 v8, vcc_lo, v6, v3, v6
	s_delay_alu instid0(VALU_DEP_2) | instskip(SKIP_1) | instid1(TRANS32_DEP_1)
	v_rcp_f32_e32 v5, v4
	v_nop
	v_fma_f32 v7, -v4, v5, 1.0
	s_delay_alu instid0(VALU_DEP_1) | instskip(NEXT) | instid1(VALU_DEP_1)
	v_fmac_f32_e32 v5, v7, v5
	v_mul_f32_e32 v7, v8, v5
	s_delay_alu instid0(VALU_DEP_1) | instskip(NEXT) | instid1(VALU_DEP_1)
	v_fma_f32 v9, -v4, v7, v8
	v_fmac_f32_e32 v7, v9, v5
	s_delay_alu instid0(VALU_DEP_1) | instskip(NEXT) | instid1(VALU_DEP_1)
	v_fma_f32 v4, -v4, v7, v8
	v_div_fmas_f32 v4, v4, v5, v7
	s_delay_alu instid0(VALU_DEP_1) | instskip(NEXT) | instid1(VALU_DEP_1)
	v_div_fixup_f32 v4, v4, v3, v6
	v_mul_f32_e32 v5, s8, v4
	s_cbranch_scc1 .LBB9_34
; %bb.33:
	s_wait_xcnt 0x0
	v_cvt_f32_i32_e32 v1, v1
	s_sub_f32 s0, s22, s11
	v_div_scale_f32 v6, null, s8, s8, 1.0
	s_delay_alu instid0(SALU_CYCLE_2) | instskip(SKIP_4) | instid1(VALU_DEP_3)
	s_max_num_f32 s1, s0, 0x3a83126f
	v_subrev_f32_e32 v1, s11, v1
	v_rcp_f32_e32 v8, v6
	v_nop
	v_xor_b32_e32 v6, 0x80000000, v6
	v_div_scale_f32 v3, null, s1, s1, v1
	s_delay_alu instid0(TRANS32_DEP_1) | instid1(VALU_DEP_2)
	v_fma_f32 v10, v6, v8, 1.0
	s_delay_alu instid0(VALU_DEP_2) | instskip(SKIP_1) | instid1(TRANS32_DEP_1)
	v_rcp_f32_e32 v7, v3
	v_nop
	v_fma_f32 v9, -v3, v7, 1.0
	s_delay_alu instid0(VALU_DEP_1) | instskip(SKIP_2) | instid1(VALU_DEP_2)
	v_fmac_f32_e32 v7, v9, v7
	v_div_scale_f32 v11, vcc_lo, v1, s1, v1
	v_div_scale_f32 v9, s0, 1.0, s8, 1.0
	v_dual_fmac_f32 v8, v10, v8 :: v_dual_mul_f32 v10, v11, v7
	s_delay_alu instid0(VALU_DEP_1) | instskip(NEXT) | instid1(VALU_DEP_1)
	v_dual_mul_f32 v12, v9, v8 :: v_dual_fma_f32 v13, -v3, v10, v11
	v_dual_fma_f32 v14, v6, v12, v9 :: v_dual_fmac_f32 v10, v13, v7
	s_delay_alu instid0(VALU_DEP_1) | instskip(NEXT) | instid1(VALU_DEP_1)
	v_dual_fmac_f32 v12, v14, v8 :: v_dual_fma_f32 v3, -v3, v10, v11
	v_fmac_f32_e32 v9, v6, v12
	s_delay_alu instid0(VALU_DEP_2) | instskip(SKIP_1) | instid1(VALU_DEP_2)
	v_div_fmas_f32 v3, v3, v7, v10
	s_mov_b32 vcc_lo, s0
	v_div_fmas_f32 v6, v9, v8, v12
	s_delay_alu instid0(VALU_DEP_2) | instskip(NEXT) | instid1(VALU_DEP_2)
	v_div_fixup_f32 v1, v3, s1, v1 clamp
	v_div_fixup_f32 v6, v6, s8, 1.0
	s_delay_alu instid0(VALU_DEP_1) | instskip(SKIP_2) | instid1(SALU_CYCLE_1)
	v_readfirstlane_b32 s0, v6
	s_cmp_lt_f32 s0, 0x800000
	s_cselect_b32 s0, 0x4f800000, 1.0
	v_mul_f32_e32 v6, s0, v6
	s_cselect_b32 s0, 0x41b17218, 0
	s_delay_alu instid0(VALU_DEP_1) | instskip(SKIP_1) | instid1(TRANS32_DEP_1)
	v_log_f32_e32 v6, v6
	v_nop
	v_and_b32_e32 v3, 0x7fffffff, v6
	s_delay_alu instid0(VALU_DEP_1) | instskip(SKIP_2) | instid1(VALU_DEP_1)
	v_cmp_gt_f32_e32 vcc_lo, 0x7f800000, v3
	v_sub_f32_e32 v1, 1.0, v1
	v_mul_f32_e32 v7, 0x3f317217, v6
	v_xor_b32_e32 v7, 0x80000000, v7
	s_delay_alu instid0(VALU_DEP_1) | instskip(NEXT) | instid1(VALU_DEP_1)
	v_fmac_f32_e32 v7, 0x3f317217, v6
	v_fmamk_f32 v7, v6, 0x3377d1cf, v7
	s_delay_alu instid0(VALU_DEP_1) | instskip(NEXT) | instid1(VALU_DEP_1)
	v_fmac_f32_e32 v7, 0x3f317217, v6
	v_dual_cndmask_b32 v3, v6, v7 :: v_dual_mul_f32 v6, s9, v1
	v_fma_f32 v7, -s9, v1, 1.0
	s_delay_alu instid0(VALU_DEP_2) | instskip(NEXT) | instid1(VALU_DEP_2)
	v_dual_mov_b32 v1, 1.0 :: v_dual_subrev_f32 v3, s0, v3
	v_pk_mul_f32 v[4:5], v[6:7], v[4:5]
	s_delay_alu instid0(VALU_DEP_2) | instskip(NEXT) | instid1(VALU_DEP_2)
	v_fmamk_f32 v1, v3, 0x3dcccccd, v1
	v_add_f32_e32 v5, v4, v5
	s_delay_alu instid0(VALU_DEP_2)
	v_mul_f32_e32 v6, s10, v1
	s_branch .LBB9_35
.LBB9_34:
	v_mov_b32_e32 v6, s10
.LBB9_35:
	s_wait_xcnt 0x0
	s_delay_alu instid0(VALU_DEP_2) | instskip(SKIP_1) | instid1(VALU_DEP_2)
	v_and_b32_e32 v1, 0x7fffffff, v5
	v_cmp_ngt_f32_e64 s2, 0x48000000, |v5|
                                        ; implicit-def: $vgpr7
                                        ; implicit-def: $vgpr4
	v_lshrrev_b32_e32 v3, 23, v1
	s_and_saveexec_b32 s0, s2
	s_delay_alu instid0(SALU_CYCLE_1)
	s_xor_b32 s3, exec_lo, s0
	s_cbranch_execz .LBB9_37
; %bb.36:
	s_mov_b32 s0, 0x7fffff
	v_mov_b32_e32 v9, 0
	v_and_or_b32 v8, v1, s0, 0x800000
	s_mov_b64 s[0:1], 0xfe5163ab
	s_delay_alu instid0(VALU_DEP_1) | instid1(SALU_CYCLE_1)
	v_mul_u64_e32 v[10:11], s[0:1], v[8:9]
	s_delay_alu instid0(VALU_DEP_1) | instskip(SKIP_2) | instid1(VALU_DEP_3)
	v_dual_mov_b32 v12, v11 :: v_dual_mov_b32 v13, v9
	v_dual_mov_b32 v15, v9 :: v_dual_mov_b32 v17, v9
	;; [unrolled: 1-line block ×3, first 2 shown]
	v_mad_nc_u64_u32 v[12:13], 0x3c439041, v8, v[12:13]
	s_delay_alu instid0(VALU_DEP_1) | instskip(NEXT) | instid1(VALU_DEP_1)
	v_dual_mov_b32 v23, v9 :: v_dual_mov_b32 v14, v13
	v_mad_nc_u64_u32 v[14:15], 0xdb629599, v8, v[14:15]
	s_delay_alu instid0(VALU_DEP_1) | instskip(NEXT) | instid1(VALU_DEP_1)
	v_mov_b32_e32 v16, v15
	v_mad_nc_u64_u32 v[16:17], 0xf534ddc0, v8, v[16:17]
	s_delay_alu instid0(VALU_DEP_1) | instskip(NEXT) | instid1(VALU_DEP_1)
	v_mov_b32_e32 v18, v17
	;; [unrolled: 3-line block ×3, first 2 shown]
	v_mad_nc_u64_u32 v[20:21], 0x4e441529, v8, v[20:21]
	v_add_nc_u32_e32 v4, 0xffffff88, v3
	s_delay_alu instid0(VALU_DEP_1) | instskip(SKIP_1) | instid1(VALU_DEP_4)
	v_cmp_lt_u32_e32 vcc_lo, 63, v4
	v_cndmask_b32_e64 v7, 0, 0xffffffc0, vcc_lo
	v_dual_cndmask_b32 v11, v20, v16 :: v_dual_mov_b32 v22, v21
	s_delay_alu instid0(VALU_DEP_2) | instskip(NEXT) | instid1(VALU_DEP_2)
	v_dual_cndmask_b32 v13, v18, v14 :: v_dual_add_nc_u32 v4, v7, v4
	v_mad_nc_u64_u32 v[8:9], 0xa2f9836e, v8, v[22:23]
	s_delay_alu instid0(VALU_DEP_2) | instskip(NEXT) | instid1(VALU_DEP_1)
	v_cmp_lt_u32_e64 s0, 31, v4
	v_cndmask_b32_e64 v7, 0, 0xffffffe0, s0
	s_delay_alu instid0(VALU_DEP_3) | instskip(NEXT) | instid1(VALU_DEP_2)
	v_dual_cndmask_b32 v8, v8, v18 :: v_dual_cndmask_b32 v9, v9, v20
	v_add_nc_u32_e32 v4, v7, v4
	s_delay_alu instid0(VALU_DEP_1) | instskip(NEXT) | instid1(VALU_DEP_1)
	v_cmp_lt_u32_e64 s1, 31, v4
	v_cndmask_b32_e64 v7, 0, 0xffffffe0, s1
	s_delay_alu instid0(VALU_DEP_1) | instskip(SKIP_2) | instid1(VALU_DEP_3)
	v_add_nc_u32_e32 v4, v7, v4
	v_cndmask_b32_e32 v7, v16, v12, vcc_lo
	v_dual_cndmask_b32 v12, v8, v11, s0 :: v_dual_cndmask_b32 v8, v9, v8, s0
	v_dual_cndmask_b32 v9, v11, v13, s0 :: v_dual_sub_nc_u32 v11, 32, v4
	s_delay_alu instid0(VALU_DEP_2) | instskip(NEXT) | instid1(VALU_DEP_2)
	v_dual_cndmask_b32 v13, v13, v7, s0 :: v_dual_cndmask_b32 v8, v8, v12, s1
	v_cndmask_b32_e64 v12, v12, v9, s1
	s_delay_alu instid0(VALU_DEP_2) | instskip(NEXT) | instid1(VALU_DEP_2)
	v_cndmask_b32_e64 v9, v9, v13, s1
	v_alignbit_b32 v15, v8, v12, v11
	v_cndmask_b32_e32 v10, v14, v10, vcc_lo
	v_cmp_eq_u32_e32 vcc_lo, 0, v4
	s_delay_alu instid0(VALU_DEP_4) | instskip(NEXT) | instid1(VALU_DEP_4)
	v_alignbit_b32 v14, v12, v9, v11
	v_cndmask_b32_e32 v4, v15, v8, vcc_lo
	s_delay_alu instid0(VALU_DEP_2) | instskip(NEXT) | instid1(VALU_DEP_2)
	v_dual_cndmask_b32 v7, v7, v10, s0 :: v_dual_cndmask_b32 v8, v14, v12, vcc_lo
	v_bfe_u32 v10, v4, 29, 1
	s_delay_alu instid0(VALU_DEP_2) | instskip(NEXT) | instid1(VALU_DEP_3)
	v_cndmask_b32_e64 v7, v13, v7, s1
	v_alignbit_b32 v12, v4, v8, 30
	s_delay_alu instid0(VALU_DEP_3) | instskip(NEXT) | instid1(VALU_DEP_3)
	v_sub_nc_u32_e32 v13, 0, v10
	v_alignbit_b32 v11, v9, v7, v11
	s_delay_alu instid0(VALU_DEP_2) | instskip(NEXT) | instid1(VALU_DEP_2)
	v_xor_b32_e32 v12, v12, v13
	v_cndmask_b32_e32 v9, v11, v9, vcc_lo
	s_delay_alu instid0(VALU_DEP_2) | instskip(NEXT) | instid1(VALU_DEP_2)
	v_clz_i32_u32_e32 v11, v12
	v_alignbit_b32 v8, v8, v9, 30
	v_alignbit_b32 v7, v9, v7, 30
	s_delay_alu instid0(VALU_DEP_3) | instskip(NEXT) | instid1(VALU_DEP_3)
	v_min_u32_e32 v11, 32, v11
	v_xor_b32_e32 v8, v8, v13
	s_delay_alu instid0(VALU_DEP_3) | instskip(NEXT) | instid1(VALU_DEP_3)
	v_dual_lshrrev_b32 v13, 29, v4 :: v_dual_bitop2_b32 v7, v7, v13 bitop3:0x14
	v_dual_sub_nc_u32 v9, 31, v11 :: v_dual_lshlrev_b32 v14, 23, v11
	s_delay_alu instid0(VALU_DEP_1) | instskip(NEXT) | instid1(VALU_DEP_3)
	v_alignbit_b32 v12, v12, v8, v9
	v_alignbit_b32 v7, v8, v7, v9
	s_delay_alu instid0(VALU_DEP_4) | instskip(NEXT) | instid1(VALU_DEP_2)
	v_lshlrev_b32_e32 v8, 31, v13
	v_alignbit_b32 v9, v12, v7, 9
	s_delay_alu instid0(VALU_DEP_2) | instskip(SKIP_2) | instid1(VALU_DEP_4)
	v_or_b32_e32 v13, 0.5, v8
	v_lshrrev_b32_e32 v12, 9, v12
	v_or_b32_e32 v8, 0x33000000, v8
	v_clz_i32_u32_e32 v15, v9
	s_delay_alu instid0(VALU_DEP_4) | instskip(NEXT) | instid1(VALU_DEP_2)
	v_sub_nc_u32_e32 v13, v13, v14
	v_min_u32_e32 v14, 32, v15
	s_delay_alu instid0(VALU_DEP_2) | instskip(NEXT) | instid1(VALU_DEP_2)
	v_or_b32_e32 v12, v12, v13
	v_not_b32_e32 v13, v14
	v_add_lshl_u32 v11, v14, v11, 23
	s_delay_alu instid0(VALU_DEP_2) | instskip(NEXT) | instid1(VALU_DEP_2)
	v_alignbit_b32 v7, v9, v7, v13
	v_sub_nc_u32_e32 v8, v8, v11
	s_delay_alu instid0(VALU_DEP_2) | instskip(SKIP_1) | instid1(VALU_DEP_2)
	v_lshrrev_b32_e32 v7, 9, v7
	v_mul_f32_e32 v15, 0x3fc90fda, v12
	v_or_b32_e32 v7, v8, v7
	s_delay_alu instid0(VALU_DEP_2) | instskip(NEXT) | instid1(VALU_DEP_1)
	v_fma_f32 v9, 0x3fc90fda, v12, -v15
	v_fmamk_f32 v9, v12, 0x33a22168, v9
	s_delay_alu instid0(VALU_DEP_1) | instskip(NEXT) | instid1(VALU_DEP_1)
	v_fmac_f32_e32 v9, 0x3fc90fda, v7
	v_dual_add_f32 v4, v15, v9 :: v_dual_lshrrev_b32 v7, 30, v4
	s_delay_alu instid0(VALU_DEP_1)
	v_add_nc_u32_e32 v7, v10, v7
	s_or_saveexec_b32 s0, s3
	v_mul_f32_e64 v10, 0x3f22f983, |v5|
	s_xor_b32 exec_lo, exec_lo, s0
	s_branch .LBB9_38
.LBB9_37:
	s_or_saveexec_b32 s0, s3
	v_mul_f32_e64 v10, 0x3f22f983, |v5|
	s_xor_b32 exec_lo, exec_lo, s0
.LBB9_38:
	s_delay_alu instid0(VALU_DEP_1) | instskip(NEXT) | instid1(VALU_DEP_1)
	v_rndne_f32_e32 v7, v10
	v_fma_f32 v4, 0xbfc90fda, v7, |v5|
	s_delay_alu instid0(VALU_DEP_1) | instskip(NEXT) | instid1(VALU_DEP_1)
	v_fmamk_f32 v4, v7, 0xb3a22168, v4
	v_fmamk_f32 v4, v7, 0xa7c234c4, v4
	v_cvt_i32_f32_e32 v7, v7
; %bb.39:
	s_or_b32 exec_lo, exec_lo, s0
                                        ; implicit-def: $vgpr9
                                        ; implicit-def: $vgpr8
	s_and_saveexec_b32 s0, s2
	s_delay_alu instid0(SALU_CYCLE_1)
	s_xor_b32 s2, exec_lo, s0
	s_cbranch_execz .LBB9_41
; %bb.40:
	s_mov_b32 s0, 0x7fffff
	v_mov_b32_e32 v9, 0
	v_and_or_b32 v8, v1, s0, 0x800000
	s_mov_b64 s[0:1], 0xfe5163ab
	v_add_nc_u32_e32 v3, 0xffffff88, v3
	s_delay_alu instid0(VALU_DEP_2) | instskip(NEXT) | instid1(VALU_DEP_2)
	v_mul_u64_e32 v[10:11], s[0:1], v[8:9]
	v_cmp_lt_u32_e32 vcc_lo, 63, v3
	s_delay_alu instid0(VALU_DEP_2) | instskip(SKIP_2) | instid1(VALU_DEP_3)
	v_dual_mov_b32 v12, v11 :: v_dual_mov_b32 v13, v9
	v_dual_mov_b32 v15, v9 :: v_dual_mov_b32 v17, v9
	;; [unrolled: 1-line block ×3, first 2 shown]
	v_mad_nc_u64_u32 v[12:13], 0x3c439041, v8, v[12:13]
	v_cndmask_b32_e64 v11, 0, 0xffffffc0, vcc_lo
	s_delay_alu instid0(VALU_DEP_1) | instskip(NEXT) | instid1(VALU_DEP_3)
	v_dual_mov_b32 v23, v9 :: v_dual_add_nc_u32 v3, v11, v3
	v_mov_b32_e32 v14, v13
	s_delay_alu instid0(VALU_DEP_2) | instskip(NEXT) | instid1(VALU_DEP_2)
	v_cmp_lt_u32_e64 s0, 31, v3
	v_mad_nc_u64_u32 v[14:15], 0xdb629599, v8, v[14:15]
	s_delay_alu instid0(VALU_DEP_2) | instskip(NEXT) | instid1(VALU_DEP_1)
	v_cndmask_b32_e64 v11, 0, 0xffffffe0, s0
	v_add_nc_u32_e32 v3, v11, v3
	s_delay_alu instid0(VALU_DEP_3) | instskip(NEXT) | instid1(VALU_DEP_2)
	v_mov_b32_e32 v16, v15
	v_cmp_lt_u32_e64 s1, 31, v3
	v_cndmask_b32_e32 v10, v14, v10, vcc_lo
	s_delay_alu instid0(VALU_DEP_3) | instskip(NEXT) | instid1(VALU_DEP_3)
	v_mad_nc_u64_u32 v[16:17], 0xf534ddc0, v8, v[16:17]
	v_cndmask_b32_e64 v11, 0, 0xffffffe0, s1
	s_delay_alu instid0(VALU_DEP_1) | instskip(NEXT) | instid1(VALU_DEP_3)
	v_dual_add_nc_u32 v3, v11, v3 :: v_dual_cndmask_b32 v11, v16, v12, vcc_lo
	v_mov_b32_e32 v18, v17
	s_delay_alu instid0(VALU_DEP_1) | instskip(NEXT) | instid1(VALU_DEP_1)
	v_mad_nc_u64_u32 v[18:19], 0xfc2757d1, v8, v[18:19]
	v_dual_mov_b32 v20, v19 :: v_dual_cndmask_b32 v15, v18, v14
	s_delay_alu instid0(VALU_DEP_1) | instskip(NEXT) | instid1(VALU_DEP_1)
	v_mad_nc_u64_u32 v[20:21], 0x4e441529, v8, v[20:21]
	v_dual_mov_b32 v22, v21 :: v_dual_cndmask_b32 v13, v20, v16
	s_delay_alu instid0(VALU_DEP_1) | instskip(NEXT) | instid1(VALU_DEP_1)
	v_mad_nc_u64_u32 v[8:9], 0xa2f9836e, v8, v[22:23]
	v_dual_cndmask_b32 v8, v8, v18 :: v_dual_cndmask_b32 v9, v9, v20
	v_cmp_eq_u32_e32 vcc_lo, 0, v3
	s_delay_alu instid0(VALU_DEP_2) | instskip(SKIP_2) | instid1(VALU_DEP_3)
	v_dual_cndmask_b32 v12, v8, v13, s0 :: v_dual_cndmask_b32 v8, v9, v8, s0
	v_cndmask_b32_e64 v9, v13, v15, s0
	v_sub_nc_u32_e32 v13, 32, v3
	v_dual_cndmask_b32 v15, v15, v11, s0 :: v_dual_cndmask_b32 v8, v8, v12, s1
	s_delay_alu instid0(VALU_DEP_3) | instskip(NEXT) | instid1(VALU_DEP_1)
	v_cndmask_b32_e64 v12, v12, v9, s1
	v_alignbit_b32 v16, v8, v12, v13
	s_delay_alu instid0(VALU_DEP_1) | instskip(NEXT) | instid1(VALU_DEP_1)
	v_dual_cndmask_b32 v9, v9, v15, s1 :: v_dual_cndmask_b32 v3, v16, v8, vcc_lo
	v_alignbit_b32 v14, v12, v9, v13
	v_cndmask_b32_e64 v8, v11, v10, s0
	s_delay_alu instid0(VALU_DEP_3) | instskip(NEXT) | instid1(VALU_DEP_3)
	v_bfe_u32 v11, v3, 29, 1
	v_cndmask_b32_e32 v10, v14, v12, vcc_lo
	s_delay_alu instid0(VALU_DEP_2) | instskip(NEXT) | instid1(VALU_DEP_2)
	v_dual_cndmask_b32 v8, v15, v8, s1 :: v_dual_sub_nc_u32 v14, 0, v11
	v_alignbit_b32 v12, v3, v10, 30
	s_delay_alu instid0(VALU_DEP_2) | instskip(NEXT) | instid1(VALU_DEP_1)
	v_alignbit_b32 v13, v9, v8, v13
	v_dual_cndmask_b32 v9, v13, v9, vcc_lo :: v_dual_bitop2_b32 v12, v12, v14 bitop3:0x14
	s_delay_alu instid0(VALU_DEP_1) | instskip(NEXT) | instid1(VALU_DEP_2)
	v_clz_i32_u32_e32 v13, v12
	v_alignbit_b32 v10, v10, v9, 30
	v_alignbit_b32 v8, v9, v8, 30
	s_delay_alu instid0(VALU_DEP_3) | instskip(NEXT) | instid1(VALU_DEP_3)
	v_min_u32_e32 v13, 32, v13
	v_xor_b32_e32 v9, v10, v14
	s_delay_alu instid0(VALU_DEP_3) | instskip(NEXT) | instid1(VALU_DEP_3)
	v_dual_lshrrev_b32 v14, 29, v3 :: v_dual_bitop2_b32 v8, v8, v14 bitop3:0x14
	v_dual_lshrrev_b32 v3, 30, v3 :: v_dual_sub_nc_u32 v10, 31, v13
	v_lshlrev_b32_e32 v15, 23, v13
	s_delay_alu instid0(VALU_DEP_2) | instskip(NEXT) | instid1(VALU_DEP_4)
	v_alignbit_b32 v12, v12, v9, v10
	v_alignbit_b32 v8, v9, v8, v10
	v_lshlrev_b32_e32 v9, 31, v14
	s_delay_alu instid0(VALU_DEP_2) | instskip(NEXT) | instid1(VALU_DEP_2)
	v_alignbit_b32 v10, v12, v8, 9
	v_dual_lshrrev_b32 v12, 9, v12 :: v_dual_bitop2_b32 v14, 0.5, v9 bitop3:0x54
	v_or_b32_e32 v9, 0x33000000, v9
	s_delay_alu instid0(VALU_DEP_3) | instskip(NEXT) | instid1(VALU_DEP_3)
	v_clz_i32_u32_e32 v16, v10
	v_sub_nc_u32_e32 v14, v14, v15
	s_delay_alu instid0(VALU_DEP_2) | instskip(NEXT) | instid1(VALU_DEP_1)
	v_min_u32_e32 v15, 32, v16
	v_add_lshl_u32 v13, v15, v13, 23
	s_delay_alu instid0(VALU_DEP_1) | instskip(SKIP_1) | instid1(VALU_DEP_1)
	v_dual_sub_nc_u32 v9, v9, v13 :: v_dual_bitop2_b32 v12, v12, v14 bitop3:0x54
	v_not_b32_e32 v14, v15
	v_alignbit_b32 v8, v10, v8, v14
	s_delay_alu instid0(VALU_DEP_1) | instskip(NEXT) | instid1(VALU_DEP_4)
	v_lshrrev_b32_e32 v8, 9, v8
	v_mul_f32_e32 v16, 0x3fc90fda, v12
	s_delay_alu instid0(VALU_DEP_2) | instskip(NEXT) | instid1(VALU_DEP_2)
	v_or_b32_e32 v8, v9, v8
	v_fma_f32 v10, 0x3fc90fda, v12, -v16
	s_delay_alu instid0(VALU_DEP_1) | instskip(NEXT) | instid1(VALU_DEP_1)
	v_dual_fmamk_f32 v10, v12, 0x33a22168, v10 :: v_dual_add_nc_u32 v9, v11, v3
	v_fmac_f32_e32 v10, 0x3fc90fda, v8
	s_delay_alu instid0(VALU_DEP_1)
	v_add_f32_e32 v8, v16, v10
                                        ; implicit-def: $vgpr10
	s_and_not1_saveexec_b32 s0, s2
	s_cbranch_execnz .LBB9_42
	s_branch .LBB9_43
.LBB9_41:
	s_and_not1_saveexec_b32 s0, s2
.LBB9_42:
	v_rndne_f32_e32 v3, v10
	s_delay_alu instid0(VALU_DEP_1) | instskip(SKIP_1) | instid1(VALU_DEP_2)
	v_fma_f32 v8, 0xbfc90fda, v3, |v5|
	v_cvt_i32_f32_e32 v9, v3
	v_fmamk_f32 v8, v3, 0xb3a22168, v8
	s_delay_alu instid0(VALU_DEP_1)
	v_fmamk_f32 v8, v3, 0xa7c234c4, v8
.LBB9_43:
	s_or_b32 exec_lo, exec_lo, s0
	v_ashrrev_i32_e32 v3, 31, v2
	s_lshr_b32 s0, s21, 31
	s_mov_b32 s2, 0xb94c1982
	s_add_co_i32 s0, s21, s0
	s_mov_b32 s3, 0x37d75334
	s_ashr_i32 s0, s0, 1
	v_lshl_add_u64 v[10:11], v[2:3], 1, s[12:13]
	s_ashr_i32 s1, s0, 31
	v_mul_f32_e32 v3, v8, v8
	s_lshl_b64 s[0:1], s[0:1], 1
	s_delay_alu instid0(VALU_DEP_2) | instid1(SALU_CYCLE_1)
	v_add_nc_u64_e32 v[10:11], s[0:1], v[10:11]
	s_clause 0x1
	global_load_u16 v12, v[10:11], off
	global_load_u16 v13, v2, s[12:13] scale_offset
	s_wait_xcnt 0x0
	v_dual_mul_f32 v2, v4, v4 :: v_dual_bitop2_b32 v10, 1, v7 bitop3:0x40
	v_fmaak_f32 v15, s2, v3, 0x3c0881c4
	v_lshlrev_b32_e32 v7, 30, v7
	v_fmaak_f32 v16, s3, v3, 0xbab64f3b
	s_delay_alu instid0(VALU_DEP_4) | instskip(SKIP_2) | instid1(VALU_DEP_1)
	v_fmaak_f32 v14, s3, v2, 0xbab64f3b
	v_cmp_eq_u32_e32 vcc_lo, 0, v10
	v_fmaak_f32 v15, v3, v15, 0xbe2aaa9d
	v_dual_fmaak_f32 v14, v2, v14, 0x3d2aabf7 :: v_dual_mul_f32 v15, v3, v15
	s_delay_alu instid0(VALU_DEP_1) | instskip(NEXT) | instid1(VALU_DEP_1)
	v_dual_fmaak_f32 v11, s2, v2, 0x3c0881c4 :: v_dual_fmac_f32 v8, v8, v15
	v_fmaak_f32 v11, v2, v11, 0xbe2aaa9d
	v_dual_lshlrev_b32 v9, 30, v9 :: v_dual_bitop2_b32 v17, 1, v9 bitop3:0x40
	s_delay_alu instid0(VALU_DEP_2) | instskip(SKIP_1) | instid1(VALU_DEP_3)
	v_dual_fmaak_f32 v16, v3, v16, 0x3d2aabf7 :: v_dual_mul_f32 v11, v2, v11
	v_xor_b32_e32 v1, v1, v5
	v_and_b32_e32 v9, 0x80000000, v9
	s_delay_alu instid0(VALU_DEP_3) | instskip(NEXT) | instid1(VALU_DEP_4)
	v_fmaak_f32 v16, v3, v16, 0xbf000004
	v_fmac_f32_e32 v4, v4, v11
	s_delay_alu instid0(VALU_DEP_2) | instskip(SKIP_1) | instid1(VALU_DEP_1)
	v_fma_f32 v3, v3, v16, 1.0
	v_fmaak_f32 v14, v2, v14, 0xbf000004
	v_fma_f32 v2, v2, v14, 1.0
	s_delay_alu instid0(VALU_DEP_1) | instskip(SKIP_1) | instid1(VALU_DEP_2)
	v_cndmask_b32_e64 v2, -v4, v2, vcc_lo
	v_cmp_eq_u32_e32 vcc_lo, 0, v17
	v_bitop3_b32 v2, v7, v2, 0x80000000 bitop3:0x6c
	v_cndmask_b32_e32 v3, v3, v8, vcc_lo
	v_cmp_class_f32_e64 vcc_lo, v5, 0x1f8
	s_delay_alu instid0(VALU_DEP_2)
	v_xor3_b32 v1, v1, v9, v3
	s_wait_loadcnt 0x1
	v_cvt_f32_f16_e32 v7, v12
	s_wait_loadcnt 0x0
	v_cvt_f32_f16_e32 v8, v13
	v_cndmask_b32_e32 v4, 0x7fc00000, v2, vcc_lo
	v_dual_cndmask_b32 v2, 0x7fc00000, v1 :: v_dual_ashrrev_i32 v1, 31, v0
	s_delay_alu instid0(VALU_DEP_1) | instskip(NEXT) | instid1(VALU_DEP_2)
	v_mul_f32_e32 v5, v6, v2
	v_lshl_add_u64 v[2:3], v[0:1], 1, s[14:15]
	s_delay_alu instid0(VALU_DEP_2) | instskip(SKIP_1) | instid1(VALU_DEP_3)
	v_dual_mul_f32 v1, v6, v4 :: v_dual_mul_f32 v4, v5, v7
	v_mul_f32_e32 v5, v5, v8
	v_add_nc_u64_e32 v[2:3], s[0:1], v[2:3]
	s_delay_alu instid0(VALU_DEP_3) | instskip(NEXT) | instid1(VALU_DEP_3)
	v_fma_mixlo_f16 v4, v1, v13, -v4 op_sel_hi:[0,1,0]
	v_fma_mixlo_f16 v1, v1, v12, v5 op_sel_hi:[0,1,0]
	s_clause 0x1
	global_store_b16 v0, v4, s[14:15] scale_offset
	global_store_b16 v[2:3], v1, off
.LBB9_44:
	s_endpgm
	.section	.rodata,"a",@progbits
	.p2align	6, 0x0
	.amdhsa_kernel _ZL10rope_multiILb1ELb1E6__halfEvPKT1_PS1_iiiiiiiiiiPKifff14rope_corr_dimsfPKf14mrope_sectionsb
		.amdhsa_group_segment_fixed_size 0
		.amdhsa_private_segment_fixed_size 0
		.amdhsa_kernarg_size 376
		.amdhsa_user_sgpr_count 2
		.amdhsa_user_sgpr_dispatch_ptr 0
		.amdhsa_user_sgpr_queue_ptr 0
		.amdhsa_user_sgpr_kernarg_segment_ptr 1
		.amdhsa_user_sgpr_dispatch_id 0
		.amdhsa_user_sgpr_kernarg_preload_length 0
		.amdhsa_user_sgpr_kernarg_preload_offset 0
		.amdhsa_user_sgpr_private_segment_size 0
		.amdhsa_wavefront_size32 1
		.amdhsa_uses_dynamic_stack 0
		.amdhsa_enable_private_segment 0
		.amdhsa_system_sgpr_workgroup_id_x 1
		.amdhsa_system_sgpr_workgroup_id_y 1
		.amdhsa_system_sgpr_workgroup_id_z 0
		.amdhsa_system_sgpr_workgroup_info 0
		.amdhsa_system_vgpr_workitem_id 1
		.amdhsa_next_free_vgpr 25
		.amdhsa_next_free_sgpr 27
		.amdhsa_named_barrier_count 0
		.amdhsa_reserve_vcc 1
		.amdhsa_float_round_mode_32 0
		.amdhsa_float_round_mode_16_64 0
		.amdhsa_float_denorm_mode_32 3
		.amdhsa_float_denorm_mode_16_64 3
		.amdhsa_fp16_overflow 0
		.amdhsa_memory_ordered 1
		.amdhsa_forward_progress 1
		.amdhsa_inst_pref_size 106
		.amdhsa_round_robin_scheduling 0
		.amdhsa_exception_fp_ieee_invalid_op 0
		.amdhsa_exception_fp_denorm_src 0
		.amdhsa_exception_fp_ieee_div_zero 0
		.amdhsa_exception_fp_ieee_overflow 0
		.amdhsa_exception_fp_ieee_underflow 0
		.amdhsa_exception_fp_ieee_inexact 0
		.amdhsa_exception_int_div_zero 0
	.end_amdhsa_kernel
	.section	.text._ZL10rope_multiILb1ELb1E6__halfEvPKT1_PS1_iiiiiiiiiiPKifff14rope_corr_dimsfPKf14mrope_sectionsb,"axG",@progbits,_ZL10rope_multiILb1ELb1E6__halfEvPKT1_PS1_iiiiiiiiiiPKifff14rope_corr_dimsfPKf14mrope_sectionsb,comdat
.Lfunc_end9:
	.size	_ZL10rope_multiILb1ELb1E6__halfEvPKT1_PS1_iiiiiiiiiiPKifff14rope_corr_dimsfPKf14mrope_sectionsb, .Lfunc_end9-_ZL10rope_multiILb1ELb1E6__halfEvPKT1_PS1_iiiiiiiiiiPKifff14rope_corr_dimsfPKf14mrope_sectionsb
                                        ; -- End function
	.set _ZL10rope_multiILb1ELb1E6__halfEvPKT1_PS1_iiiiiiiiiiPKifff14rope_corr_dimsfPKf14mrope_sectionsb.num_vgpr, 25
	.set _ZL10rope_multiILb1ELb1E6__halfEvPKT1_PS1_iiiiiiiiiiPKifff14rope_corr_dimsfPKf14mrope_sectionsb.num_agpr, 0
	.set _ZL10rope_multiILb1ELb1E6__halfEvPKT1_PS1_iiiiiiiiiiPKifff14rope_corr_dimsfPKf14mrope_sectionsb.numbered_sgpr, 27
	.set _ZL10rope_multiILb1ELb1E6__halfEvPKT1_PS1_iiiiiiiiiiPKifff14rope_corr_dimsfPKf14mrope_sectionsb.num_named_barrier, 0
	.set _ZL10rope_multiILb1ELb1E6__halfEvPKT1_PS1_iiiiiiiiiiPKifff14rope_corr_dimsfPKf14mrope_sectionsb.private_seg_size, 0
	.set _ZL10rope_multiILb1ELb1E6__halfEvPKT1_PS1_iiiiiiiiiiPKifff14rope_corr_dimsfPKf14mrope_sectionsb.uses_vcc, 1
	.set _ZL10rope_multiILb1ELb1E6__halfEvPKT1_PS1_iiiiiiiiiiPKifff14rope_corr_dimsfPKf14mrope_sectionsb.uses_flat_scratch, 0
	.set _ZL10rope_multiILb1ELb1E6__halfEvPKT1_PS1_iiiiiiiiiiPKifff14rope_corr_dimsfPKf14mrope_sectionsb.has_dyn_sized_stack, 0
	.set _ZL10rope_multiILb1ELb1E6__halfEvPKT1_PS1_iiiiiiiiiiPKifff14rope_corr_dimsfPKf14mrope_sectionsb.has_recursion, 0
	.set _ZL10rope_multiILb1ELb1E6__halfEvPKT1_PS1_iiiiiiiiiiPKifff14rope_corr_dimsfPKf14mrope_sectionsb.has_indirect_call, 0
	.section	.AMDGPU.csdata,"",@progbits
; Kernel info:
; codeLenInByte = 13496
; TotalNumSgprs: 29
; NumVgprs: 25
; ScratchSize: 0
; MemoryBound: 0
; FloatMode: 240
; IeeeMode: 1
; LDSByteSize: 0 bytes/workgroup (compile time only)
; SGPRBlocks: 0
; VGPRBlocks: 1
; NumSGPRsForWavesPerEU: 29
; NumVGPRsForWavesPerEU: 25
; NamedBarCnt: 0
; Occupancy: 16
; WaveLimiterHint : 0
; COMPUTE_PGM_RSRC2:SCRATCH_EN: 0
; COMPUTE_PGM_RSRC2:USER_SGPR: 2
; COMPUTE_PGM_RSRC2:TRAP_HANDLER: 0
; COMPUTE_PGM_RSRC2:TGID_X_EN: 1
; COMPUTE_PGM_RSRC2:TGID_Y_EN: 1
; COMPUTE_PGM_RSRC2:TGID_Z_EN: 0
; COMPUTE_PGM_RSRC2:TIDIG_COMP_CNT: 1
	.section	.text._ZL11rope_visionILb1ELb0EfEvPKT1_PS0_iiiiiiiiiiPKifff14rope_corr_dimsfPKf14mrope_sections,"axG",@progbits,_ZL11rope_visionILb1ELb0EfEvPKT1_PS0_iiiiiiiiiiPKifff14rope_corr_dimsfPKf14mrope_sections,comdat
	.globl	_ZL11rope_visionILb1ELb0EfEvPKT1_PS0_iiiiiiiiiiPKifff14rope_corr_dimsfPKf14mrope_sections ; -- Begin function _ZL11rope_visionILb1ELb0EfEvPKT1_PS0_iiiiiiiiiiPKifff14rope_corr_dimsfPKf14mrope_sections
	.p2align	8
	.type	_ZL11rope_visionILb1ELb0EfEvPKT1_PS0_iiiiiiiiiiPKifff14rope_corr_dimsfPKf14mrope_sections,@function
_ZL11rope_visionILb1ELb0EfEvPKT1_PS0_iiiiiiiiiiPKifff14rope_corr_dimsfPKf14mrope_sections: ; @_ZL11rope_visionILb1ELb0EfEvPKT1_PS0_iiiiiiiiiiPKifff14rope_corr_dimsfPKf14mrope_sections
; %bb.0:
	s_clause 0x1
	s_load_u16 s3, s[0:1], 0x7e
	s_load_b256 s[4:11], s[0:1], 0x10
	s_bfe_u32 s2, ttmp6, 0x40010
	s_bfe_u32 s13, ttmp6, 0x40004
	s_add_co_i32 s2, s2, 1
	v_bfe_u32 v1, v0, 10, 10
	s_mul_i32 s12, ttmp7, s2
	s_getreg_b32 s2, hwreg(HW_REG_IB_STS2, 6, 4)
	s_add_co_i32 s13, s13, s12
	s_cmp_eq_u32 s2, 0
	s_cselect_b32 s12, ttmp7, s13
	s_wait_kmcnt 0x0
	s_mul_i32 s12, s12, s3
	s_mov_b32 s3, exec_lo
	v_add_lshl_u32 v2, s12, v1, 1
	s_delay_alu instid0(VALU_DEP_1)
	v_cmpx_gt_i32_e64 s4, v2
	s_cbranch_execz .LBB10_20
; %bb.1:
	s_add_nc_u64 s[12:13], s[0:1], 0x70
	s_bfe_u32 s4, ttmp6, 0x4000c
	s_load_b32 s3, s[12:13], 0xc
	s_add_co_i32 s4, s4, 1
	s_wait_xcnt 0x0
	s_and_b32 s12, ttmp6, 15
	s_mul_i32 s4, ttmp9, s4
	v_and_b32_e32 v0, 0x3ff, v0
	s_add_co_i32 s12, s12, s4
	s_mul_i32 s4, s6, s5
	s_wait_kmcnt 0x0
	s_and_b32 s3, s3, 0xffff
	s_cmp_eq_u32 s2, 0
	s_cselect_b32 s2, ttmp9, s12
	s_abs_i32 s12, s4
	v_mad_u32 v3, s2, s3, v0
	s_cvt_f32_u32 s13, s12
	s_delay_alu instid0(SALU_CYCLE_3) | instskip(NEXT) | instid1(VALU_DEP_1)
	v_rcp_iflag_f32_e32 v1, s13
	v_sub_nc_u32_e32 v0, 0, v3
	s_delay_alu instid0(TRANS32_DEP_1) | instskip(NEXT) | instid1(VALU_DEP_2)
	v_readfirstlane_b32 s2, v1
	v_max_i32_e32 v0, v3, v0
	s_mul_f32 s2, s2, 0x4f7ffffe
	s_delay_alu instid0(SALU_CYCLE_3) | instskip(SKIP_1) | instid1(SALU_CYCLE_2)
	s_cvt_u32_f32 s13, s2
	s_sub_co_i32 s2, 0, s12
	s_mul_i32 s2, s2, s13
	s_delay_alu instid0(SALU_CYCLE_1) | instskip(SKIP_2) | instid1(SALU_CYCLE_1)
	s_mul_hi_u32 s14, s13, s2
	s_load_b64 s[2:3], s[0:1], 0x60
	s_add_co_i32 s13, s13, s14
	v_mul_hi_u32 v1, v0, s13
	s_delay_alu instid0(VALU_DEP_1) | instskip(SKIP_2) | instid1(SALU_CYCLE_1)
	v_mul_lo_u32 v4, v1, s12
	s_wait_kmcnt 0x0
	s_add_co_i32 s3, s3, s2
	s_abs_i32 s20, s3
	s_delay_alu instid0(SALU_CYCLE_1) | instskip(NEXT) | instid1(VALU_DEP_1)
	s_cvt_f32_u32 s13, s20
	v_dual_sub_nc_u32 v0, v0, v4 :: v_dual_add_nc_u32 v4, 1, v1
	s_delay_alu instid0(SALU_CYCLE_2) | instskip(SKIP_1) | instid1(VALU_DEP_1)
	v_rcp_iflag_f32_e32 v5, s13
	s_cvt_f32_u32 s13, s5
	v_cmp_le_u32_e32 vcc_lo, s12, v0
	s_delay_alu instid0(TRANS32_DEP_1) | instskip(SKIP_4) | instid1(VALU_DEP_2)
	v_readfirstlane_b32 s14, v5
	v_cndmask_b32_e32 v1, v1, v4, vcc_lo
	v_subrev_nc_u32_e32 v6, s12, v0
	v_xor_b32_e32 v4, s4, v3
	s_mul_f32 s14, s14, 0x4f7ffffe
	v_dual_cndmask_b32 v5, v0, v6 :: v_dual_add_nc_u32 v6, 1, v1
	s_delay_alu instid0(VALU_DEP_2) | instskip(NEXT) | instid1(VALU_DEP_2)
	v_dual_ashrrev_i32 v0, 1, v2 :: v_dual_ashrrev_i32 v4, 31, v4
	v_cmp_le_u32_e32 vcc_lo, s12, v5
	v_rcp_iflag_f32_e32 v5, s13
	s_cvt_u32_f32 s12, s14
	s_sub_co_i32 s13, 0, s20
	v_dual_cndmask_b32 v1, v1, v6 :: v_dual_sub_nc_u32 v6, 0, v0
	s_delay_alu instid0(SALU_CYCLE_1) | instskip(NEXT) | instid1(TRANS32_DEP_1)
	s_mul_i32 s13, s13, s12
	v_readfirstlane_b32 s14, v5
	s_mul_hi_u32 s13, s12, s13
	v_xor_b32_e32 v1, v1, v4
	v_max_i32_e32 v6, v0, v6
	s_add_co_i32 s12, s12, s13
	s_delay_alu instid0(VALU_DEP_2) | instskip(NEXT) | instid1(VALU_DEP_2)
	v_sub_nc_u32_e32 v1, v1, v4
	v_mul_hi_u32 v4, v6, s12
	s_sub_co_i32 s12, 0, s5
	s_delay_alu instid0(VALU_DEP_2) | instskip(SKIP_1) | instid1(SALU_CYCLE_3)
	v_mul_lo_u32 v5, s4, v1
	s_mul_f32 s4, s14, 0x4f7ffffe
	s_cvt_u32_f32 s4, s4
	s_delay_alu instid0(VALU_DEP_2) | instskip(NEXT) | instid1(SALU_CYCLE_2)
	v_mul_lo_u32 v4, v4, s20
	s_mul_i32 s12, s12, s4
	s_delay_alu instid0(VALU_DEP_2) | instskip(SKIP_1) | instid1(SALU_CYCLE_1)
	v_sub_nc_u32_e32 v3, v3, v5
	s_mul_hi_u32 s12, s4, s12
	s_add_co_i32 s4, s4, s12
	s_clause 0x2
	s_load_b64 s[18:19], s[0:1], 0x50
	s_load_b64 s[16:17], s[0:1], 0x30
	s_load_b128 s[12:15], s[0:1], 0x40
	v_mul_hi_u32 v5, v3, s4
	s_mov_b32 s4, exec_lo
	s_delay_alu instid0(VALU_DEP_1) | instskip(SKIP_1) | instid1(VALU_DEP_2)
	v_mul_lo_u32 v7, v5, s5
	v_dual_sub_nc_u32 v4, v6, v4 :: v_dual_add_nc_u32 v8, 1, v5
	v_sub_nc_u32_e32 v7, v3, v7
	s_delay_alu instid0(VALU_DEP_2) | instskip(SKIP_1) | instid1(VALU_DEP_2)
	v_subrev_nc_u32_e32 v6, s20, v4
	v_cmp_le_u32_e32 vcc_lo, s20, v4
	v_cndmask_b32_e32 v4, v4, v6, vcc_lo
	s_delay_alu instid0(VALU_DEP_1) | instskip(SKIP_2) | instid1(VALU_DEP_2)
	v_subrev_nc_u32_e32 v6, s20, v4
	v_cmp_le_u32_e32 vcc_lo, s20, v4
	s_mov_b32 s20, -1
	v_cndmask_b32_e32 v4, v4, v6, vcc_lo
	v_subrev_nc_u32_e32 v6, s5, v7
	v_cmp_le_u32_e32 vcc_lo, s5, v7
	v_dual_cndmask_b32 v5, v5, v8 :: v_dual_ashrrev_i32 v2, 31, v2
	s_delay_alu instid0(VALU_DEP_3) | instskip(NEXT) | instid1(VALU_DEP_2)
	v_cndmask_b32_e32 v6, v7, v6, vcc_lo
	v_dual_add_nc_u32 v7, 1, v5 :: v_dual_bitop2_b32 v4, v4, v2 bitop3:0x14
	s_delay_alu instid0(VALU_DEP_2) | instskip(NEXT) | instid1(VALU_DEP_2)
	v_cmp_le_u32_e32 vcc_lo, s5, v6
	v_dual_sub_nc_u32 v4, v4, v2 :: v_dual_cndmask_b32 v2, v5, v7, vcc_lo
	s_delay_alu instid0(VALU_DEP_1) | instskip(NEXT) | instid1(VALU_DEP_2)
	v_mov_b32_e32 v6, v2
	v_cmpx_le_i32_e64 s2, v4
	s_cbranch_execz .LBB10_4
; %bb.2:
	s_cmp_gt_i32 s3, -1
	s_mov_b32 s3, -1
	s_cbranch_scc0 .LBB10_7
; %bb.3:
	v_subrev_nc_u32_e32 v4, s2, v4
	v_add_nc_u32_e32 v6, s6, v2
	s_branch .LBB10_8
.LBB10_4:
	s_or_b32 exec_lo, exec_lo, s4
	v_mov_b32_e32 v7, 0
	s_and_saveexec_b32 s6, s20
	s_cbranch_execz .LBB10_9
.LBB10_5:
	s_wait_kmcnt 0x0
	s_cmp_neq_f32 s19, 1.0
	v_cvt_f32_i32_e32 v4, v4
	s_load_b64 s[2:3], s[0:1], 0x38
	s_mov_b32 s4, 0x3e76c4e1
	s_cselect_b32 vcc_lo, -1, 0
	s_delay_alu instid0(VALU_DEP_1) | instskip(NEXT) | instid1(VALU_DEP_1)
	v_cndmask_b32_e32 v5, 1.0, v4, vcc_lo
	v_cmp_neq_f32_e32 vcc_lo, 0, v5
	v_cndmask_b32_e64 v4, 1.0, s19, vcc_lo
	s_delay_alu instid0(VALU_DEP_1) | instskip(SKIP_4) | instid1(VALU_DEP_1)
	v_frexp_mant_f32_e64 v7, |v4|
	s_wait_kmcnt 0x0
	global_load_b32 v22, v6, s[2:3] scale_offset
	v_cmp_gt_f32_e32 vcc_lo, 0x3f2aaaab, v7
	v_cndmask_b32_e64 v8, 1.0, 2.0, vcc_lo
	v_mul_f32_e32 v7, v7, v8
	s_delay_alu instid0(VALU_DEP_1) | instskip(NEXT) | instid1(VALU_DEP_1)
	v_dual_add_f32 v8, 1.0, v7 :: v_dual_add_f32 v9, -1.0, v7
	v_add_f32_e32 v11, -1.0, v8
	v_rcp_f32_e32 v14, v8
	v_nop
	s_delay_alu instid0(TRANS32_DEP_1) | instskip(NEXT) | instid1(VALU_DEP_1)
	v_mul_f32_e32 v15, v9, v14
	v_mul_f32_e32 v10, v8, v15
	v_sub_f32_e32 v7, v7, v11
	s_delay_alu instid0(VALU_DEP_2) | instskip(NEXT) | instid1(VALU_DEP_1)
	v_fma_f32 v12, v15, v8, -v10
	v_fmac_f32_e32 v12, v15, v7
	s_delay_alu instid0(VALU_DEP_1) | instskip(NEXT) | instid1(VALU_DEP_1)
	v_add_f32_e32 v8, v10, v12
	v_dual_sub_f32 v11, v9, v8 :: v_dual_mov_b32 v13, v8
	s_delay_alu instid0(VALU_DEP_1) | instskip(NEXT) | instid1(VALU_DEP_1)
	v_pk_add_f32 v[8:9], v[8:9], v[10:11] neg_lo:[0,1] neg_hi:[0,1]
	v_pk_add_f32 v[8:9], v[8:9], v[12:13] neg_lo:[0,1] neg_hi:[0,1]
	v_cvt_f64_f32_e64 v[12:13], |v4|
	s_delay_alu instid0(VALU_DEP_2) | instskip(NEXT) | instid1(VALU_DEP_1)
	v_add_f32_e32 v7, v8, v9
	v_add_f32_e32 v7, v11, v7
	s_delay_alu instid0(VALU_DEP_1) | instskip(NEXT) | instid1(VALU_DEP_1)
	v_mul_f32_e32 v7, v14, v7
	v_add_f32_e32 v8, v15, v7
	s_delay_alu instid0(VALU_DEP_1) | instskip(NEXT) | instid1(VALU_DEP_1)
	v_sub_f32_e32 v9, v8, v15
	v_sub_f32_e32 v18, v7, v9
	v_frexp_exp_i32_f64_e32 v17, v[12:13]
	s_delay_alu instid0(VALU_DEP_2) | instskip(NEXT) | instid1(VALU_DEP_1)
	v_dual_add_f32 v9, v18, v18 :: v_dual_mul_f32 v11, v8, v8
	v_fma_f32 v7, v8, v8, -v11
	s_delay_alu instid0(VALU_DEP_1) | instskip(NEXT) | instid1(VALU_DEP_1)
	v_fmac_f32_e32 v7, v8, v9
	v_add_f32_e32 v10, v11, v7
	s_delay_alu instid0(VALU_DEP_1) | instskip(SKIP_2) | instid1(VALU_DEP_2)
	v_sub_f32_e32 v11, v10, v11
	v_fmaak_f32 v9, s4, v10, 0x3e91f4c4
	v_cmp_eq_f32_e64 s4, 0, v4
	v_dual_sub_f32 v16, v7, v11 :: v_dual_fmaak_f32 v9, v10, v9, 0x3ecccdef
	s_delay_alu instid0(VALU_DEP_1) | instskip(SKIP_1) | instid1(VALU_DEP_1)
	v_mul_f32_e32 v14, v10, v9
	s_wait_xcnt 0x0
	v_fma_f32 v6, v10, v9, -v14
	s_delay_alu instid0(VALU_DEP_1) | instskip(NEXT) | instid1(VALU_DEP_1)
	v_fmac_f32_e32 v6, v16, v9
	v_add_f32_e32 v11, v14, v6
	s_delay_alu instid0(VALU_DEP_1) | instskip(NEXT) | instid1(VALU_DEP_1)
	v_sub_f32_e32 v9, v11, v14
	v_dual_add_f32 v7, 0x3f2aaaaa, v11 :: v_dual_sub_f32 v6, v6, v9
	s_delay_alu instid0(VALU_DEP_1) | instskip(NEXT) | instid1(VALU_DEP_2)
	v_add_f32_e32 v14, 0xbf2aaaaa, v7
	v_add_f32_e32 v9, 0x31739010, v6
	s_delay_alu instid0(VALU_DEP_2) | instskip(NEXT) | instid1(VALU_DEP_1)
	v_sub_f32_e32 v11, v11, v14
	v_pk_mul_f32 v[12:13], v[8:9], v[10:11]
	s_delay_alu instid0(VALU_DEP_1) | instskip(NEXT) | instid1(VALU_DEP_1)
	v_fma_f32 v6, v10, v8, -v12
	v_fmac_f32_e32 v6, v10, v18
	s_delay_alu instid0(VALU_DEP_1) | instskip(SKIP_2) | instid1(VALU_DEP_2)
	v_fmac_f32_e32 v6, v16, v8
	v_pk_add_f32 v[14:15], v[8:9], v[10:11]
	v_subrev_co_ci_u32_e64 v9, null, 0, v17, vcc_lo
	v_mov_b32_e32 v13, v15
	s_delay_alu instid0(VALU_DEP_2) | instskip(NEXT) | instid1(VALU_DEP_2)
	v_cvt_f32_i32_e32 v9, v9
	v_pk_add_f32 v[10:11], v[12:13], v[6:7]
	s_delay_alu instid0(VALU_DEP_1) | instskip(NEXT) | instid1(VALU_DEP_1)
	v_dual_mov_b32 v14, v11 :: v_dual_sub_f32 v13, v10, v12
	v_pk_mul_f32 v[16:17], v[10:11], v[14:15]
	s_delay_alu instid0(VALU_DEP_4) | instskip(NEXT) | instid1(VALU_DEP_3)
	v_dual_sub_f32 v7, v7, v11 :: v_dual_mul_f32 v14, 0x3f317218, v9
	v_sub_f32_e32 v6, v6, v13
	s_delay_alu instid0(VALU_DEP_3) | instskip(NEXT) | instid1(VALU_DEP_3)
	v_fma_f32 v12, v10, v11, -v16
	v_add_f32_e32 v7, v15, v7
	s_delay_alu instid0(VALU_DEP_1) | instskip(SKIP_1) | instid1(VALU_DEP_2)
	v_fmac_f32_e32 v12, v10, v7
	v_fma_f32 v7, 0x3f317218, v9, -v14
	v_fmac_f32_e32 v12, v6, v11
	s_delay_alu instid0(VALU_DEP_2) | instskip(SKIP_1) | instid1(VALU_DEP_1)
	v_fmamk_f32 v6, v9, 0xb102e308, v7
	v_ldexp_f32 v7, v8, 1
	v_dual_add_f32 v15, v16, v12 :: v_dual_mov_b32 v17, v7
	s_delay_alu instid0(VALU_DEP_1) | instskip(SKIP_2) | instid1(VALU_DEP_3)
	v_pk_add_f32 v[8:9], v[14:15], v[6:7]
	v_dual_mov_b32 v10, v15 :: v_dual_mov_b32 v13, v15
	v_ldexp_f32 v7, v18, 1
	v_dual_mov_b32 v11, v9 :: v_dual_mov_b32 v20, v9
	s_delay_alu instid0(VALU_DEP_1) | instskip(NEXT) | instid1(VALU_DEP_1)
	v_pk_add_f32 v[10:11], v[10:11], v[16:17] neg_lo:[0,1] neg_hi:[0,1]
	v_pk_add_f32 v[10:11], v[12:13], v[10:11] neg_lo:[0,1] neg_hi:[0,1]
	s_delay_alu instid0(VALU_DEP_1) | instskip(NEXT) | instid1(VALU_DEP_1)
	v_add_f32_e32 v7, v7, v10
	v_dual_add_f32 v15, v7, v11 :: v_dual_mov_b32 v7, v8
	s_delay_alu instid0(VALU_DEP_1) | instskip(SKIP_1) | instid1(VALU_DEP_2)
	v_pk_add_f32 v[10:11], v[8:9], v[14:15]
	v_pk_add_f32 v[12:13], v[8:9], v[14:15] neg_lo:[0,1] neg_hi:[0,1]
	v_mov_b32_e32 v13, v11
	s_delay_alu instid0(VALU_DEP_1) | instskip(SKIP_2) | instid1(VALU_DEP_3)
	v_pk_add_f32 v[16:17], v[6:7], v[12:13]
	v_mov_b32_e32 v16, v11
	v_pk_add_f32 v[6:7], v[6:7], v[12:13] neg_lo:[0,1] neg_hi:[0,1]
	v_mov_b32_e32 v14, v17
	s_delay_alu instid0(VALU_DEP_1) | instskip(SKIP_1) | instid1(VALU_DEP_2)
	v_pk_add_f32 v[18:19], v[14:15], v[8:9] neg_lo:[0,1] neg_hi:[0,1]
	v_dual_mov_b32 v9, v8 :: v_dual_mov_b32 v8, v15
	v_dual_mov_b32 v15, v18 :: v_dual_mov_b32 v21, v18
	s_delay_alu instid0(VALU_DEP_1) | instskip(NEXT) | instid1(VALU_DEP_2)
	v_pk_add_f32 v[10:11], v[10:11], v[14:15] neg_lo:[0,1] neg_hi:[0,1]
	v_pk_add_f32 v[12:13], v[16:17], v[20:21] neg_lo:[0,1] neg_hi:[0,1]
	v_mov_b32_e32 v10, v6
	s_delay_alu instid0(VALU_DEP_2) | instskip(NEXT) | instid1(VALU_DEP_1)
	v_pk_add_f32 v[8:9], v[8:9], v[12:13] neg_lo:[0,1] neg_hi:[0,1]
	v_pk_add_f32 v[10:11], v[10:11], v[8:9]
	s_delay_alu instid0(VALU_DEP_1) | instskip(NEXT) | instid1(VALU_DEP_1)
	v_mov_b32_e32 v12, v11
	v_pk_add_f32 v[12:13], v[10:11], v[12:13]
	s_delay_alu instid0(VALU_DEP_1) | instskip(NEXT) | instid1(VALU_DEP_1)
	v_pk_add_f32 v[14:15], v[14:15], v[12:13]
	v_dual_mov_b32 v7, v17 :: v_dual_mov_b32 v11, v14
	s_delay_alu instid0(VALU_DEP_1) | instskip(NEXT) | instid1(VALU_DEP_1)
	v_pk_add_f32 v[16:17], v[10:11], v[6:7] neg_lo:[0,1] neg_hi:[0,1]
	v_dual_mov_b32 v9, v12 :: v_dual_sub_f32 v7, v10, v16
	s_delay_alu instid0(VALU_DEP_1) | instskip(NEXT) | instid1(VALU_DEP_2)
	v_pk_add_f32 v[8:9], v[8:9], v[16:17] neg_lo:[0,1] neg_hi:[0,1]
	v_sub_f32_e32 v6, v6, v7
	s_delay_alu instid0(VALU_DEP_1) | instskip(NEXT) | instid1(VALU_DEP_1)
	v_add_f32_e32 v6, v8, v6
	v_add_f32_e32 v6, v6, v9
	s_delay_alu instid0(VALU_DEP_1) | instskip(NEXT) | instid1(VALU_DEP_1)
	v_add_f32_e32 v7, v14, v6
	v_dual_sub_f32 v8, v7, v14 :: v_dual_mul_f32 v9, v5, v7
	s_delay_alu instid0(VALU_DEP_1) | instskip(SKIP_1) | instid1(VALU_DEP_2)
	v_dual_fma_f32 v7, v5, v7, -v9 :: v_dual_sub_f32 v6, v6, v8
	v_cmp_class_f32_e64 vcc_lo, v9, 0x204
	v_fmac_f32_e32 v7, v5, v6
	s_delay_alu instid0(VALU_DEP_1) | instskip(NEXT) | instid1(VALU_DEP_1)
	v_add_f32_e32 v6, v9, v7
	v_cndmask_b32_e32 v8, v6, v9, vcc_lo
	s_delay_alu instid0(VALU_DEP_1) | instskip(SKIP_2) | instid1(VALU_DEP_2)
	v_cmp_eq_f32_e32 vcc_lo, 0x42b17218, v8
	v_cndmask_b32_e64 v10, 0, 0x37000000, vcc_lo
	v_cmp_neq_f32_e64 vcc_lo, 0x7f800000, |v8|
	v_sub_f32_e32 v11, v8, v10
	v_trunc_f32_e32 v8, v5
	s_delay_alu instid0(VALU_DEP_2) | instskip(NEXT) | instid1(VALU_DEP_1)
	v_mul_f32_e32 v12, 0x3fb8aa3b, v11
	v_fma_f32 v13, 0x3fb8aa3b, v11, -v12
	v_rndne_f32_e32 v14, v12
	s_delay_alu instid0(VALU_DEP_1) | instskip(SKIP_1) | instid1(VALU_DEP_1)
	v_dual_fmamk_f32 v13, v11, 0x32a5705f, v13 :: v_dual_sub_f32 v12, v12, v14
	v_sub_f32_e32 v6, v6, v9
	v_dual_add_f32 v12, v12, v13 :: v_dual_sub_f32 v6, v7, v6
	s_delay_alu instid0(VALU_DEP_1) | instskip(SKIP_2) | instid1(VALU_DEP_3)
	v_exp_f32_e32 v9, v12
	v_nop
	v_cvt_i32_f32_e32 v12, v14
	v_cndmask_b32_e32 v6, 0, v6, vcc_lo
	v_cmp_ngt_f32_e32 vcc_lo, 0xc2ce8ed0, v11
	s_delay_alu instid0(TRANS32_DEP_1) | instid1(VALU_DEP_3)
	v_ldexp_f32 v7, v9, v12
	s_delay_alu instid0(VALU_DEP_3) | instskip(NEXT) | instid1(VALU_DEP_2)
	v_dual_mul_f32 v9, 0.5, v5 :: v_dual_add_f32 v6, v10, v6
	v_cndmask_b32_e32 v7, 0, v7, vcc_lo
	s_delay_alu instid0(VALU_DEP_2) | instskip(SKIP_1) | instid1(VALU_DEP_2)
	v_trunc_f32_e32 v12, v9
	v_cmp_nlt_f32_e32 vcc_lo, 0x42b17218, v11
	v_cmp_neq_f32_e64 s2, v12, v9
	s_delay_alu instid0(VALU_DEP_4) | instskip(SKIP_1) | instid1(VALU_DEP_2)
	v_cndmask_b32_e32 v7, 0x7f800000, v7, vcc_lo
	v_cmp_eq_f32_e32 vcc_lo, v8, v5
	v_cmp_class_f32_e64 s3, v7, 0x204
	s_and_b32 s2, vcc_lo, s2
	s_delay_alu instid0(SALU_CYCLE_1) | instskip(NEXT) | instid1(VALU_DEP_1)
	v_dual_fma_f32 v6, v7, v6, v7 :: v_dual_cndmask_b32 v8, 1.0, v4, s2
	v_cndmask_b32_e64 v6, v6, v7, s3
	v_cmp_gt_f32_e64 s3, 0, v5
	s_delay_alu instid0(VALU_DEP_2)
	v_bfi_b32 v5, 0x7fffffff, v6, v8
	s_xor_b32 s3, s3, s4
	v_cndmask_b32_e64 v8, 0, v4, s2
	v_cndmask_b32_e64 v6, 0x7f800000, 0, s3
	v_cmp_class_f32_e64 s2, v4, 0x204
	v_cndmask_b32_e32 v7, 0x7fc00000, v5, vcc_lo
	v_cmp_gt_f32_e32 vcc_lo, 0, v4
	s_delay_alu instid0(VALU_DEP_4) | instskip(NEXT) | instid1(VALU_DEP_3)
	v_bfi_b32 v6, 0x7fffffff, v6, v8
	v_cndmask_b32_e32 v5, v5, v7, vcc_lo
	s_or_b32 vcc_lo, s4, s2
	s_delay_alu instid0(VALU_DEP_1) | instskip(SKIP_3) | instid1(VALU_DEP_3)
	v_cndmask_b32_e32 v5, v5, v6, vcc_lo
	v_cmp_o_f32_e32 vcc_lo, v4, v4
	s_wait_loadcnt 0x0
	v_cvt_f32_i32_e32 v6, v22
	v_cndmask_b32_e32 v4, 0x7fc00000, v5, vcc_lo
	s_delay_alu instid0(VALU_DEP_1) | instskip(SKIP_1) | instid1(VALU_DEP_1)
	v_mul_f32_e32 v7, v4, v6
	s_or_b32 exec_lo, exec_lo, s6
	v_mul_f32_e32 v4, s12, v7
	s_cmp_eq_f32 s13, 0
	s_cbranch_scc0 .LBB10_10
.LBB10_6:
	v_mov_b32_e32 v5, s14
	s_branch .LBB10_11
.LBB10_7:
	s_mov_b32 s3, 0
                                        ; implicit-def: $vgpr4
                                        ; implicit-def: $vgpr6
.LBB10_8:
	s_delay_alu instid0(SALU_CYCLE_1)
	s_or_not1_b32 s20, s3, exec_lo
	s_or_b32 exec_lo, exec_lo, s4
	v_mov_b32_e32 v7, 0
	s_and_saveexec_b32 s6, s20
	s_cbranch_execnz .LBB10_5
.LBB10_9:
	s_or_b32 exec_lo, exec_lo, s6
	s_wait_kmcnt 0x0
	v_mul_f32_e32 v4, s12, v7
	s_cmp_eq_f32 s13, 0
	s_cbranch_scc1 .LBB10_6
.LBB10_10:
	v_div_scale_f32 v8, null, s12, s12, 1.0
	v_cvt_f32_i32_e32 v5, v0
	s_sub_f32 s2, s18, s15
	s_delay_alu instid0(VALU_DEP_2)
	v_rcp_f32_e32 v10, v8
	v_nop
	v_xor_b32_e32 v8, 0x80000000, v8
	s_max_num_f32 s3, s2, 0x3a83126f
	s_delay_alu instid0(TRANS32_DEP_1) | instid1(VALU_DEP_1)
	v_fma_f32 v12, v8, v10, 1.0
	s_delay_alu instid0(VALU_DEP_1)
	v_dual_subrev_f32 v5, s15, v5 :: v_dual_fmac_f32 v10, v12, v10
	s_delay_alu instid0(VALU_DEP_1) | instid1(SALU_CYCLE_1)
	v_div_scale_f32 v6, null, s3, s3, v5
	v_div_scale_f32 v13, vcc_lo, v5, s3, v5
	s_delay_alu instid0(VALU_DEP_2) | instskip(SKIP_1) | instid1(TRANS32_DEP_1)
	v_rcp_f32_e32 v9, v6
	v_nop
	v_fma_f32 v11, -v6, v9, 1.0
	s_delay_alu instid0(VALU_DEP_1) | instskip(SKIP_1) | instid1(VALU_DEP_1)
	v_fmac_f32_e32 v9, v11, v9
	v_div_scale_f32 v11, s2, 1.0, s12, 1.0
	v_dual_mul_f32 v14, v11, v10 :: v_dual_mul_f32 v12, v13, v9
	s_delay_alu instid0(VALU_DEP_1) | instskip(NEXT) | instid1(VALU_DEP_1)
	v_dual_fma_f32 v16, v8, v14, v11 :: v_dual_fma_f32 v15, -v6, v12, v13
	v_dual_fmac_f32 v14, v16, v10 :: v_dual_fmac_f32 v12, v15, v9
	s_delay_alu instid0(VALU_DEP_1) | instskip(NEXT) | instid1(VALU_DEP_1)
	v_dual_fmac_f32 v11, v8, v14 :: v_dual_fma_f32 v6, -v6, v12, v13
	v_div_fmas_f32 v6, v6, v9, v12
	s_mov_b32 vcc_lo, s2
	s_delay_alu instid0(VALU_DEP_2) | instskip(NEXT) | instid1(VALU_DEP_2)
	v_div_fmas_f32 v8, v11, v10, v14
	v_div_fixup_f32 v5, v6, s3, v5 clamp
	s_delay_alu instid0(VALU_DEP_2) | instskip(NEXT) | instid1(VALU_DEP_2)
	v_div_fixup_f32 v8, v8, s12, 1.0
	v_sub_f32_e32 v5, 1.0, v5
	s_delay_alu instid0(VALU_DEP_2) | instskip(SKIP_2) | instid1(SALU_CYCLE_1)
	v_readfirstlane_b32 s2, v8
	s_cmp_lt_f32 s2, 0x800000
	s_cselect_b32 s2, 0x4f800000, 1.0
	v_mul_f32_e32 v8, s2, v8
	s_cselect_b32 s2, 0x41b17218, 0
	s_delay_alu instid0(VALU_DEP_1) | instskip(SKIP_1) | instid1(TRANS32_DEP_1)
	v_log_f32_e32 v8, v8
	v_nop
	v_mul_f32_e32 v9, 0x3f317217, v8
	v_and_b32_e32 v6, 0x7fffffff, v8
	s_delay_alu instid0(VALU_DEP_2) | instskip(NEXT) | instid1(VALU_DEP_2)
	v_xor_b32_e32 v9, 0x80000000, v9
	v_cmp_gt_f32_e32 vcc_lo, 0x7f800000, v6
	s_delay_alu instid0(VALU_DEP_2) | instskip(NEXT) | instid1(VALU_DEP_1)
	v_fmac_f32_e32 v9, 0x3f317217, v8
	v_fmamk_f32 v9, v8, 0x3377d1cf, v9
	s_delay_alu instid0(VALU_DEP_1) | instskip(NEXT) | instid1(VALU_DEP_1)
	v_fmac_f32_e32 v9, 0x3f317217, v8
	v_dual_cndmask_b32 v6, v8, v9 :: v_dual_mov_b32 v9, 1.0
	v_fma_f32 v8, -s13, v5, 1.0
	s_delay_alu instid0(VALU_DEP_2) | instskip(NEXT) | instid1(VALU_DEP_2)
	v_dual_subrev_f32 v6, s2, v6 :: v_dual_mul_f32 v5, s13, v5
	v_mul_f32_e32 v4, v8, v4
	s_delay_alu instid0(VALU_DEP_2) | instskip(NEXT) | instid1(VALU_DEP_1)
	v_fmamk_f32 v6, v6, 0x3dcccccd, v9
	v_dual_fmac_f32 v4, v5, v7 :: v_dual_mul_f32 v5, s14, v6
.LBB10_11:
	s_delay_alu instid0(VALU_DEP_1) | instskip(SKIP_1) | instid1(VALU_DEP_2)
	v_and_b32_e32 v6, 0x7fffffff, v4
	v_cmp_ngt_f32_e64 s4, 0x48000000, |v4|
                                        ; implicit-def: $vgpr8
                                        ; implicit-def: $vgpr7
	v_lshrrev_b32_e32 v9, 23, v6
	s_and_saveexec_b32 s2, s4
	s_delay_alu instid0(SALU_CYCLE_1)
	s_xor_b32 s6, exec_lo, s2
	s_cbranch_execz .LBB10_13
; %bb.12:
	s_mov_b32 s2, 0x7fffff
	v_mov_b32_e32 v11, 0
	v_and_or_b32 v10, v6, s2, 0x800000
	s_mov_b64 s[2:3], 0xfe5163ab
	v_add_nc_u32_e32 v7, 0xffffff88, v9
	s_delay_alu instid0(VALU_DEP_2) | instskip(NEXT) | instid1(VALU_DEP_2)
	v_mul_u64_e32 v[12:13], s[2:3], v[10:11]
	v_cmp_lt_u32_e32 vcc_lo, 63, v7
	v_cndmask_b32_e64 v8, 0, 0xffffffc0, vcc_lo
	s_delay_alu instid0(VALU_DEP_3) | instskip(SKIP_2) | instid1(VALU_DEP_3)
	v_dual_mov_b32 v14, v13 :: v_dual_mov_b32 v15, v11
	v_dual_mov_b32 v17, v11 :: v_dual_mov_b32 v19, v11
	;; [unrolled: 1-line block ×3, first 2 shown]
	v_mad_nc_u64_u32 v[14:15], 0x3c439041, v10, v[14:15]
	v_dual_add_nc_u32 v7, v8, v7 :: v_dual_mov_b32 v25, v11
	s_delay_alu instid0(VALU_DEP_1) | instskip(NEXT) | instid1(VALU_DEP_3)
	v_cmp_lt_u32_e64 s2, 31, v7
	v_mov_b32_e32 v16, v15
	s_delay_alu instid0(VALU_DEP_2) | instskip(NEXT) | instid1(VALU_DEP_2)
	v_cndmask_b32_e64 v8, 0, 0xffffffe0, s2
	v_mad_nc_u64_u32 v[16:17], 0xdb629599, v10, v[16:17]
	s_delay_alu instid0(VALU_DEP_2) | instskip(NEXT) | instid1(VALU_DEP_1)
	v_add_nc_u32_e32 v7, v8, v7
	v_cmp_lt_u32_e64 s3, 31, v7
	s_delay_alu instid0(VALU_DEP_3) | instskip(NEXT) | instid1(VALU_DEP_2)
	v_mov_b32_e32 v18, v17
	v_cndmask_b32_e64 v8, 0, 0xffffffe0, s3
	v_cndmask_b32_e32 v12, v16, v12, vcc_lo
	s_delay_alu instid0(VALU_DEP_3) | instskip(NEXT) | instid1(VALU_DEP_1)
	v_mad_nc_u64_u32 v[18:19], 0xf534ddc0, v10, v[18:19]
	v_dual_cndmask_b32 v8, v18, v14 :: v_dual_add_nc_u32 v7, v8, v7
	s_delay_alu instid0(VALU_DEP_2) | instskip(NEXT) | instid1(VALU_DEP_1)
	v_mov_b32_e32 v20, v19
	v_mad_nc_u64_u32 v[20:21], 0xfc2757d1, v10, v[20:21]
	s_delay_alu instid0(VALU_DEP_1) | instskip(NEXT) | instid1(VALU_DEP_1)
	v_dual_mov_b32 v22, v21 :: v_dual_cndmask_b32 v15, v20, v16
	v_mad_nc_u64_u32 v[22:23], 0x4e441529, v10, v[22:23]
	s_delay_alu instid0(VALU_DEP_1) | instskip(NEXT) | instid1(VALU_DEP_1)
	v_dual_mov_b32 v24, v23 :: v_dual_cndmask_b32 v13, v22, v18
	v_mad_nc_u64_u32 v[10:11], 0xa2f9836e, v10, v[24:25]
	s_delay_alu instid0(VALU_DEP_1) | instskip(SKIP_1) | instid1(VALU_DEP_2)
	v_dual_cndmask_b32 v10, v10, v20 :: v_dual_cndmask_b32 v11, v11, v22
	v_cmp_eq_u32_e32 vcc_lo, 0, v7
	v_dual_cndmask_b32 v14, v10, v13, s2 :: v_dual_cndmask_b32 v10, v11, v10, s2
	v_dual_cndmask_b32 v11, v13, v15, s2 :: v_dual_cndmask_b32 v15, v15, v8, s2
	v_dual_sub_nc_u32 v13, 32, v7 :: v_dual_cndmask_b32 v8, v8, v12, s2
	s_delay_alu instid0(VALU_DEP_3) | instskip(NEXT) | instid1(VALU_DEP_2)
	v_cndmask_b32_e64 v10, v10, v14, s3
	v_dual_cndmask_b32 v14, v14, v11, s3 :: v_dual_cndmask_b32 v8, v15, v8, s3
	s_delay_alu instid0(VALU_DEP_1) | instskip(NEXT) | instid1(VALU_DEP_1)
	v_alignbit_b32 v17, v10, v14, v13
	v_dual_cndmask_b32 v11, v11, v15, s3 :: v_dual_cndmask_b32 v7, v17, v10, vcc_lo
	s_delay_alu instid0(VALU_DEP_1) | instskip(NEXT) | instid1(VALU_DEP_4)
	v_alignbit_b32 v16, v14, v11, v13
	v_alignbit_b32 v13, v11, v8, v13
	s_delay_alu instid0(VALU_DEP_3) | instskip(NEXT) | instid1(VALU_DEP_2)
	v_bfe_u32 v12, v7, 29, 1
	v_dual_cndmask_b32 v10, v16, v14 :: v_dual_cndmask_b32 v11, v13, v11
	s_delay_alu instid0(VALU_DEP_2) | instskip(NEXT) | instid1(VALU_DEP_2)
	v_sub_nc_u32_e32 v15, 0, v12
	v_alignbit_b32 v14, v7, v10, 30
	s_delay_alu instid0(VALU_DEP_3) | instskip(SKIP_1) | instid1(VALU_DEP_3)
	v_alignbit_b32 v10, v10, v11, 30
	v_alignbit_b32 v8, v11, v8, 30
	v_xor_b32_e32 v14, v14, v15
	s_delay_alu instid0(VALU_DEP_2) | instskip(NEXT) | instid1(VALU_DEP_2)
	v_xor_b32_e32 v8, v8, v15
	v_clz_i32_u32_e32 v13, v14
	s_delay_alu instid0(VALU_DEP_1) | instskip(NEXT) | instid1(VALU_DEP_1)
	v_min_u32_e32 v13, 32, v13
	v_dual_lshlrev_b32 v16, 23, v13 :: v_dual_bitop2_b32 v10, v10, v15 bitop3:0x14
	v_sub_nc_u32_e32 v11, 31, v13
	s_delay_alu instid0(VALU_DEP_1) | instskip(SKIP_2) | instid1(VALU_DEP_1)
	v_alignbit_b32 v14, v14, v10, v11
	v_lshrrev_b32_e32 v15, 29, v7
	v_alignbit_b32 v8, v10, v8, v11
	v_alignbit_b32 v11, v14, v8, 9
	s_delay_alu instid0(VALU_DEP_3) | instskip(NEXT) | instid1(VALU_DEP_2)
	v_dual_lshrrev_b32 v14, 9, v14 :: v_dual_lshlrev_b32 v10, 31, v15
	v_clz_i32_u32_e32 v17, v11
	s_delay_alu instid0(VALU_DEP_2) | instskip(SKIP_1) | instid1(VALU_DEP_2)
	v_or_b32_e32 v15, 0.5, v10
	v_or_b32_e32 v10, 0x33000000, v10
	v_sub_nc_u32_e32 v15, v15, v16
	s_delay_alu instid0(VALU_DEP_4) | instskip(NEXT) | instid1(VALU_DEP_1)
	v_min_u32_e32 v16, 32, v17
	v_add_lshl_u32 v13, v16, v13, 23
	s_delay_alu instid0(VALU_DEP_1) | instskip(NEXT) | instid1(VALU_DEP_4)
	v_sub_nc_u32_e32 v10, v10, v13
	v_or_b32_e32 v14, v14, v15
	v_not_b32_e32 v15, v16
	s_delay_alu instid0(VALU_DEP_1) | instskip(NEXT) | instid1(VALU_DEP_1)
	v_alignbit_b32 v8, v11, v8, v15
	v_dual_mul_f32 v17, 0x3fc90fda, v14 :: v_dual_lshrrev_b32 v8, 9, v8
	s_delay_alu instid0(VALU_DEP_1) | instskip(NEXT) | instid1(VALU_DEP_2)
	v_or_b32_e32 v8, v10, v8
	v_fma_f32 v11, 0x3fc90fda, v14, -v17
	s_delay_alu instid0(VALU_DEP_1) | instskip(NEXT) | instid1(VALU_DEP_1)
	v_fmamk_f32 v11, v14, 0x33a22168, v11
	v_dual_fmac_f32 v11, 0x3fc90fda, v8 :: v_dual_lshrrev_b32 v8, 30, v7
	s_delay_alu instid0(VALU_DEP_1)
	v_dual_add_f32 v7, v17, v11 :: v_dual_add_nc_u32 v8, v12, v8
	s_or_saveexec_b32 s2, s6
	v_mul_f32_e64 v12, 0x3f22f983, |v4|
	s_xor_b32 exec_lo, exec_lo, s2
	s_branch .LBB10_14
.LBB10_13:
	s_or_saveexec_b32 s2, s6
	v_mul_f32_e64 v12, 0x3f22f983, |v4|
	s_xor_b32 exec_lo, exec_lo, s2
.LBB10_14:
	s_delay_alu instid0(VALU_DEP_1) | instskip(NEXT) | instid1(VALU_DEP_1)
	v_rndne_f32_e32 v8, v12
	v_fma_f32 v7, 0xbfc90fda, v8, |v4|
	s_delay_alu instid0(VALU_DEP_1) | instskip(NEXT) | instid1(VALU_DEP_1)
	v_fmamk_f32 v7, v8, 0xb3a22168, v7
	v_fmamk_f32 v7, v8, 0xa7c234c4, v7
	v_cvt_i32_f32_e32 v8, v8
; %bb.15:
	s_or_b32 exec_lo, exec_lo, s2
                                        ; implicit-def: $vgpr11
                                        ; implicit-def: $vgpr10
	s_and_saveexec_b32 s2, s4
	s_delay_alu instid0(SALU_CYCLE_1)
	s_xor_b32 s4, exec_lo, s2
	s_cbranch_execz .LBB10_17
; %bb.16:
	s_mov_b32 s2, 0x7fffff
	v_mov_b32_e32 v11, 0
	v_and_or_b32 v10, v6, s2, 0x800000
	s_mov_b64 s[2:3], 0xfe5163ab
	v_add_nc_u32_e32 v9, 0xffffff88, v9
	s_delay_alu instid0(VALU_DEP_2) | instskip(NEXT) | instid1(VALU_DEP_2)
	v_mul_u64_e32 v[12:13], s[2:3], v[10:11]
	v_cmp_lt_u32_e32 vcc_lo, 63, v9
	s_delay_alu instid0(VALU_DEP_2) | instskip(SKIP_2) | instid1(VALU_DEP_3)
	v_dual_mov_b32 v14, v13 :: v_dual_mov_b32 v15, v11
	v_dual_mov_b32 v17, v11 :: v_dual_mov_b32 v19, v11
	;; [unrolled: 1-line block ×3, first 2 shown]
	v_mad_nc_u64_u32 v[14:15], 0x3c439041, v10, v[14:15]
	v_cndmask_b32_e64 v13, 0, 0xffffffc0, vcc_lo
	s_delay_alu instid0(VALU_DEP_1) | instskip(NEXT) | instid1(VALU_DEP_3)
	v_dual_mov_b32 v25, v11 :: v_dual_add_nc_u32 v9, v13, v9
	v_mov_b32_e32 v16, v15
	s_delay_alu instid0(VALU_DEP_2) | instskip(NEXT) | instid1(VALU_DEP_2)
	v_cmp_lt_u32_e64 s2, 31, v9
	v_mad_nc_u64_u32 v[16:17], 0xdb629599, v10, v[16:17]
	s_delay_alu instid0(VALU_DEP_2) | instskip(NEXT) | instid1(VALU_DEP_1)
	v_cndmask_b32_e64 v13, 0, 0xffffffe0, s2
	v_add_nc_u32_e32 v9, v13, v9
	s_delay_alu instid0(VALU_DEP_3) | instskip(NEXT) | instid1(VALU_DEP_2)
	v_mov_b32_e32 v18, v17
	v_cmp_lt_u32_e64 s3, 31, v9
	v_cndmask_b32_e32 v12, v16, v12, vcc_lo
	s_delay_alu instid0(VALU_DEP_3) | instskip(NEXT) | instid1(VALU_DEP_3)
	v_mad_nc_u64_u32 v[18:19], 0xf534ddc0, v10, v[18:19]
	v_cndmask_b32_e64 v13, 0, 0xffffffe0, s3
	s_delay_alu instid0(VALU_DEP_1) | instskip(NEXT) | instid1(VALU_DEP_3)
	v_dual_add_nc_u32 v9, v13, v9 :: v_dual_cndmask_b32 v13, v18, v14, vcc_lo
	v_mov_b32_e32 v20, v19
	s_delay_alu instid0(VALU_DEP_1) | instskip(NEXT) | instid1(VALU_DEP_1)
	v_mad_nc_u64_u32 v[20:21], 0xfc2757d1, v10, v[20:21]
	v_dual_mov_b32 v22, v21 :: v_dual_cndmask_b32 v17, v20, v16
	s_delay_alu instid0(VALU_DEP_1) | instskip(NEXT) | instid1(VALU_DEP_1)
	v_mad_nc_u64_u32 v[22:23], 0x4e441529, v10, v[22:23]
	v_dual_mov_b32 v24, v23 :: v_dual_cndmask_b32 v15, v22, v18
	s_delay_alu instid0(VALU_DEP_1) | instskip(NEXT) | instid1(VALU_DEP_1)
	v_mad_nc_u64_u32 v[10:11], 0xa2f9836e, v10, v[24:25]
	v_dual_cndmask_b32 v10, v10, v20 :: v_dual_cndmask_b32 v11, v11, v22
	v_cmp_eq_u32_e32 vcc_lo, 0, v9
	s_delay_alu instid0(VALU_DEP_2) | instskip(SKIP_2) | instid1(VALU_DEP_3)
	v_dual_cndmask_b32 v14, v10, v15, s2 :: v_dual_cndmask_b32 v10, v11, v10, s2
	v_cndmask_b32_e64 v11, v15, v17, s2
	v_sub_nc_u32_e32 v15, 32, v9
	v_dual_cndmask_b32 v17, v17, v13, s2 :: v_dual_cndmask_b32 v10, v10, v14, s3
	s_delay_alu instid0(VALU_DEP_3) | instskip(NEXT) | instid1(VALU_DEP_1)
	v_cndmask_b32_e64 v14, v14, v11, s3
	v_alignbit_b32 v18, v10, v14, v15
	s_delay_alu instid0(VALU_DEP_1) | instskip(NEXT) | instid1(VALU_DEP_1)
	v_dual_cndmask_b32 v11, v11, v17, s3 :: v_dual_cndmask_b32 v9, v18, v10, vcc_lo
	v_alignbit_b32 v16, v14, v11, v15
	v_cndmask_b32_e64 v10, v13, v12, s2
	s_delay_alu instid0(VALU_DEP_3) | instskip(NEXT) | instid1(VALU_DEP_3)
	v_bfe_u32 v13, v9, 29, 1
	v_cndmask_b32_e32 v12, v16, v14, vcc_lo
	s_delay_alu instid0(VALU_DEP_2) | instskip(NEXT) | instid1(VALU_DEP_2)
	v_dual_cndmask_b32 v10, v17, v10, s3 :: v_dual_sub_nc_u32 v16, 0, v13
	v_alignbit_b32 v14, v9, v12, 30
	s_delay_alu instid0(VALU_DEP_2) | instskip(NEXT) | instid1(VALU_DEP_1)
	v_alignbit_b32 v15, v11, v10, v15
	v_dual_cndmask_b32 v11, v15, v11, vcc_lo :: v_dual_bitop2_b32 v14, v14, v16 bitop3:0x14
	s_delay_alu instid0(VALU_DEP_1) | instskip(NEXT) | instid1(VALU_DEP_2)
	v_clz_i32_u32_e32 v15, v14
	v_alignbit_b32 v12, v12, v11, 30
	v_alignbit_b32 v10, v11, v10, 30
	s_delay_alu instid0(VALU_DEP_3) | instskip(NEXT) | instid1(VALU_DEP_3)
	v_min_u32_e32 v15, 32, v15
	v_xor_b32_e32 v11, v12, v16
	s_delay_alu instid0(VALU_DEP_3) | instskip(NEXT) | instid1(VALU_DEP_3)
	v_dual_lshrrev_b32 v16, 29, v9 :: v_dual_bitop2_b32 v10, v10, v16 bitop3:0x14
	v_dual_lshrrev_b32 v9, 30, v9 :: v_dual_sub_nc_u32 v12, 31, v15
	v_lshlrev_b32_e32 v17, 23, v15
	s_delay_alu instid0(VALU_DEP_2) | instskip(NEXT) | instid1(VALU_DEP_4)
	v_alignbit_b32 v14, v14, v11, v12
	v_alignbit_b32 v10, v11, v10, v12
	v_lshlrev_b32_e32 v11, 31, v16
	s_delay_alu instid0(VALU_DEP_2) | instskip(NEXT) | instid1(VALU_DEP_2)
	v_alignbit_b32 v12, v14, v10, 9
	v_dual_lshrrev_b32 v14, 9, v14 :: v_dual_bitop2_b32 v16, 0.5, v11 bitop3:0x54
	v_or_b32_e32 v11, 0x33000000, v11
	s_delay_alu instid0(VALU_DEP_3) | instskip(NEXT) | instid1(VALU_DEP_3)
	v_clz_i32_u32_e32 v18, v12
	v_sub_nc_u32_e32 v16, v16, v17
	s_delay_alu instid0(VALU_DEP_2) | instskip(NEXT) | instid1(VALU_DEP_1)
	v_min_u32_e32 v17, 32, v18
	v_add_lshl_u32 v15, v17, v15, 23
	s_delay_alu instid0(VALU_DEP_1) | instskip(SKIP_1) | instid1(VALU_DEP_1)
	v_dual_sub_nc_u32 v11, v11, v15 :: v_dual_bitop2_b32 v14, v14, v16 bitop3:0x54
	v_not_b32_e32 v16, v17
	v_alignbit_b32 v10, v12, v10, v16
	s_delay_alu instid0(VALU_DEP_1) | instskip(NEXT) | instid1(VALU_DEP_4)
	v_lshrrev_b32_e32 v10, 9, v10
	v_mul_f32_e32 v18, 0x3fc90fda, v14
	s_delay_alu instid0(VALU_DEP_2) | instskip(NEXT) | instid1(VALU_DEP_2)
	v_or_b32_e32 v10, v11, v10
	v_fma_f32 v12, 0x3fc90fda, v14, -v18
	s_delay_alu instid0(VALU_DEP_1) | instskip(NEXT) | instid1(VALU_DEP_1)
	v_dual_fmamk_f32 v12, v14, 0x33a22168, v12 :: v_dual_add_nc_u32 v11, v13, v9
	v_fmac_f32_e32 v12, 0x3fc90fda, v10
	s_delay_alu instid0(VALU_DEP_1)
	v_add_f32_e32 v10, v18, v12
                                        ; implicit-def: $vgpr12
	s_and_not1_saveexec_b32 s2, s4
	s_cbranch_execnz .LBB10_18
	s_branch .LBB10_19
.LBB10_17:
	s_and_not1_saveexec_b32 s2, s4
.LBB10_18:
	v_rndne_f32_e32 v9, v12
	s_delay_alu instid0(VALU_DEP_1) | instskip(SKIP_1) | instid1(VALU_DEP_2)
	v_fma_f32 v10, 0xbfc90fda, v9, |v4|
	v_cvt_i32_f32_e32 v11, v9
	v_fmamk_f32 v10, v9, 0xb3a22168, v10
	s_delay_alu instid0(VALU_DEP_1)
	v_fmamk_f32 v10, v9, 0xa7c234c4, v10
.LBB10_19:
	s_or_b32 exec_lo, exec_lo, s2
	v_mad_u32 v9, v1, s9, v0
	v_mul_lo_u32 v12, v2, s5
	s_load_b128 s[0:3], s[0:1], 0x0
	s_ashr_i32 s5, s17, 31
	s_mov_b32 s4, s17
	v_mad_u32 v0, v1, s16, v0
	s_lshl_b64 s[4:5], s[4:5], 2
	v_dual_lshlrev_b32 v11, 30, v11 :: v_dual_bitop2_b32 v1, 1, v11 bitop3:0x40
	s_delay_alu instid0(VALU_DEP_4) | instskip(NEXT) | instid1(VALU_DEP_4)
	v_mad_u32 v9, v2, s8, v9
	v_sub_nc_u32_e32 v3, v3, v12
	s_delay_alu instid0(VALU_DEP_3) | instskip(SKIP_1) | instid1(VALU_DEP_3)
	v_and_b32_e32 v11, 0x80000000, v11
	v_mad_u32 v0, v2, s11, v0
	v_mad_u32 v12, v3, s7, v9
	s_delay_alu instid0(VALU_DEP_1) | instskip(NEXT) | instid1(VALU_DEP_3)
	v_ashrrev_i32_e32 v13, 31, v12
	v_mad_u32 v0, v3, s10, v0
	s_wait_kmcnt 0x0
	s_delay_alu instid0(VALU_DEP_2) | instskip(NEXT) | instid1(VALU_DEP_1)
	v_lshl_add_u64 v[14:15], v[12:13], 2, s[0:1]
	v_add_nc_u64_e32 v[14:15], s[4:5], v[14:15]
	s_clause 0x1
	global_load_b32 v9, v[14:15], off
	global_load_b32 v13, v12, s[0:1] scale_offset
	s_wait_xcnt 0x0
	v_dual_mul_f32 v12, v7, v7 :: v_dual_bitop2_b32 v14, 1, v8 bitop3:0x40
	s_mov_b32 s0, 0xb94c1982
	v_dual_mul_f32 v15, v10, v10 :: v_dual_lshlrev_b32 v8, 30, v8
	s_delay_alu instid0(VALU_DEP_2) | instskip(SKIP_2) | instid1(VALU_DEP_2)
	v_fmaak_f32 v16, s0, v12, 0x3c0881c4
	s_mov_b32 s1, 0x37d75334
	v_cmp_eq_u32_e32 vcc_lo, 0, v14
	v_fmaak_f32 v16, v12, v16, 0xbe2aaa9d
	s_delay_alu instid0(VALU_DEP_1) | instskip(SKIP_1) | instid1(VALU_DEP_2)
	v_dual_fmaak_f32 v19, s1, v15, 0xbab64f3b :: v_dual_mul_f32 v16, v12, v16
	v_fmaak_f32 v18, s0, v15, 0x3c0881c4
	v_fmaak_f32 v19, v15, v19, 0x3d2aabf7
	s_delay_alu instid0(VALU_DEP_3) | instskip(NEXT) | instid1(VALU_DEP_3)
	v_fmac_f32_e32 v7, v7, v16
	v_fmaak_f32 v18, v15, v18, 0xbe2aaa9d
	v_fmaak_f32 v17, s1, v12, 0xbab64f3b
	s_delay_alu instid0(VALU_DEP_2) | instskip(NEXT) | instid1(VALU_DEP_1)
	v_dual_fmaak_f32 v19, v15, v19, 0xbf000004 :: v_dual_mul_f32 v18, v15, v18
	v_dual_fmaak_f32 v17, v12, v17, 0x3d2aabf7 :: v_dual_fmac_f32 v10, v10, v18
	s_delay_alu instid0(VALU_DEP_1) | instskip(NEXT) | instid1(VALU_DEP_1)
	v_fmaak_f32 v17, v12, v17, 0xbf000004
	v_fma_f32 v2, v12, v17, 1.0
	v_xor_b32_e32 v6, v6, v4
	v_fma_f32 v12, v15, v19, 1.0
	s_delay_alu instid0(VALU_DEP_3) | instskip(SKIP_1) | instid1(VALU_DEP_2)
	v_cndmask_b32_e64 v2, -v7, v2, vcc_lo
	v_cmp_eq_u32_e32 vcc_lo, 0, v1
	v_bitop3_b32 v2, v8, v2, 0x80000000 bitop3:0x6c
	s_delay_alu instid0(VALU_DEP_4) | instskip(SKIP_1) | instid1(VALU_DEP_2)
	v_cndmask_b32_e32 v1, v12, v10, vcc_lo
	v_cmp_class_f32_e64 vcc_lo, v4, 0x1f8
	v_xor3_b32 v1, v6, v11, v1
	s_delay_alu instid0(VALU_DEP_4) | instskip(NEXT) | instid1(VALU_DEP_2)
	v_cndmask_b32_e32 v4, 0x7fc00000, v2, vcc_lo
	v_dual_cndmask_b32 v2, 0x7fc00000, v1 :: v_dual_ashrrev_i32 v1, 31, v0
	s_delay_alu instid0(VALU_DEP_1) | instskip(NEXT) | instid1(VALU_DEP_2)
	v_mul_f32_e32 v6, v5, v2
	v_lshl_add_u64 v[2:3], v[0:1], 2, s[2:3]
	s_delay_alu instid0(VALU_DEP_4) | instskip(NEXT) | instid1(VALU_DEP_2)
	v_mul_f32_e32 v1, v5, v4
	v_add_nc_u64_e32 v[2:3], s[4:5], v[2:3]
	s_wait_loadcnt 0x1
	v_mul_f32_e32 v4, v9, v6
	s_wait_loadcnt 0x0
	v_mul_f32_e32 v5, v13, v6
	s_delay_alu instid0(VALU_DEP_2) | instskip(NEXT) | instid1(VALU_DEP_2)
	v_fma_f32 v4, v1, v13, -v4
	v_fmac_f32_e32 v5, v1, v9
	s_clause 0x1
	global_store_b32 v0, v4, s[2:3] scale_offset
	global_store_b32 v[2:3], v5, off
.LBB10_20:
	s_endpgm
	.section	.rodata,"a",@progbits
	.p2align	6, 0x0
	.amdhsa_kernel _ZL11rope_visionILb1ELb0EfEvPKT1_PS0_iiiiiiiiiiPKifff14rope_corr_dimsfPKf14mrope_sections
		.amdhsa_group_segment_fixed_size 0
		.amdhsa_private_segment_fixed_size 0
		.amdhsa_kernarg_size 368
		.amdhsa_user_sgpr_count 2
		.amdhsa_user_sgpr_dispatch_ptr 0
		.amdhsa_user_sgpr_queue_ptr 0
		.amdhsa_user_sgpr_kernarg_segment_ptr 1
		.amdhsa_user_sgpr_dispatch_id 0
		.amdhsa_user_sgpr_kernarg_preload_length 0
		.amdhsa_user_sgpr_kernarg_preload_offset 0
		.amdhsa_user_sgpr_private_segment_size 0
		.amdhsa_wavefront_size32 1
		.amdhsa_uses_dynamic_stack 0
		.amdhsa_enable_private_segment 0
		.amdhsa_system_sgpr_workgroup_id_x 1
		.amdhsa_system_sgpr_workgroup_id_y 1
		.amdhsa_system_sgpr_workgroup_id_z 0
		.amdhsa_system_sgpr_workgroup_info 0
		.amdhsa_system_vgpr_workitem_id 1
		.amdhsa_next_free_vgpr 26
		.amdhsa_next_free_sgpr 21
		.amdhsa_named_barrier_count 0
		.amdhsa_reserve_vcc 1
		.amdhsa_float_round_mode_32 0
		.amdhsa_float_round_mode_16_64 0
		.amdhsa_float_denorm_mode_32 3
		.amdhsa_float_denorm_mode_16_64 3
		.amdhsa_fp16_overflow 0
		.amdhsa_memory_ordered 1
		.amdhsa_forward_progress 1
		.amdhsa_inst_pref_size 37
		.amdhsa_round_robin_scheduling 0
		.amdhsa_exception_fp_ieee_invalid_op 0
		.amdhsa_exception_fp_denorm_src 0
		.amdhsa_exception_fp_ieee_div_zero 0
		.amdhsa_exception_fp_ieee_overflow 0
		.amdhsa_exception_fp_ieee_underflow 0
		.amdhsa_exception_fp_ieee_inexact 0
		.amdhsa_exception_int_div_zero 0
	.end_amdhsa_kernel
	.section	.text._ZL11rope_visionILb1ELb0EfEvPKT1_PS0_iiiiiiiiiiPKifff14rope_corr_dimsfPKf14mrope_sections,"axG",@progbits,_ZL11rope_visionILb1ELb0EfEvPKT1_PS0_iiiiiiiiiiPKifff14rope_corr_dimsfPKf14mrope_sections,comdat
.Lfunc_end10:
	.size	_ZL11rope_visionILb1ELb0EfEvPKT1_PS0_iiiiiiiiiiPKifff14rope_corr_dimsfPKf14mrope_sections, .Lfunc_end10-_ZL11rope_visionILb1ELb0EfEvPKT1_PS0_iiiiiiiiiiPKifff14rope_corr_dimsfPKf14mrope_sections
                                        ; -- End function
	.set _ZL11rope_visionILb1ELb0EfEvPKT1_PS0_iiiiiiiiiiPKifff14rope_corr_dimsfPKf14mrope_sections.num_vgpr, 26
	.set _ZL11rope_visionILb1ELb0EfEvPKT1_PS0_iiiiiiiiiiPKifff14rope_corr_dimsfPKf14mrope_sections.num_agpr, 0
	.set _ZL11rope_visionILb1ELb0EfEvPKT1_PS0_iiiiiiiiiiPKifff14rope_corr_dimsfPKf14mrope_sections.numbered_sgpr, 21
	.set _ZL11rope_visionILb1ELb0EfEvPKT1_PS0_iiiiiiiiiiPKifff14rope_corr_dimsfPKf14mrope_sections.num_named_barrier, 0
	.set _ZL11rope_visionILb1ELb0EfEvPKT1_PS0_iiiiiiiiiiPKifff14rope_corr_dimsfPKf14mrope_sections.private_seg_size, 0
	.set _ZL11rope_visionILb1ELb0EfEvPKT1_PS0_iiiiiiiiiiPKifff14rope_corr_dimsfPKf14mrope_sections.uses_vcc, 1
	.set _ZL11rope_visionILb1ELb0EfEvPKT1_PS0_iiiiiiiiiiPKifff14rope_corr_dimsfPKf14mrope_sections.uses_flat_scratch, 0
	.set _ZL11rope_visionILb1ELb0EfEvPKT1_PS0_iiiiiiiiiiPKifff14rope_corr_dimsfPKf14mrope_sections.has_dyn_sized_stack, 0
	.set _ZL11rope_visionILb1ELb0EfEvPKT1_PS0_iiiiiiiiiiPKifff14rope_corr_dimsfPKf14mrope_sections.has_recursion, 0
	.set _ZL11rope_visionILb1ELb0EfEvPKT1_PS0_iiiiiiiiiiPKifff14rope_corr_dimsfPKf14mrope_sections.has_indirect_call, 0
	.section	.AMDGPU.csdata,"",@progbits
; Kernel info:
; codeLenInByte = 4660
; TotalNumSgprs: 23
; NumVgprs: 26
; ScratchSize: 0
; MemoryBound: 0
; FloatMode: 240
; IeeeMode: 1
; LDSByteSize: 0 bytes/workgroup (compile time only)
; SGPRBlocks: 0
; VGPRBlocks: 1
; NumSGPRsForWavesPerEU: 23
; NumVGPRsForWavesPerEU: 26
; NamedBarCnt: 0
; Occupancy: 16
; WaveLimiterHint : 0
; COMPUTE_PGM_RSRC2:SCRATCH_EN: 0
; COMPUTE_PGM_RSRC2:USER_SGPR: 2
; COMPUTE_PGM_RSRC2:TRAP_HANDLER: 0
; COMPUTE_PGM_RSRC2:TGID_X_EN: 1
; COMPUTE_PGM_RSRC2:TGID_Y_EN: 1
; COMPUTE_PGM_RSRC2:TGID_Z_EN: 0
; COMPUTE_PGM_RSRC2:TIDIG_COMP_CNT: 1
	.section	.text._ZL11rope_visionILb1ELb1EfEvPKT1_PS0_iiiiiiiiiiPKifff14rope_corr_dimsfPKf14mrope_sections,"axG",@progbits,_ZL11rope_visionILb1ELb1EfEvPKT1_PS0_iiiiiiiiiiPKifff14rope_corr_dimsfPKf14mrope_sections,comdat
	.globl	_ZL11rope_visionILb1ELb1EfEvPKT1_PS0_iiiiiiiiiiPKifff14rope_corr_dimsfPKf14mrope_sections ; -- Begin function _ZL11rope_visionILb1ELb1EfEvPKT1_PS0_iiiiiiiiiiPKifff14rope_corr_dimsfPKf14mrope_sections
	.p2align	8
	.type	_ZL11rope_visionILb1ELb1EfEvPKT1_PS0_iiiiiiiiiiPKifff14rope_corr_dimsfPKf14mrope_sections,@function
_ZL11rope_visionILb1ELb1EfEvPKT1_PS0_iiiiiiiiiiPKifff14rope_corr_dimsfPKf14mrope_sections: ; @_ZL11rope_visionILb1ELb1EfEvPKT1_PS0_iiiiiiiiiiPKifff14rope_corr_dimsfPKf14mrope_sections
; %bb.0:
	s_clause 0x1
	s_load_u16 s3, s[0:1], 0x7e
	s_load_b256 s[4:11], s[0:1], 0x10
	s_bfe_u32 s2, ttmp6, 0x40010
	s_bfe_u32 s13, ttmp6, 0x40004
	s_add_co_i32 s2, s2, 1
	v_bfe_u32 v1, v0, 10, 10
	s_mul_i32 s12, ttmp7, s2
	s_getreg_b32 s2, hwreg(HW_REG_IB_STS2, 6, 4)
	s_add_co_i32 s13, s13, s12
	s_cmp_eq_u32 s2, 0
	s_cselect_b32 s12, ttmp7, s13
	s_wait_kmcnt 0x0
	s_mul_i32 s12, s12, s3
	s_mov_b32 s3, exec_lo
	v_add_lshl_u32 v1, s12, v1, 1
	s_delay_alu instid0(VALU_DEP_1)
	v_cmpx_gt_i32_e64 s4, v1
	s_cbranch_execz .LBB11_20
; %bb.1:
	s_add_nc_u64 s[12:13], s[0:1], 0x70
	s_bfe_u32 s4, ttmp6, 0x4000c
	s_load_b32 s3, s[12:13], 0xc
	s_add_co_i32 s4, s4, 1
	s_wait_xcnt 0x0
	s_and_b32 s12, ttmp6, 15
	s_mul_i32 s4, ttmp9, s4
	v_and_b32_e32 v0, 0x3ff, v0
	s_add_co_i32 s12, s12, s4
	s_mul_i32 s4, s6, s5
	s_wait_kmcnt 0x0
	s_and_b32 s3, s3, 0xffff
	s_cmp_eq_u32 s2, 0
	s_cselect_b32 s2, ttmp9, s12
	s_abs_i32 s12, s4
	v_mad_u32 v0, s2, s3, v0
	s_cvt_f32_u32 s13, s12
	s_delay_alu instid0(SALU_CYCLE_3) | instskip(SKIP_1) | instid1(TRANS32_DEP_1)
	v_rcp_iflag_f32_e32 v2, s13
	v_nop
	v_readfirstlane_b32 s2, v2
	s_delay_alu instid0(VALU_DEP_3) | instskip(SKIP_1) | instid1(VALU_DEP_1)
	v_sub_nc_u32_e32 v2, 0, v0
	s_mul_f32 s2, s2, 0x4f7ffffe
	v_max_i32_e32 v2, v0, v2
	s_delay_alu instid0(SALU_CYCLE_2) | instskip(SKIP_1) | instid1(SALU_CYCLE_2)
	s_cvt_u32_f32 s13, s2
	s_sub_co_i32 s2, 0, s12
	s_mul_i32 s2, s2, s13
	s_delay_alu instid0(SALU_CYCLE_1) | instskip(SKIP_2) | instid1(SALU_CYCLE_1)
	s_mul_hi_u32 s14, s13, s2
	s_load_b64 s[2:3], s[0:1], 0x60
	s_add_co_i32 s13, s13, s14
	v_mul_hi_u32 v3, v2, s13
	s_delay_alu instid0(VALU_DEP_1) | instskip(SKIP_2) | instid1(SALU_CYCLE_1)
	v_mul_lo_u32 v4, v3, s12
	s_wait_kmcnt 0x0
	s_add_co_i32 s3, s3, s2
	s_abs_i32 s20, s3
	s_delay_alu instid0(SALU_CYCLE_1) | instskip(NEXT) | instid1(VALU_DEP_1)
	s_cvt_f32_u32 s13, s20
	v_dual_sub_nc_u32 v2, v2, v4 :: v_dual_add_nc_u32 v4, 1, v3
	s_delay_alu instid0(SALU_CYCLE_2) | instskip(SKIP_1) | instid1(VALU_DEP_1)
	v_rcp_iflag_f32_e32 v5, s13
	s_cvt_f32_u32 s13, s5
	v_subrev_nc_u32_e32 v6, s12, v2
	v_cmp_le_u32_e32 vcc_lo, s12, v2
	s_delay_alu instid0(TRANS32_DEP_1) | instskip(SKIP_1) | instid1(VALU_DEP_4)
	v_readfirstlane_b32 s14, v5
	v_cndmask_b32_e32 v3, v3, v4, vcc_lo
	v_dual_cndmask_b32 v5, v2, v6, vcc_lo :: v_dual_bitop2_b32 v4, s4, v0 bitop3:0x14
	v_ashrrev_i32_e32 v2, 1, v1
	s_mul_f32 s14, s14, 0x4f7ffffe
	s_delay_alu instid0(VALU_DEP_2) | instskip(NEXT) | instid1(VALU_DEP_3)
	v_dual_add_nc_u32 v6, 1, v3 :: v_dual_ashrrev_i32 v4, 31, v4
	v_cmp_le_u32_e32 vcc_lo, s12, v5
	v_rcp_iflag_f32_e32 v5, s13
	s_cvt_u32_f32 s12, s14
	s_sub_co_i32 s13, 0, s20
	v_dual_ashrrev_i32 v1, 31, v1 :: v_dual_cndmask_b32 v3, v3, v6, vcc_lo
	v_sub_nc_u32_e32 v6, 0, v2
	s_mul_i32 s13, s13, s12
	s_delay_alu instid0(TRANS32_DEP_1) | instskip(SKIP_4) | instid1(VALU_DEP_1)
	v_readfirstlane_b32 s14, v5
	s_mul_hi_u32 s13, s12, s13
	v_max_i32_e32 v6, v2, v6
	v_xor_b32_e32 v3, v3, v4
	s_add_co_i32 s12, s12, s13
	v_sub_nc_u32_e32 v3, v3, v4
	s_delay_alu instid0(VALU_DEP_3) | instskip(SKIP_1) | instid1(VALU_DEP_2)
	v_mul_hi_u32 v4, v6, s12
	s_sub_co_i32 s12, 0, s5
	v_mul_lo_u32 v5, s4, v3
	s_mul_f32 s4, s14, 0x4f7ffffe
	s_delay_alu instid0(SALU_CYCLE_3) | instskip(NEXT) | instid1(VALU_DEP_2)
	s_cvt_u32_f32 s4, s4
	v_mul_lo_u32 v4, v4, s20
	s_delay_alu instid0(SALU_CYCLE_2) | instskip(NEXT) | instid1(VALU_DEP_2)
	s_mul_i32 s12, s12, s4
	v_sub_nc_u32_e32 v5, v0, v5
	s_mul_hi_u32 s12, s4, s12
	s_delay_alu instid0(SALU_CYCLE_1)
	s_add_co_i32 s4, s4, s12
	s_clause 0x2
	s_load_b64 s[18:19], s[0:1], 0x50
	s_load_b64 s[16:17], s[0:1], 0x30
	s_load_b128 s[12:15], s[0:1], 0x40
	v_mul_hi_u32 v0, v5, s4
	s_mov_b32 s4, exec_lo
	s_delay_alu instid0(VALU_DEP_1) | instskip(NEXT) | instid1(VALU_DEP_1)
	v_mul_lo_u32 v7, v0, s5
	v_dual_sub_nc_u32 v4, v6, v4 :: v_dual_sub_nc_u32 v7, v5, v7
	s_delay_alu instid0(VALU_DEP_1) | instskip(SKIP_1) | instid1(VALU_DEP_2)
	v_subrev_nc_u32_e32 v6, s20, v4
	v_cmp_le_u32_e32 vcc_lo, s20, v4
	v_cndmask_b32_e32 v4, v4, v6, vcc_lo
	s_delay_alu instid0(VALU_DEP_1) | instskip(SKIP_3) | instid1(VALU_DEP_3)
	v_subrev_nc_u32_e32 v6, s20, v4
	v_cmp_le_u32_e32 vcc_lo, s20, v4
	v_add_nc_u32_e32 v8, 1, v0
	s_mov_b32 s20, -1
	v_cndmask_b32_e32 v4, v4, v6, vcc_lo
	v_subrev_nc_u32_e32 v6, s5, v7
	v_cmp_le_u32_e32 vcc_lo, s5, v7
	v_cndmask_b32_e32 v8, v0, v8, vcc_lo
	s_delay_alu instid0(VALU_DEP_3) | instskip(NEXT) | instid1(VALU_DEP_1)
	v_dual_cndmask_b32 v4, v7, v6, vcc_lo :: v_dual_bitop2_b32 v0, v4, v1 bitop3:0x14
	v_dual_add_nc_u32 v6, 1, v8 :: v_dual_sub_nc_u32 v0, v0, v1
	s_delay_alu instid0(VALU_DEP_2) | instskip(NEXT) | instid1(VALU_DEP_2)
	v_cmp_le_u32_e32 vcc_lo, s5, v4
	v_cndmask_b32_e32 v4, v8, v6, vcc_lo
	s_delay_alu instid0(VALU_DEP_1) | instskip(NEXT) | instid1(VALU_DEP_4)
	v_mov_b32_e32 v6, v4
	v_cmpx_le_i32_e64 s2, v0
	s_cbranch_execz .LBB11_6
; %bb.2:
	s_cmp_gt_i32 s3, -1
	s_mov_b32 s3, -1
	s_cbranch_scc0 .LBB11_4
; %bb.3:
	v_subrev_nc_u32_e32 v0, s2, v0
	v_add_nc_u32_e32 v6, s6, v4
	s_branch .LBB11_5
.LBB11_4:
	s_mov_b32 s3, 0
                                        ; implicit-def: $vgpr0
                                        ; implicit-def: $vgpr6
.LBB11_5:
	s_delay_alu instid0(SALU_CYCLE_1)
	s_or_not1_b32 s20, s3, exec_lo
.LBB11_6:
	s_or_b32 exec_lo, exec_lo, s4
	v_mov_b32_e32 v1, 0
	s_and_saveexec_b32 s6, s20
	s_cbranch_execz .LBB11_8
; %bb.7:
	s_wait_kmcnt 0x0
	s_cmp_neq_f32 s19, 1.0
	v_cvt_f32_i32_e32 v0, v0
	s_load_b64 s[2:3], s[0:1], 0x38
	s_mov_b32 s4, 0x3e76c4e1
	s_cselect_b32 vcc_lo, -1, 0
	s_delay_alu instid0(VALU_DEP_1) | instskip(NEXT) | instid1(VALU_DEP_1)
	v_cndmask_b32_e32 v1, 1.0, v0, vcc_lo
	v_cmp_neq_f32_e32 vcc_lo, 0, v1
	v_cndmask_b32_e64 v0, 1.0, s19, vcc_lo
	s_delay_alu instid0(VALU_DEP_1) | instskip(SKIP_4) | instid1(VALU_DEP_1)
	v_frexp_mant_f32_e64 v7, |v0|
	s_wait_kmcnt 0x0
	global_load_b32 v22, v6, s[2:3] scale_offset
	v_cmp_gt_f32_e32 vcc_lo, 0x3f2aaaab, v7
	v_cndmask_b32_e64 v8, 1.0, 2.0, vcc_lo
	v_mul_f32_e32 v7, v7, v8
	s_delay_alu instid0(VALU_DEP_1) | instskip(NEXT) | instid1(VALU_DEP_1)
	v_dual_add_f32 v8, 1.0, v7 :: v_dual_add_f32 v9, -1.0, v7
	v_add_f32_e32 v11, -1.0, v8
	v_rcp_f32_e32 v14, v8
	v_nop
	s_delay_alu instid0(TRANS32_DEP_1) | instskip(NEXT) | instid1(VALU_DEP_1)
	v_mul_f32_e32 v15, v9, v14
	v_mul_f32_e32 v10, v8, v15
	v_sub_f32_e32 v7, v7, v11
	s_delay_alu instid0(VALU_DEP_2) | instskip(NEXT) | instid1(VALU_DEP_1)
	v_fma_f32 v12, v15, v8, -v10
	v_fmac_f32_e32 v12, v15, v7
	s_delay_alu instid0(VALU_DEP_1) | instskip(NEXT) | instid1(VALU_DEP_1)
	v_add_f32_e32 v8, v10, v12
	v_dual_sub_f32 v11, v9, v8 :: v_dual_mov_b32 v13, v8
	s_delay_alu instid0(VALU_DEP_1) | instskip(NEXT) | instid1(VALU_DEP_1)
	v_pk_add_f32 v[8:9], v[8:9], v[10:11] neg_lo:[0,1] neg_hi:[0,1]
	v_pk_add_f32 v[8:9], v[8:9], v[12:13] neg_lo:[0,1] neg_hi:[0,1]
	v_cvt_f64_f32_e64 v[12:13], |v0|
	s_delay_alu instid0(VALU_DEP_2) | instskip(NEXT) | instid1(VALU_DEP_1)
	v_add_f32_e32 v7, v8, v9
	v_add_f32_e32 v7, v11, v7
	s_delay_alu instid0(VALU_DEP_1) | instskip(NEXT) | instid1(VALU_DEP_1)
	v_mul_f32_e32 v7, v14, v7
	v_add_f32_e32 v8, v15, v7
	s_delay_alu instid0(VALU_DEP_1) | instskip(NEXT) | instid1(VALU_DEP_1)
	v_sub_f32_e32 v9, v8, v15
	v_sub_f32_e32 v18, v7, v9
	v_frexp_exp_i32_f64_e32 v17, v[12:13]
	s_delay_alu instid0(VALU_DEP_2) | instskip(NEXT) | instid1(VALU_DEP_1)
	v_dual_add_f32 v9, v18, v18 :: v_dual_mul_f32 v11, v8, v8
	v_fma_f32 v7, v8, v8, -v11
	s_delay_alu instid0(VALU_DEP_1) | instskip(NEXT) | instid1(VALU_DEP_1)
	v_fmac_f32_e32 v7, v8, v9
	v_add_f32_e32 v10, v11, v7
	s_delay_alu instid0(VALU_DEP_1) | instskip(SKIP_2) | instid1(VALU_DEP_2)
	v_sub_f32_e32 v11, v10, v11
	v_fmaak_f32 v9, s4, v10, 0x3e91f4c4
	v_cmp_eq_f32_e64 s4, 0, v0
	v_dual_sub_f32 v16, v7, v11 :: v_dual_fmaak_f32 v9, v10, v9, 0x3ecccdef
	s_delay_alu instid0(VALU_DEP_1) | instskip(SKIP_1) | instid1(VALU_DEP_1)
	v_mul_f32_e32 v14, v10, v9
	s_wait_xcnt 0x0
	v_fma_f32 v6, v10, v9, -v14
	s_delay_alu instid0(VALU_DEP_1) | instskip(NEXT) | instid1(VALU_DEP_1)
	v_fmac_f32_e32 v6, v16, v9
	v_add_f32_e32 v11, v14, v6
	s_delay_alu instid0(VALU_DEP_1) | instskip(NEXT) | instid1(VALU_DEP_1)
	v_sub_f32_e32 v9, v11, v14
	v_dual_add_f32 v7, 0x3f2aaaaa, v11 :: v_dual_sub_f32 v6, v6, v9
	s_delay_alu instid0(VALU_DEP_1) | instskip(NEXT) | instid1(VALU_DEP_2)
	v_add_f32_e32 v14, 0xbf2aaaaa, v7
	v_add_f32_e32 v9, 0x31739010, v6
	s_delay_alu instid0(VALU_DEP_2) | instskip(NEXT) | instid1(VALU_DEP_1)
	v_sub_f32_e32 v11, v11, v14
	v_pk_mul_f32 v[12:13], v[8:9], v[10:11]
	s_delay_alu instid0(VALU_DEP_1) | instskip(NEXT) | instid1(VALU_DEP_1)
	v_fma_f32 v6, v10, v8, -v12
	v_fmac_f32_e32 v6, v10, v18
	s_delay_alu instid0(VALU_DEP_1) | instskip(SKIP_2) | instid1(VALU_DEP_2)
	v_fmac_f32_e32 v6, v16, v8
	v_pk_add_f32 v[14:15], v[8:9], v[10:11]
	v_subrev_co_ci_u32_e64 v9, null, 0, v17, vcc_lo
	v_mov_b32_e32 v13, v15
	s_delay_alu instid0(VALU_DEP_2) | instskip(NEXT) | instid1(VALU_DEP_2)
	v_cvt_f32_i32_e32 v9, v9
	v_pk_add_f32 v[10:11], v[12:13], v[6:7]
	s_delay_alu instid0(VALU_DEP_1) | instskip(NEXT) | instid1(VALU_DEP_1)
	v_dual_mov_b32 v14, v11 :: v_dual_sub_f32 v13, v10, v12
	v_pk_mul_f32 v[16:17], v[10:11], v[14:15]
	s_delay_alu instid0(VALU_DEP_4) | instskip(NEXT) | instid1(VALU_DEP_3)
	v_dual_sub_f32 v7, v7, v11 :: v_dual_mul_f32 v14, 0x3f317218, v9
	v_sub_f32_e32 v6, v6, v13
	s_delay_alu instid0(VALU_DEP_3) | instskip(NEXT) | instid1(VALU_DEP_3)
	v_fma_f32 v12, v10, v11, -v16
	v_add_f32_e32 v7, v15, v7
	s_delay_alu instid0(VALU_DEP_1) | instskip(SKIP_1) | instid1(VALU_DEP_2)
	v_fmac_f32_e32 v12, v10, v7
	v_fma_f32 v7, 0x3f317218, v9, -v14
	v_fmac_f32_e32 v12, v6, v11
	s_delay_alu instid0(VALU_DEP_2) | instskip(SKIP_1) | instid1(VALU_DEP_1)
	v_fmamk_f32 v6, v9, 0xb102e308, v7
	v_ldexp_f32 v7, v8, 1
	v_dual_add_f32 v15, v16, v12 :: v_dual_mov_b32 v17, v7
	s_delay_alu instid0(VALU_DEP_1) | instskip(SKIP_2) | instid1(VALU_DEP_3)
	v_pk_add_f32 v[8:9], v[14:15], v[6:7]
	v_dual_mov_b32 v10, v15 :: v_dual_mov_b32 v13, v15
	v_ldexp_f32 v7, v18, 1
	v_dual_mov_b32 v11, v9 :: v_dual_mov_b32 v20, v9
	s_delay_alu instid0(VALU_DEP_1) | instskip(NEXT) | instid1(VALU_DEP_1)
	v_pk_add_f32 v[10:11], v[10:11], v[16:17] neg_lo:[0,1] neg_hi:[0,1]
	v_pk_add_f32 v[10:11], v[12:13], v[10:11] neg_lo:[0,1] neg_hi:[0,1]
	s_delay_alu instid0(VALU_DEP_1) | instskip(NEXT) | instid1(VALU_DEP_1)
	v_add_f32_e32 v7, v7, v10
	v_dual_add_f32 v15, v7, v11 :: v_dual_mov_b32 v7, v8
	s_delay_alu instid0(VALU_DEP_1) | instskip(SKIP_1) | instid1(VALU_DEP_2)
	v_pk_add_f32 v[10:11], v[8:9], v[14:15]
	v_pk_add_f32 v[12:13], v[8:9], v[14:15] neg_lo:[0,1] neg_hi:[0,1]
	v_mov_b32_e32 v13, v11
	s_delay_alu instid0(VALU_DEP_1) | instskip(SKIP_2) | instid1(VALU_DEP_3)
	v_pk_add_f32 v[16:17], v[6:7], v[12:13]
	v_mov_b32_e32 v16, v11
	v_pk_add_f32 v[6:7], v[6:7], v[12:13] neg_lo:[0,1] neg_hi:[0,1]
	v_mov_b32_e32 v14, v17
	s_delay_alu instid0(VALU_DEP_1) | instskip(SKIP_1) | instid1(VALU_DEP_2)
	v_pk_add_f32 v[18:19], v[14:15], v[8:9] neg_lo:[0,1] neg_hi:[0,1]
	v_dual_mov_b32 v9, v8 :: v_dual_mov_b32 v8, v15
	v_dual_mov_b32 v15, v18 :: v_dual_mov_b32 v21, v18
	s_delay_alu instid0(VALU_DEP_1) | instskip(NEXT) | instid1(VALU_DEP_2)
	v_pk_add_f32 v[10:11], v[10:11], v[14:15] neg_lo:[0,1] neg_hi:[0,1]
	v_pk_add_f32 v[12:13], v[16:17], v[20:21] neg_lo:[0,1] neg_hi:[0,1]
	v_mov_b32_e32 v10, v6
	s_delay_alu instid0(VALU_DEP_2) | instskip(NEXT) | instid1(VALU_DEP_1)
	v_pk_add_f32 v[8:9], v[8:9], v[12:13] neg_lo:[0,1] neg_hi:[0,1]
	v_pk_add_f32 v[10:11], v[10:11], v[8:9]
	s_delay_alu instid0(VALU_DEP_1) | instskip(NEXT) | instid1(VALU_DEP_1)
	v_mov_b32_e32 v12, v11
	v_pk_add_f32 v[12:13], v[10:11], v[12:13]
	s_delay_alu instid0(VALU_DEP_1) | instskip(NEXT) | instid1(VALU_DEP_1)
	v_pk_add_f32 v[14:15], v[14:15], v[12:13]
	v_dual_mov_b32 v7, v17 :: v_dual_mov_b32 v11, v14
	s_delay_alu instid0(VALU_DEP_1) | instskip(NEXT) | instid1(VALU_DEP_1)
	v_pk_add_f32 v[16:17], v[10:11], v[6:7] neg_lo:[0,1] neg_hi:[0,1]
	v_dual_mov_b32 v9, v12 :: v_dual_sub_f32 v7, v10, v16
	s_delay_alu instid0(VALU_DEP_1) | instskip(NEXT) | instid1(VALU_DEP_2)
	v_pk_add_f32 v[8:9], v[8:9], v[16:17] neg_lo:[0,1] neg_hi:[0,1]
	v_sub_f32_e32 v6, v6, v7
	s_delay_alu instid0(VALU_DEP_1) | instskip(NEXT) | instid1(VALU_DEP_1)
	v_add_f32_e32 v6, v8, v6
	v_add_f32_e32 v6, v6, v9
	s_delay_alu instid0(VALU_DEP_1) | instskip(NEXT) | instid1(VALU_DEP_1)
	v_add_f32_e32 v7, v14, v6
	v_dual_sub_f32 v8, v7, v14 :: v_dual_mul_f32 v9, v1, v7
	s_delay_alu instid0(VALU_DEP_1) | instskip(SKIP_1) | instid1(VALU_DEP_2)
	v_dual_fma_f32 v7, v1, v7, -v9 :: v_dual_sub_f32 v6, v6, v8
	v_cmp_class_f32_e64 vcc_lo, v9, 0x204
	v_fmac_f32_e32 v7, v1, v6
	s_delay_alu instid0(VALU_DEP_1) | instskip(NEXT) | instid1(VALU_DEP_1)
	v_add_f32_e32 v6, v9, v7
	v_cndmask_b32_e32 v8, v6, v9, vcc_lo
	s_delay_alu instid0(VALU_DEP_1) | instskip(SKIP_2) | instid1(VALU_DEP_2)
	v_cmp_eq_f32_e32 vcc_lo, 0x42b17218, v8
	v_cndmask_b32_e64 v10, 0, 0x37000000, vcc_lo
	v_cmp_neq_f32_e64 vcc_lo, 0x7f800000, |v8|
	v_sub_f32_e32 v11, v8, v10
	v_trunc_f32_e32 v8, v1
	s_delay_alu instid0(VALU_DEP_2) | instskip(NEXT) | instid1(VALU_DEP_1)
	v_mul_f32_e32 v12, 0x3fb8aa3b, v11
	v_fma_f32 v13, 0x3fb8aa3b, v11, -v12
	v_rndne_f32_e32 v14, v12
	s_delay_alu instid0(VALU_DEP_1) | instskip(SKIP_1) | instid1(VALU_DEP_1)
	v_dual_fmamk_f32 v13, v11, 0x32a5705f, v13 :: v_dual_sub_f32 v12, v12, v14
	v_sub_f32_e32 v6, v6, v9
	v_dual_add_f32 v12, v12, v13 :: v_dual_sub_f32 v6, v7, v6
	s_delay_alu instid0(VALU_DEP_1) | instskip(SKIP_2) | instid1(VALU_DEP_3)
	v_exp_f32_e32 v9, v12
	v_nop
	v_cvt_i32_f32_e32 v12, v14
	v_cndmask_b32_e32 v6, 0, v6, vcc_lo
	v_cmp_ngt_f32_e32 vcc_lo, 0xc2ce8ed0, v11
	s_delay_alu instid0(TRANS32_DEP_1) | instid1(VALU_DEP_3)
	v_ldexp_f32 v7, v9, v12
	s_delay_alu instid0(VALU_DEP_3) | instskip(NEXT) | instid1(VALU_DEP_2)
	v_dual_mul_f32 v9, 0.5, v1 :: v_dual_add_f32 v6, v10, v6
	v_cndmask_b32_e32 v7, 0, v7, vcc_lo
	s_delay_alu instid0(VALU_DEP_2) | instskip(SKIP_1) | instid1(VALU_DEP_2)
	v_trunc_f32_e32 v12, v9
	v_cmp_nlt_f32_e32 vcc_lo, 0x42b17218, v11
	v_cmp_neq_f32_e64 s2, v12, v9
	s_delay_alu instid0(VALU_DEP_4) | instskip(SKIP_1) | instid1(VALU_DEP_2)
	v_cndmask_b32_e32 v7, 0x7f800000, v7, vcc_lo
	v_cmp_eq_f32_e32 vcc_lo, v8, v1
	v_cmp_class_f32_e64 s3, v7, 0x204
	s_and_b32 s2, vcc_lo, s2
	s_delay_alu instid0(SALU_CYCLE_1) | instskip(NEXT) | instid1(VALU_DEP_1)
	v_dual_fma_f32 v6, v7, v6, v7 :: v_dual_cndmask_b32 v8, 1.0, v0, s2
	v_cndmask_b32_e64 v6, v6, v7, s3
	v_cmp_gt_f32_e64 s3, 0, v1
	s_delay_alu instid0(VALU_DEP_2)
	v_bfi_b32 v1, 0x7fffffff, v6, v8
	s_xor_b32 s3, s3, s4
	v_cndmask_b32_e64 v8, 0, v0, s2
	v_cndmask_b32_e64 v6, 0x7f800000, 0, s3
	v_cmp_class_f32_e64 s2, v0, 0x204
	v_cndmask_b32_e32 v7, 0x7fc00000, v1, vcc_lo
	v_cmp_gt_f32_e32 vcc_lo, 0, v0
	s_delay_alu instid0(VALU_DEP_4) | instskip(NEXT) | instid1(VALU_DEP_3)
	v_bfi_b32 v6, 0x7fffffff, v6, v8
	v_cndmask_b32_e32 v1, v1, v7, vcc_lo
	s_or_b32 vcc_lo, s4, s2
	s_delay_alu instid0(VALU_DEP_1) | instskip(SKIP_3) | instid1(VALU_DEP_3)
	v_cndmask_b32_e32 v1, v1, v6, vcc_lo
	v_cmp_o_f32_e32 vcc_lo, v0, v0
	s_wait_loadcnt 0x0
	v_cvt_f32_i32_e32 v6, v22
	v_cndmask_b32_e32 v0, 0x7fc00000, v1, vcc_lo
	s_delay_alu instid0(VALU_DEP_1)
	v_mul_f32_e32 v1, v0, v6
.LBB11_8:
	s_or_b32 exec_lo, exec_lo, s6
	s_load_b64 s[2:3], s[0:1], 0x58
	s_wait_kmcnt 0x0
	s_cmp_eq_f32 s13, 0
	global_load_b32 v0, v2, s[2:3] scale_offset
	s_wait_loadcnt 0x0
	v_div_scale_f32 v6, null, v0, v0, v1
	v_div_scale_f32 v9, vcc_lo, v1, v0, v1
	s_delay_alu instid0(VALU_DEP_2) | instskip(SKIP_1) | instid1(TRANS32_DEP_1)
	v_rcp_f32_e32 v7, v6
	v_nop
	v_fma_f32 v8, -v6, v7, 1.0
	s_delay_alu instid0(VALU_DEP_1) | instskip(NEXT) | instid1(VALU_DEP_1)
	v_fmac_f32_e32 v7, v8, v7
	v_mul_f32_e32 v8, v9, v7
	s_delay_alu instid0(VALU_DEP_1) | instskip(NEXT) | instid1(VALU_DEP_1)
	v_fma_f32 v10, -v6, v8, v9
	v_fmac_f32_e32 v8, v10, v7
	s_delay_alu instid0(VALU_DEP_1) | instskip(NEXT) | instid1(VALU_DEP_1)
	v_fma_f32 v6, -v6, v8, v9
	v_div_fmas_f32 v6, v6, v7, v8
	s_delay_alu instid0(VALU_DEP_1) | instskip(NEXT) | instid1(VALU_DEP_1)
	v_div_fixup_f32 v0, v6, v0, v1
	v_mul_f32_e32 v1, s12, v0
	s_cbranch_scc1 .LBB11_10
; %bb.9:
	v_cvt_f32_i32_e32 v6, v2
	s_sub_f32 s2, s18, s15
	v_div_scale_f32 v8, null, s12, s12, 1.0
	s_delay_alu instid0(SALU_CYCLE_2) | instskip(SKIP_4) | instid1(VALU_DEP_3)
	s_max_num_f32 s3, s2, 0x3a83126f
	v_subrev_f32_e32 v6, s15, v6
	v_rcp_f32_e32 v10, v8
	v_nop
	v_xor_b32_e32 v8, 0x80000000, v8
	v_div_scale_f32 v7, null, s3, s3, v6
	s_delay_alu instid0(TRANS32_DEP_1) | instid1(VALU_DEP_2)
	v_fma_f32 v12, v8, v10, 1.0
	s_delay_alu instid0(VALU_DEP_2) | instskip(SKIP_1) | instid1(TRANS32_DEP_1)
	v_rcp_f32_e32 v9, v7
	v_nop
	v_fma_f32 v11, -v7, v9, 1.0
	s_delay_alu instid0(VALU_DEP_1) | instskip(SKIP_2) | instid1(VALU_DEP_2)
	v_fmac_f32_e32 v9, v11, v9
	v_div_scale_f32 v13, vcc_lo, v6, s3, v6
	v_div_scale_f32 v11, s2, 1.0, s12, 1.0
	v_dual_fmac_f32 v10, v12, v10 :: v_dual_mul_f32 v12, v13, v9
	s_delay_alu instid0(VALU_DEP_1) | instskip(NEXT) | instid1(VALU_DEP_1)
	v_mul_f32_e32 v14, v11, v10
	v_dual_fma_f32 v15, -v7, v12, v13 :: v_dual_fma_f32 v16, v8, v14, v11
	s_delay_alu instid0(VALU_DEP_1) | instskip(NEXT) | instid1(VALU_DEP_1)
	v_dual_fmac_f32 v12, v15, v9 :: v_dual_fmac_f32 v14, v16, v10
	v_dual_fma_f32 v7, -v7, v12, v13 :: v_dual_fmac_f32 v11, v8, v14
	s_delay_alu instid0(VALU_DEP_1) | instskip(SKIP_1) | instid1(VALU_DEP_2)
	v_div_fmas_f32 v7, v7, v9, v12
	s_mov_b32 vcc_lo, s2
	v_div_fmas_f32 v8, v11, v10, v14
	s_delay_alu instid0(VALU_DEP_2) | instskip(NEXT) | instid1(VALU_DEP_2)
	v_div_fixup_f32 v6, v7, s3, v6 clamp
	v_div_fixup_f32 v8, v8, s12, 1.0
	s_delay_alu instid0(VALU_DEP_2) | instskip(NEXT) | instid1(VALU_DEP_2)
	v_sub_f32_e32 v10, 1.0, v6
	v_readfirstlane_b32 s2, v8
	s_delay_alu instid0(VALU_DEP_2) | instskip(SKIP_2) | instid1(SALU_CYCLE_1)
	v_mul_f32_e32 v6, s13, v10
	s_cmp_lt_f32 s2, 0x800000
	s_cselect_b32 s2, 0x4f800000, 1.0
	v_mul_f32_e32 v8, s2, v8
	s_cselect_b32 s2, 0x41b17218, 0
	s_delay_alu instid0(VALU_DEP_1) | instskip(SKIP_1) | instid1(TRANS32_DEP_1)
	v_log_f32_e32 v8, v8
	v_nop
	v_mul_f32_e32 v9, 0x3f317217, v8
	v_and_b32_e32 v7, 0x7fffffff, v8
	s_delay_alu instid0(VALU_DEP_2) | instskip(NEXT) | instid1(VALU_DEP_2)
	v_xor_b32_e32 v9, 0x80000000, v9
	v_cmp_gt_f32_e32 vcc_lo, 0x7f800000, v7
	v_fma_f32 v7, -s13, v10, 1.0
	s_delay_alu instid0(VALU_DEP_3) | instskip(NEXT) | instid1(VALU_DEP_2)
	v_fmac_f32_e32 v9, 0x3f317217, v8
	v_pk_mul_f32 v[0:1], v[6:7], v[0:1]
	s_delay_alu instid0(VALU_DEP_2) | instskip(NEXT) | instid1(VALU_DEP_2)
	v_fmamk_f32 v9, v8, 0x3377d1cf, v9
	v_add_f32_e32 v1, v0, v1
	s_delay_alu instid0(VALU_DEP_2) | instskip(NEXT) | instid1(VALU_DEP_1)
	v_fmac_f32_e32 v9, 0x3f317217, v8
	v_dual_cndmask_b32 v8, v8, v9 :: v_dual_mov_b32 v9, 1.0
	s_delay_alu instid0(VALU_DEP_1) | instskip(NEXT) | instid1(VALU_DEP_1)
	v_subrev_f32_e32 v8, s2, v8
	v_fmamk_f32 v6, v8, 0x3dcccccd, v9
	s_delay_alu instid0(VALU_DEP_1)
	v_mul_f32_e32 v6, s14, v6
	s_branch .LBB11_11
.LBB11_10:
	v_mov_b32_e32 v6, s14
.LBB11_11:
	s_delay_alu instid0(VALU_DEP_2) | instskip(SKIP_1) | instid1(VALU_DEP_2)
	v_and_b32_e32 v0, 0x7fffffff, v1
	v_cmp_ngt_f32_e64 s4, 0x48000000, |v1|
                                        ; implicit-def: $vgpr8
                                        ; implicit-def: $vgpr7
	v_lshrrev_b32_e32 v9, 23, v0
	s_and_saveexec_b32 s2, s4
	s_delay_alu instid0(SALU_CYCLE_1)
	s_xor_b32 s6, exec_lo, s2
	s_cbranch_execz .LBB11_13
; %bb.12:
	s_mov_b32 s2, 0x7fffff
	v_mov_b32_e32 v11, 0
	v_and_or_b32 v10, v0, s2, 0x800000
	s_mov_b64 s[2:3], 0xfe5163ab
	v_add_nc_u32_e32 v7, 0xffffff88, v9
	s_delay_alu instid0(VALU_DEP_2) | instskip(NEXT) | instid1(VALU_DEP_2)
	v_mul_u64_e32 v[12:13], s[2:3], v[10:11]
	v_cmp_lt_u32_e32 vcc_lo, 63, v7
	v_cndmask_b32_e64 v8, 0, 0xffffffc0, vcc_lo
	s_delay_alu instid0(VALU_DEP_3) | instskip(SKIP_2) | instid1(VALU_DEP_3)
	v_dual_mov_b32 v14, v13 :: v_dual_mov_b32 v15, v11
	v_dual_mov_b32 v17, v11 :: v_dual_mov_b32 v19, v11
	;; [unrolled: 1-line block ×3, first 2 shown]
	v_mad_nc_u64_u32 v[14:15], 0x3c439041, v10, v[14:15]
	v_dual_add_nc_u32 v7, v8, v7 :: v_dual_mov_b32 v25, v11
	s_delay_alu instid0(VALU_DEP_1) | instskip(NEXT) | instid1(VALU_DEP_3)
	v_cmp_lt_u32_e64 s2, 31, v7
	v_mov_b32_e32 v16, v15
	s_delay_alu instid0(VALU_DEP_2) | instskip(NEXT) | instid1(VALU_DEP_2)
	v_cndmask_b32_e64 v8, 0, 0xffffffe0, s2
	v_mad_nc_u64_u32 v[16:17], 0xdb629599, v10, v[16:17]
	s_delay_alu instid0(VALU_DEP_2) | instskip(NEXT) | instid1(VALU_DEP_1)
	v_add_nc_u32_e32 v7, v8, v7
	v_cmp_lt_u32_e64 s3, 31, v7
	s_delay_alu instid0(VALU_DEP_3) | instskip(NEXT) | instid1(VALU_DEP_2)
	v_mov_b32_e32 v18, v17
	v_cndmask_b32_e64 v8, 0, 0xffffffe0, s3
	v_cndmask_b32_e32 v12, v16, v12, vcc_lo
	s_delay_alu instid0(VALU_DEP_3) | instskip(NEXT) | instid1(VALU_DEP_1)
	v_mad_nc_u64_u32 v[18:19], 0xf534ddc0, v10, v[18:19]
	v_dual_cndmask_b32 v8, v18, v14 :: v_dual_add_nc_u32 v7, v8, v7
	s_delay_alu instid0(VALU_DEP_2) | instskip(NEXT) | instid1(VALU_DEP_1)
	v_mov_b32_e32 v20, v19
	v_mad_nc_u64_u32 v[20:21], 0xfc2757d1, v10, v[20:21]
	s_delay_alu instid0(VALU_DEP_1) | instskip(NEXT) | instid1(VALU_DEP_1)
	v_dual_mov_b32 v22, v21 :: v_dual_cndmask_b32 v15, v20, v16
	v_mad_nc_u64_u32 v[22:23], 0x4e441529, v10, v[22:23]
	s_delay_alu instid0(VALU_DEP_1) | instskip(NEXT) | instid1(VALU_DEP_1)
	v_dual_mov_b32 v24, v23 :: v_dual_cndmask_b32 v13, v22, v18
	v_mad_nc_u64_u32 v[10:11], 0xa2f9836e, v10, v[24:25]
	s_delay_alu instid0(VALU_DEP_1) | instskip(SKIP_1) | instid1(VALU_DEP_2)
	v_dual_cndmask_b32 v10, v10, v20 :: v_dual_cndmask_b32 v11, v11, v22
	v_cmp_eq_u32_e32 vcc_lo, 0, v7
	v_dual_cndmask_b32 v14, v10, v13, s2 :: v_dual_cndmask_b32 v10, v11, v10, s2
	v_dual_cndmask_b32 v11, v13, v15, s2 :: v_dual_cndmask_b32 v15, v15, v8, s2
	v_dual_sub_nc_u32 v13, 32, v7 :: v_dual_cndmask_b32 v8, v8, v12, s2
	s_delay_alu instid0(VALU_DEP_3) | instskip(NEXT) | instid1(VALU_DEP_2)
	v_cndmask_b32_e64 v10, v10, v14, s3
	v_dual_cndmask_b32 v14, v14, v11, s3 :: v_dual_cndmask_b32 v8, v15, v8, s3
	s_delay_alu instid0(VALU_DEP_1) | instskip(NEXT) | instid1(VALU_DEP_1)
	v_alignbit_b32 v17, v10, v14, v13
	v_dual_cndmask_b32 v11, v11, v15, s3 :: v_dual_cndmask_b32 v7, v17, v10, vcc_lo
	s_delay_alu instid0(VALU_DEP_1) | instskip(NEXT) | instid1(VALU_DEP_4)
	v_alignbit_b32 v16, v14, v11, v13
	v_alignbit_b32 v13, v11, v8, v13
	s_delay_alu instid0(VALU_DEP_3) | instskip(NEXT) | instid1(VALU_DEP_2)
	v_bfe_u32 v12, v7, 29, 1
	v_dual_cndmask_b32 v10, v16, v14 :: v_dual_cndmask_b32 v11, v13, v11
	s_delay_alu instid0(VALU_DEP_2) | instskip(NEXT) | instid1(VALU_DEP_2)
	v_sub_nc_u32_e32 v15, 0, v12
	v_alignbit_b32 v14, v7, v10, 30
	s_delay_alu instid0(VALU_DEP_3) | instskip(SKIP_1) | instid1(VALU_DEP_3)
	v_alignbit_b32 v10, v10, v11, 30
	v_alignbit_b32 v8, v11, v8, 30
	v_xor_b32_e32 v14, v14, v15
	s_delay_alu instid0(VALU_DEP_2) | instskip(NEXT) | instid1(VALU_DEP_2)
	v_xor_b32_e32 v8, v8, v15
	v_clz_i32_u32_e32 v13, v14
	s_delay_alu instid0(VALU_DEP_1) | instskip(NEXT) | instid1(VALU_DEP_1)
	v_min_u32_e32 v13, 32, v13
	v_dual_lshlrev_b32 v16, 23, v13 :: v_dual_bitop2_b32 v10, v10, v15 bitop3:0x14
	v_sub_nc_u32_e32 v11, 31, v13
	s_delay_alu instid0(VALU_DEP_1) | instskip(SKIP_2) | instid1(VALU_DEP_1)
	v_alignbit_b32 v14, v14, v10, v11
	v_lshrrev_b32_e32 v15, 29, v7
	v_alignbit_b32 v8, v10, v8, v11
	v_alignbit_b32 v11, v14, v8, 9
	s_delay_alu instid0(VALU_DEP_3) | instskip(NEXT) | instid1(VALU_DEP_2)
	v_dual_lshrrev_b32 v14, 9, v14 :: v_dual_lshlrev_b32 v10, 31, v15
	v_clz_i32_u32_e32 v17, v11
	s_delay_alu instid0(VALU_DEP_2) | instskip(SKIP_1) | instid1(VALU_DEP_2)
	v_or_b32_e32 v15, 0.5, v10
	v_or_b32_e32 v10, 0x33000000, v10
	v_sub_nc_u32_e32 v15, v15, v16
	s_delay_alu instid0(VALU_DEP_4) | instskip(NEXT) | instid1(VALU_DEP_1)
	v_min_u32_e32 v16, 32, v17
	v_add_lshl_u32 v13, v16, v13, 23
	s_delay_alu instid0(VALU_DEP_1) | instskip(NEXT) | instid1(VALU_DEP_4)
	v_sub_nc_u32_e32 v10, v10, v13
	v_or_b32_e32 v14, v14, v15
	v_not_b32_e32 v15, v16
	s_delay_alu instid0(VALU_DEP_1) | instskip(NEXT) | instid1(VALU_DEP_1)
	v_alignbit_b32 v8, v11, v8, v15
	v_dual_mul_f32 v17, 0x3fc90fda, v14 :: v_dual_lshrrev_b32 v8, 9, v8
	s_delay_alu instid0(VALU_DEP_1) | instskip(NEXT) | instid1(VALU_DEP_2)
	v_or_b32_e32 v8, v10, v8
	v_fma_f32 v11, 0x3fc90fda, v14, -v17
	s_delay_alu instid0(VALU_DEP_1) | instskip(NEXT) | instid1(VALU_DEP_1)
	v_fmamk_f32 v11, v14, 0x33a22168, v11
	v_dual_fmac_f32 v11, 0x3fc90fda, v8 :: v_dual_lshrrev_b32 v8, 30, v7
	s_delay_alu instid0(VALU_DEP_1)
	v_dual_add_f32 v7, v17, v11 :: v_dual_add_nc_u32 v8, v12, v8
	s_or_saveexec_b32 s2, s6
	v_mul_f32_e64 v12, 0x3f22f983, |v1|
	s_xor_b32 exec_lo, exec_lo, s2
	s_branch .LBB11_14
.LBB11_13:
	s_or_saveexec_b32 s2, s6
	v_mul_f32_e64 v12, 0x3f22f983, |v1|
	s_xor_b32 exec_lo, exec_lo, s2
.LBB11_14:
	s_delay_alu instid0(VALU_DEP_1) | instskip(NEXT) | instid1(VALU_DEP_1)
	v_rndne_f32_e32 v8, v12
	v_fma_f32 v7, 0xbfc90fda, v8, |v1|
	s_delay_alu instid0(VALU_DEP_1) | instskip(NEXT) | instid1(VALU_DEP_1)
	v_fmamk_f32 v7, v8, 0xb3a22168, v7
	v_fmamk_f32 v7, v8, 0xa7c234c4, v7
	v_cvt_i32_f32_e32 v8, v8
; %bb.15:
	s_or_b32 exec_lo, exec_lo, s2
                                        ; implicit-def: $vgpr11
                                        ; implicit-def: $vgpr10
	s_and_saveexec_b32 s2, s4
	s_delay_alu instid0(SALU_CYCLE_1)
	s_xor_b32 s4, exec_lo, s2
	s_cbranch_execz .LBB11_17
; %bb.16:
	s_mov_b32 s2, 0x7fffff
	v_mov_b32_e32 v11, 0
	v_and_or_b32 v10, v0, s2, 0x800000
	s_mov_b64 s[2:3], 0xfe5163ab
	v_add_nc_u32_e32 v9, 0xffffff88, v9
	s_delay_alu instid0(VALU_DEP_2) | instskip(NEXT) | instid1(VALU_DEP_2)
	v_mul_u64_e32 v[12:13], s[2:3], v[10:11]
	v_cmp_lt_u32_e32 vcc_lo, 63, v9
	s_delay_alu instid0(VALU_DEP_2) | instskip(SKIP_2) | instid1(VALU_DEP_3)
	v_dual_mov_b32 v14, v13 :: v_dual_mov_b32 v15, v11
	v_dual_mov_b32 v17, v11 :: v_dual_mov_b32 v19, v11
	;; [unrolled: 1-line block ×3, first 2 shown]
	v_mad_nc_u64_u32 v[14:15], 0x3c439041, v10, v[14:15]
	v_cndmask_b32_e64 v13, 0, 0xffffffc0, vcc_lo
	s_delay_alu instid0(VALU_DEP_1) | instskip(NEXT) | instid1(VALU_DEP_3)
	v_dual_mov_b32 v25, v11 :: v_dual_add_nc_u32 v9, v13, v9
	v_mov_b32_e32 v16, v15
	s_delay_alu instid0(VALU_DEP_2) | instskip(NEXT) | instid1(VALU_DEP_2)
	v_cmp_lt_u32_e64 s2, 31, v9
	v_mad_nc_u64_u32 v[16:17], 0xdb629599, v10, v[16:17]
	s_delay_alu instid0(VALU_DEP_2) | instskip(NEXT) | instid1(VALU_DEP_1)
	v_cndmask_b32_e64 v13, 0, 0xffffffe0, s2
	v_add_nc_u32_e32 v9, v13, v9
	s_delay_alu instid0(VALU_DEP_3) | instskip(NEXT) | instid1(VALU_DEP_2)
	v_mov_b32_e32 v18, v17
	v_cmp_lt_u32_e64 s3, 31, v9
	v_cndmask_b32_e32 v12, v16, v12, vcc_lo
	s_delay_alu instid0(VALU_DEP_3) | instskip(NEXT) | instid1(VALU_DEP_3)
	v_mad_nc_u64_u32 v[18:19], 0xf534ddc0, v10, v[18:19]
	v_cndmask_b32_e64 v13, 0, 0xffffffe0, s3
	s_delay_alu instid0(VALU_DEP_1) | instskip(NEXT) | instid1(VALU_DEP_3)
	v_dual_add_nc_u32 v9, v13, v9 :: v_dual_cndmask_b32 v13, v18, v14, vcc_lo
	v_mov_b32_e32 v20, v19
	s_delay_alu instid0(VALU_DEP_1) | instskip(NEXT) | instid1(VALU_DEP_1)
	v_mad_nc_u64_u32 v[20:21], 0xfc2757d1, v10, v[20:21]
	v_dual_mov_b32 v22, v21 :: v_dual_cndmask_b32 v17, v20, v16
	s_delay_alu instid0(VALU_DEP_1) | instskip(NEXT) | instid1(VALU_DEP_1)
	v_mad_nc_u64_u32 v[22:23], 0x4e441529, v10, v[22:23]
	v_dual_mov_b32 v24, v23 :: v_dual_cndmask_b32 v15, v22, v18
	s_delay_alu instid0(VALU_DEP_1) | instskip(NEXT) | instid1(VALU_DEP_1)
	v_mad_nc_u64_u32 v[10:11], 0xa2f9836e, v10, v[24:25]
	v_dual_cndmask_b32 v10, v10, v20 :: v_dual_cndmask_b32 v11, v11, v22
	v_cmp_eq_u32_e32 vcc_lo, 0, v9
	s_delay_alu instid0(VALU_DEP_2) | instskip(SKIP_2) | instid1(VALU_DEP_3)
	v_dual_cndmask_b32 v14, v10, v15, s2 :: v_dual_cndmask_b32 v10, v11, v10, s2
	v_cndmask_b32_e64 v11, v15, v17, s2
	v_sub_nc_u32_e32 v15, 32, v9
	v_dual_cndmask_b32 v17, v17, v13, s2 :: v_dual_cndmask_b32 v10, v10, v14, s3
	s_delay_alu instid0(VALU_DEP_3) | instskip(NEXT) | instid1(VALU_DEP_1)
	v_cndmask_b32_e64 v14, v14, v11, s3
	v_alignbit_b32 v18, v10, v14, v15
	s_delay_alu instid0(VALU_DEP_1) | instskip(NEXT) | instid1(VALU_DEP_1)
	v_dual_cndmask_b32 v11, v11, v17, s3 :: v_dual_cndmask_b32 v9, v18, v10, vcc_lo
	v_alignbit_b32 v16, v14, v11, v15
	v_cndmask_b32_e64 v10, v13, v12, s2
	s_delay_alu instid0(VALU_DEP_3) | instskip(NEXT) | instid1(VALU_DEP_3)
	v_bfe_u32 v13, v9, 29, 1
	v_cndmask_b32_e32 v12, v16, v14, vcc_lo
	s_delay_alu instid0(VALU_DEP_2) | instskip(NEXT) | instid1(VALU_DEP_2)
	v_dual_cndmask_b32 v10, v17, v10, s3 :: v_dual_sub_nc_u32 v16, 0, v13
	v_alignbit_b32 v14, v9, v12, 30
	s_delay_alu instid0(VALU_DEP_2) | instskip(NEXT) | instid1(VALU_DEP_1)
	v_alignbit_b32 v15, v11, v10, v15
	v_dual_cndmask_b32 v11, v15, v11, vcc_lo :: v_dual_bitop2_b32 v14, v14, v16 bitop3:0x14
	s_delay_alu instid0(VALU_DEP_1) | instskip(NEXT) | instid1(VALU_DEP_2)
	v_clz_i32_u32_e32 v15, v14
	v_alignbit_b32 v12, v12, v11, 30
	v_alignbit_b32 v10, v11, v10, 30
	s_delay_alu instid0(VALU_DEP_3) | instskip(NEXT) | instid1(VALU_DEP_3)
	v_min_u32_e32 v15, 32, v15
	v_xor_b32_e32 v11, v12, v16
	s_delay_alu instid0(VALU_DEP_3) | instskip(NEXT) | instid1(VALU_DEP_3)
	v_dual_lshrrev_b32 v16, 29, v9 :: v_dual_bitop2_b32 v10, v10, v16 bitop3:0x14
	v_dual_lshrrev_b32 v9, 30, v9 :: v_dual_sub_nc_u32 v12, 31, v15
	v_lshlrev_b32_e32 v17, 23, v15
	s_delay_alu instid0(VALU_DEP_2) | instskip(NEXT) | instid1(VALU_DEP_4)
	v_alignbit_b32 v14, v14, v11, v12
	v_alignbit_b32 v10, v11, v10, v12
	v_lshlrev_b32_e32 v11, 31, v16
	s_delay_alu instid0(VALU_DEP_2) | instskip(NEXT) | instid1(VALU_DEP_2)
	v_alignbit_b32 v12, v14, v10, 9
	v_dual_lshrrev_b32 v14, 9, v14 :: v_dual_bitop2_b32 v16, 0.5, v11 bitop3:0x54
	v_or_b32_e32 v11, 0x33000000, v11
	s_delay_alu instid0(VALU_DEP_3) | instskip(NEXT) | instid1(VALU_DEP_3)
	v_clz_i32_u32_e32 v18, v12
	v_sub_nc_u32_e32 v16, v16, v17
	s_delay_alu instid0(VALU_DEP_2) | instskip(NEXT) | instid1(VALU_DEP_1)
	v_min_u32_e32 v17, 32, v18
	v_add_lshl_u32 v15, v17, v15, 23
	s_delay_alu instid0(VALU_DEP_1) | instskip(SKIP_1) | instid1(VALU_DEP_1)
	v_dual_sub_nc_u32 v11, v11, v15 :: v_dual_bitop2_b32 v14, v14, v16 bitop3:0x54
	v_not_b32_e32 v16, v17
	v_alignbit_b32 v10, v12, v10, v16
	s_delay_alu instid0(VALU_DEP_1) | instskip(NEXT) | instid1(VALU_DEP_4)
	v_lshrrev_b32_e32 v10, 9, v10
	v_mul_f32_e32 v18, 0x3fc90fda, v14
	s_delay_alu instid0(VALU_DEP_2) | instskip(NEXT) | instid1(VALU_DEP_2)
	v_or_b32_e32 v10, v11, v10
	v_fma_f32 v12, 0x3fc90fda, v14, -v18
	s_delay_alu instid0(VALU_DEP_1) | instskip(NEXT) | instid1(VALU_DEP_1)
	v_dual_fmamk_f32 v12, v14, 0x33a22168, v12 :: v_dual_add_nc_u32 v11, v13, v9
	v_fmac_f32_e32 v12, 0x3fc90fda, v10
	s_delay_alu instid0(VALU_DEP_1)
	v_add_f32_e32 v10, v18, v12
                                        ; implicit-def: $vgpr12
	s_and_not1_saveexec_b32 s2, s4
	s_cbranch_execnz .LBB11_18
	s_branch .LBB11_19
.LBB11_17:
	s_and_not1_saveexec_b32 s2, s4
.LBB11_18:
	v_rndne_f32_e32 v9, v12
	s_delay_alu instid0(VALU_DEP_1) | instskip(SKIP_1) | instid1(VALU_DEP_2)
	v_fma_f32 v10, 0xbfc90fda, v9, |v1|
	v_cvt_i32_f32_e32 v11, v9
	v_fmamk_f32 v10, v9, 0xb3a22168, v10
	s_delay_alu instid0(VALU_DEP_1)
	v_fmamk_f32 v10, v9, 0xa7c234c4, v10
.LBB11_19:
	s_or_b32 exec_lo, exec_lo, s2
	v_mad_u32 v9, v3, s9, v2
	v_mul_lo_u32 v12, v4, s5
	s_load_b128 s[0:3], s[0:1], 0x0
	s_ashr_i32 s5, s17, 31
	s_mov_b32 s4, s17
	v_mad_u32 v2, v3, s16, v2
	s_lshl_b64 s[4:5], s[4:5], 2
	v_dual_lshlrev_b32 v11, 30, v11 :: v_dual_bitop2_b32 v3, 1, v11 bitop3:0x40
	s_delay_alu instid0(VALU_DEP_4) | instskip(NEXT) | instid1(VALU_DEP_4)
	v_mad_u32 v9, v4, s8, v9
	v_sub_nc_u32_e32 v5, v5, v12
	s_delay_alu instid0(VALU_DEP_3) | instskip(SKIP_1) | instid1(VALU_DEP_3)
	v_and_b32_e32 v11, 0x80000000, v11
	v_mad_u32 v2, v4, s11, v2
	v_mad_u32 v12, v5, s7, v9
	s_delay_alu instid0(VALU_DEP_1) | instskip(SKIP_1) | instid1(VALU_DEP_1)
	v_ashrrev_i32_e32 v13, 31, v12
	s_wait_kmcnt 0x0
	v_lshl_add_u64 v[14:15], v[12:13], 2, s[0:1]
	s_delay_alu instid0(VALU_DEP_1)
	v_add_nc_u64_e32 v[14:15], s[4:5], v[14:15]
	s_clause 0x1
	global_load_b32 v9, v[14:15], off
	global_load_b32 v13, v12, s[0:1] scale_offset
	s_wait_xcnt 0x0
	v_dual_mul_f32 v12, v7, v7 :: v_dual_bitop2_b32 v14, 1, v8 bitop3:0x40
	v_dual_mul_f32 v15, v10, v10 :: v_dual_lshlrev_b32 v8, 30, v8
	s_mov_b32 s0, 0xb94c1982
	s_mov_b32 s1, 0x37d75334
	s_delay_alu instid0(VALU_DEP_2) | instskip(SKIP_3) | instid1(VALU_DEP_3)
	v_cmp_eq_u32_e32 vcc_lo, 0, v14
	v_fmaak_f32 v17, s1, v12, 0xbab64f3b
	v_fmaak_f32 v18, s0, v15, 0x3c0881c4
	v_xor_b32_e32 v20, v0, v1
	v_fmaak_f32 v17, v12, v17, 0x3d2aabf7
	s_delay_alu instid0(VALU_DEP_3) | instskip(SKIP_1) | instid1(VALU_DEP_1)
	v_fmaak_f32 v18, v15, v18, 0xbe2aaa9d
	v_fmaak_f32 v16, s0, v12, 0x3c0881c4
	;; [unrolled: 1-line block ×3, first 2 shown]
	s_delay_alu instid0(VALU_DEP_1) | instskip(NEXT) | instid1(VALU_DEP_4)
	v_dual_fmaak_f32 v19, s1, v15, 0xbab64f3b :: v_dual_mul_f32 v0, v12, v16
	v_dual_fmaak_f32 v16, v12, v17, 0xbf000004 :: v_dual_mul_f32 v17, v15, v18
	s_delay_alu instid0(VALU_DEP_2) | instskip(NEXT) | instid1(VALU_DEP_3)
	v_fmaak_f32 v19, v15, v19, 0x3d2aabf7
	v_fmac_f32_e32 v7, v7, v0
	s_delay_alu instid0(VALU_DEP_3) | instskip(NEXT) | instid1(VALU_DEP_1)
	v_fma_f32 v0, v12, v16, 1.0
	v_dual_fmac_f32 v10, v10, v17 :: v_dual_cndmask_b32 v7, -v7, v0, vcc_lo
	v_cmp_eq_u32_e32 vcc_lo, 0, v3
	v_fmaak_f32 v18, v15, v19, 0xbf000004
	v_mad_u32 v0, v5, s10, v2
	s_delay_alu instid0(VALU_DEP_4) | instskip(NEXT) | instid1(VALU_DEP_3)
	v_bitop3_b32 v2, v8, v7, 0x80000000 bitop3:0x6c
	v_fma_f32 v4, v15, v18, 1.0
	s_delay_alu instid0(VALU_DEP_1) | instskip(SKIP_2) | instid1(VALU_DEP_3)
	v_cndmask_b32_e32 v3, v4, v10, vcc_lo
	v_cmp_class_f32_e64 vcc_lo, v1, 0x1f8
	v_ashrrev_i32_e32 v1, 31, v0
	v_xor3_b32 v3, v20, v11, v3
	v_cndmask_b32_e32 v4, 0x7fc00000, v2, vcc_lo
	s_delay_alu instid0(VALU_DEP_2) | instskip(NEXT) | instid1(VALU_DEP_1)
	v_cndmask_b32_e32 v2, 0x7fc00000, v3, vcc_lo
	v_mul_f32_e32 v5, v6, v2
	v_lshl_add_u64 v[2:3], v[0:1], 2, s[2:3]
	s_delay_alu instid0(VALU_DEP_4) | instskip(NEXT) | instid1(VALU_DEP_2)
	v_mul_f32_e32 v1, v6, v4
	v_add_nc_u64_e32 v[2:3], s[4:5], v[2:3]
	s_wait_loadcnt 0x1
	v_mul_f32_e32 v4, v9, v5
	s_wait_loadcnt 0x0
	v_mul_f32_e32 v5, v13, v5
	s_delay_alu instid0(VALU_DEP_2) | instskip(NEXT) | instid1(VALU_DEP_2)
	v_fma_f32 v4, v1, v13, -v4
	v_fmac_f32_e32 v5, v1, v9
	s_clause 0x1
	global_store_b32 v0, v4, s[2:3] scale_offset
	global_store_b32 v[2:3], v5, off
.LBB11_20:
	s_endpgm
	.section	.rodata,"a",@progbits
	.p2align	6, 0x0
	.amdhsa_kernel _ZL11rope_visionILb1ELb1EfEvPKT1_PS0_iiiiiiiiiiPKifff14rope_corr_dimsfPKf14mrope_sections
		.amdhsa_group_segment_fixed_size 0
		.amdhsa_private_segment_fixed_size 0
		.amdhsa_kernarg_size 368
		.amdhsa_user_sgpr_count 2
		.amdhsa_user_sgpr_dispatch_ptr 0
		.amdhsa_user_sgpr_queue_ptr 0
		.amdhsa_user_sgpr_kernarg_segment_ptr 1
		.amdhsa_user_sgpr_dispatch_id 0
		.amdhsa_user_sgpr_kernarg_preload_length 0
		.amdhsa_user_sgpr_kernarg_preload_offset 0
		.amdhsa_user_sgpr_private_segment_size 0
		.amdhsa_wavefront_size32 1
		.amdhsa_uses_dynamic_stack 0
		.amdhsa_enable_private_segment 0
		.amdhsa_system_sgpr_workgroup_id_x 1
		.amdhsa_system_sgpr_workgroup_id_y 1
		.amdhsa_system_sgpr_workgroup_id_z 0
		.amdhsa_system_sgpr_workgroup_info 0
		.amdhsa_system_vgpr_workitem_id 1
		.amdhsa_next_free_vgpr 26
		.amdhsa_next_free_sgpr 21
		.amdhsa_named_barrier_count 0
		.amdhsa_reserve_vcc 1
		.amdhsa_float_round_mode_32 0
		.amdhsa_float_round_mode_16_64 0
		.amdhsa_float_denorm_mode_32 3
		.amdhsa_float_denorm_mode_16_64 3
		.amdhsa_fp16_overflow 0
		.amdhsa_memory_ordered 1
		.amdhsa_forward_progress 1
		.amdhsa_inst_pref_size 38
		.amdhsa_round_robin_scheduling 0
		.amdhsa_exception_fp_ieee_invalid_op 0
		.amdhsa_exception_fp_denorm_src 0
		.amdhsa_exception_fp_ieee_div_zero 0
		.amdhsa_exception_fp_ieee_overflow 0
		.amdhsa_exception_fp_ieee_underflow 0
		.amdhsa_exception_fp_ieee_inexact 0
		.amdhsa_exception_int_div_zero 0
	.end_amdhsa_kernel
	.section	.text._ZL11rope_visionILb1ELb1EfEvPKT1_PS0_iiiiiiiiiiPKifff14rope_corr_dimsfPKf14mrope_sections,"axG",@progbits,_ZL11rope_visionILb1ELb1EfEvPKT1_PS0_iiiiiiiiiiPKifff14rope_corr_dimsfPKf14mrope_sections,comdat
.Lfunc_end11:
	.size	_ZL11rope_visionILb1ELb1EfEvPKT1_PS0_iiiiiiiiiiPKifff14rope_corr_dimsfPKf14mrope_sections, .Lfunc_end11-_ZL11rope_visionILb1ELb1EfEvPKT1_PS0_iiiiiiiiiiPKifff14rope_corr_dimsfPKf14mrope_sections
                                        ; -- End function
	.set _ZL11rope_visionILb1ELb1EfEvPKT1_PS0_iiiiiiiiiiPKifff14rope_corr_dimsfPKf14mrope_sections.num_vgpr, 26
	.set _ZL11rope_visionILb1ELb1EfEvPKT1_PS0_iiiiiiiiiiPKifff14rope_corr_dimsfPKf14mrope_sections.num_agpr, 0
	.set _ZL11rope_visionILb1ELb1EfEvPKT1_PS0_iiiiiiiiiiPKifff14rope_corr_dimsfPKf14mrope_sections.numbered_sgpr, 21
	.set _ZL11rope_visionILb1ELb1EfEvPKT1_PS0_iiiiiiiiiiPKifff14rope_corr_dimsfPKf14mrope_sections.num_named_barrier, 0
	.set _ZL11rope_visionILb1ELb1EfEvPKT1_PS0_iiiiiiiiiiPKifff14rope_corr_dimsfPKf14mrope_sections.private_seg_size, 0
	.set _ZL11rope_visionILb1ELb1EfEvPKT1_PS0_iiiiiiiiiiPKifff14rope_corr_dimsfPKf14mrope_sections.uses_vcc, 1
	.set _ZL11rope_visionILb1ELb1EfEvPKT1_PS0_iiiiiiiiiiPKifff14rope_corr_dimsfPKf14mrope_sections.uses_flat_scratch, 0
	.set _ZL11rope_visionILb1ELb1EfEvPKT1_PS0_iiiiiiiiiiPKifff14rope_corr_dimsfPKf14mrope_sections.has_dyn_sized_stack, 0
	.set _ZL11rope_visionILb1ELb1EfEvPKT1_PS0_iiiiiiiiiiPKifff14rope_corr_dimsfPKf14mrope_sections.has_recursion, 0
	.set _ZL11rope_visionILb1ELb1EfEvPKT1_PS0_iiiiiiiiiiPKifff14rope_corr_dimsfPKf14mrope_sections.has_indirect_call, 0
	.section	.AMDGPU.csdata,"",@progbits
; Kernel info:
; codeLenInByte = 4760
; TotalNumSgprs: 23
; NumVgprs: 26
; ScratchSize: 0
; MemoryBound: 0
; FloatMode: 240
; IeeeMode: 1
; LDSByteSize: 0 bytes/workgroup (compile time only)
; SGPRBlocks: 0
; VGPRBlocks: 1
; NumSGPRsForWavesPerEU: 23
; NumVGPRsForWavesPerEU: 26
; NamedBarCnt: 0
; Occupancy: 16
; WaveLimiterHint : 0
; COMPUTE_PGM_RSRC2:SCRATCH_EN: 0
; COMPUTE_PGM_RSRC2:USER_SGPR: 2
; COMPUTE_PGM_RSRC2:TRAP_HANDLER: 0
; COMPUTE_PGM_RSRC2:TGID_X_EN: 1
; COMPUTE_PGM_RSRC2:TGID_Y_EN: 1
; COMPUTE_PGM_RSRC2:TGID_Z_EN: 0
; COMPUTE_PGM_RSRC2:TIDIG_COMP_CNT: 1
	.section	.text._ZL11rope_visionILb1ELb0E6__halfEvPKT1_PS1_iiiiiiiiiiPKifff14rope_corr_dimsfPKf14mrope_sections,"axG",@progbits,_ZL11rope_visionILb1ELb0E6__halfEvPKT1_PS1_iiiiiiiiiiPKifff14rope_corr_dimsfPKf14mrope_sections,comdat
	.globl	_ZL11rope_visionILb1ELb0E6__halfEvPKT1_PS1_iiiiiiiiiiPKifff14rope_corr_dimsfPKf14mrope_sections ; -- Begin function _ZL11rope_visionILb1ELb0E6__halfEvPKT1_PS1_iiiiiiiiiiPKifff14rope_corr_dimsfPKf14mrope_sections
	.p2align	8
	.type	_ZL11rope_visionILb1ELb0E6__halfEvPKT1_PS1_iiiiiiiiiiPKifff14rope_corr_dimsfPKf14mrope_sections,@function
_ZL11rope_visionILb1ELb0E6__halfEvPKT1_PS1_iiiiiiiiiiPKifff14rope_corr_dimsfPKf14mrope_sections: ; @_ZL11rope_visionILb1ELb0E6__halfEvPKT1_PS1_iiiiiiiiiiPKifff14rope_corr_dimsfPKf14mrope_sections
; %bb.0:
	s_clause 0x1
	s_load_u16 s3, s[0:1], 0x7e
	s_load_b256 s[4:11], s[0:1], 0x10
	s_bfe_u32 s2, ttmp6, 0x40010
	s_bfe_u32 s13, ttmp6, 0x40004
	s_add_co_i32 s2, s2, 1
	v_bfe_u32 v1, v0, 10, 10
	s_mul_i32 s12, ttmp7, s2
	s_getreg_b32 s2, hwreg(HW_REG_IB_STS2, 6, 4)
	s_add_co_i32 s13, s13, s12
	s_cmp_eq_u32 s2, 0
	s_cselect_b32 s12, ttmp7, s13
	s_wait_kmcnt 0x0
	s_mul_i32 s12, s12, s3
	s_mov_b32 s3, exec_lo
	v_add_lshl_u32 v2, s12, v1, 1
	s_delay_alu instid0(VALU_DEP_1)
	v_cmpx_gt_i32_e64 s4, v2
	s_cbranch_execz .LBB12_20
; %bb.1:
	s_add_nc_u64 s[12:13], s[0:1], 0x70
	s_bfe_u32 s4, ttmp6, 0x4000c
	s_load_b32 s3, s[12:13], 0xc
	s_add_co_i32 s4, s4, 1
	s_wait_xcnt 0x0
	s_and_b32 s12, ttmp6, 15
	s_mul_i32 s4, ttmp9, s4
	v_and_b32_e32 v0, 0x3ff, v0
	s_add_co_i32 s12, s12, s4
	s_mul_i32 s4, s6, s5
	s_wait_kmcnt 0x0
	s_and_b32 s3, s3, 0xffff
	s_cmp_eq_u32 s2, 0
	s_cselect_b32 s2, ttmp9, s12
	s_abs_i32 s12, s4
	v_mad_u32 v3, s2, s3, v0
	s_cvt_f32_u32 s13, s12
	s_delay_alu instid0(SALU_CYCLE_3) | instskip(NEXT) | instid1(VALU_DEP_1)
	v_rcp_iflag_f32_e32 v1, s13
	v_sub_nc_u32_e32 v0, 0, v3
	s_delay_alu instid0(TRANS32_DEP_1) | instskip(NEXT) | instid1(VALU_DEP_2)
	v_readfirstlane_b32 s2, v1
	v_max_i32_e32 v0, v3, v0
	s_mul_f32 s2, s2, 0x4f7ffffe
	s_delay_alu instid0(SALU_CYCLE_3) | instskip(SKIP_1) | instid1(SALU_CYCLE_2)
	s_cvt_u32_f32 s13, s2
	s_sub_co_i32 s2, 0, s12
	s_mul_i32 s2, s2, s13
	s_delay_alu instid0(SALU_CYCLE_1) | instskip(SKIP_2) | instid1(SALU_CYCLE_1)
	s_mul_hi_u32 s14, s13, s2
	s_load_b64 s[2:3], s[0:1], 0x60
	s_add_co_i32 s13, s13, s14
	v_mul_hi_u32 v1, v0, s13
	s_delay_alu instid0(VALU_DEP_1) | instskip(SKIP_2) | instid1(SALU_CYCLE_1)
	v_mul_lo_u32 v4, v1, s12
	s_wait_kmcnt 0x0
	s_add_co_i32 s3, s3, s2
	s_abs_i32 s20, s3
	s_delay_alu instid0(SALU_CYCLE_1) | instskip(NEXT) | instid1(VALU_DEP_1)
	s_cvt_f32_u32 s13, s20
	v_dual_sub_nc_u32 v0, v0, v4 :: v_dual_add_nc_u32 v4, 1, v1
	s_delay_alu instid0(SALU_CYCLE_2) | instskip(SKIP_1) | instid1(VALU_DEP_1)
	v_rcp_iflag_f32_e32 v5, s13
	s_cvt_f32_u32 s13, s5
	v_cmp_le_u32_e32 vcc_lo, s12, v0
	s_delay_alu instid0(TRANS32_DEP_1) | instskip(SKIP_4) | instid1(VALU_DEP_2)
	v_readfirstlane_b32 s14, v5
	v_cndmask_b32_e32 v1, v1, v4, vcc_lo
	v_subrev_nc_u32_e32 v6, s12, v0
	v_xor_b32_e32 v4, s4, v3
	s_mul_f32 s14, s14, 0x4f7ffffe
	v_dual_cndmask_b32 v5, v0, v6 :: v_dual_add_nc_u32 v6, 1, v1
	s_delay_alu instid0(VALU_DEP_2) | instskip(NEXT) | instid1(VALU_DEP_2)
	v_dual_ashrrev_i32 v0, 1, v2 :: v_dual_ashrrev_i32 v4, 31, v4
	v_cmp_le_u32_e32 vcc_lo, s12, v5
	v_rcp_iflag_f32_e32 v5, s13
	s_cvt_u32_f32 s12, s14
	s_sub_co_i32 s13, 0, s20
	v_dual_cndmask_b32 v1, v1, v6 :: v_dual_sub_nc_u32 v6, 0, v0
	s_delay_alu instid0(SALU_CYCLE_1) | instskip(NEXT) | instid1(TRANS32_DEP_1)
	s_mul_i32 s13, s13, s12
	v_readfirstlane_b32 s14, v5
	s_mul_hi_u32 s13, s12, s13
	v_xor_b32_e32 v1, v1, v4
	v_max_i32_e32 v6, v0, v6
	s_add_co_i32 s12, s12, s13
	s_delay_alu instid0(VALU_DEP_2) | instskip(NEXT) | instid1(VALU_DEP_2)
	v_sub_nc_u32_e32 v1, v1, v4
	v_mul_hi_u32 v4, v6, s12
	s_sub_co_i32 s12, 0, s5
	s_delay_alu instid0(VALU_DEP_2) | instskip(SKIP_1) | instid1(SALU_CYCLE_3)
	v_mul_lo_u32 v5, s4, v1
	s_mul_f32 s4, s14, 0x4f7ffffe
	s_cvt_u32_f32 s4, s4
	s_delay_alu instid0(VALU_DEP_2) | instskip(NEXT) | instid1(SALU_CYCLE_2)
	v_mul_lo_u32 v4, v4, s20
	s_mul_i32 s12, s12, s4
	s_delay_alu instid0(VALU_DEP_2) | instskip(SKIP_1) | instid1(SALU_CYCLE_1)
	v_sub_nc_u32_e32 v3, v3, v5
	s_mul_hi_u32 s12, s4, s12
	s_add_co_i32 s4, s4, s12
	s_clause 0x2
	s_load_b64 s[18:19], s[0:1], 0x50
	s_load_b64 s[16:17], s[0:1], 0x30
	s_load_b128 s[12:15], s[0:1], 0x40
	v_mul_hi_u32 v5, v3, s4
	s_mov_b32 s4, exec_lo
	s_delay_alu instid0(VALU_DEP_1) | instskip(SKIP_1) | instid1(VALU_DEP_2)
	v_mul_lo_u32 v7, v5, s5
	v_dual_sub_nc_u32 v4, v6, v4 :: v_dual_add_nc_u32 v8, 1, v5
	v_sub_nc_u32_e32 v7, v3, v7
	s_delay_alu instid0(VALU_DEP_2) | instskip(SKIP_1) | instid1(VALU_DEP_2)
	v_subrev_nc_u32_e32 v6, s20, v4
	v_cmp_le_u32_e32 vcc_lo, s20, v4
	v_cndmask_b32_e32 v4, v4, v6, vcc_lo
	s_delay_alu instid0(VALU_DEP_1) | instskip(SKIP_2) | instid1(VALU_DEP_2)
	v_subrev_nc_u32_e32 v6, s20, v4
	v_cmp_le_u32_e32 vcc_lo, s20, v4
	s_mov_b32 s20, -1
	v_cndmask_b32_e32 v4, v4, v6, vcc_lo
	v_subrev_nc_u32_e32 v6, s5, v7
	v_cmp_le_u32_e32 vcc_lo, s5, v7
	v_dual_cndmask_b32 v5, v5, v8 :: v_dual_ashrrev_i32 v2, 31, v2
	s_delay_alu instid0(VALU_DEP_3) | instskip(NEXT) | instid1(VALU_DEP_2)
	v_cndmask_b32_e32 v6, v7, v6, vcc_lo
	v_dual_add_nc_u32 v7, 1, v5 :: v_dual_bitop2_b32 v4, v4, v2 bitop3:0x14
	s_delay_alu instid0(VALU_DEP_2) | instskip(NEXT) | instid1(VALU_DEP_2)
	v_cmp_le_u32_e32 vcc_lo, s5, v6
	v_dual_sub_nc_u32 v4, v4, v2 :: v_dual_cndmask_b32 v2, v5, v7, vcc_lo
	s_delay_alu instid0(VALU_DEP_1) | instskip(NEXT) | instid1(VALU_DEP_2)
	v_mov_b32_e32 v6, v2
	v_cmpx_le_i32_e64 s2, v4
	s_cbranch_execz .LBB12_4
; %bb.2:
	s_cmp_gt_i32 s3, -1
	s_mov_b32 s3, -1
	s_cbranch_scc0 .LBB12_7
; %bb.3:
	v_subrev_nc_u32_e32 v4, s2, v4
	v_add_nc_u32_e32 v6, s6, v2
	s_branch .LBB12_8
.LBB12_4:
	s_or_b32 exec_lo, exec_lo, s4
	v_mov_b32_e32 v7, 0
	s_and_saveexec_b32 s6, s20
	s_cbranch_execz .LBB12_9
.LBB12_5:
	s_wait_kmcnt 0x0
	s_cmp_neq_f32 s19, 1.0
	v_cvt_f32_i32_e32 v4, v4
	s_load_b64 s[2:3], s[0:1], 0x38
	s_mov_b32 s4, 0x3e76c4e1
	s_cselect_b32 vcc_lo, -1, 0
	s_delay_alu instid0(VALU_DEP_1) | instskip(NEXT) | instid1(VALU_DEP_1)
	v_cndmask_b32_e32 v5, 1.0, v4, vcc_lo
	v_cmp_neq_f32_e32 vcc_lo, 0, v5
	v_cndmask_b32_e64 v4, 1.0, s19, vcc_lo
	s_delay_alu instid0(VALU_DEP_1) | instskip(SKIP_4) | instid1(VALU_DEP_1)
	v_frexp_mant_f32_e64 v7, |v4|
	s_wait_kmcnt 0x0
	global_load_b32 v22, v6, s[2:3] scale_offset
	v_cmp_gt_f32_e32 vcc_lo, 0x3f2aaaab, v7
	v_cndmask_b32_e64 v8, 1.0, 2.0, vcc_lo
	v_mul_f32_e32 v7, v7, v8
	s_delay_alu instid0(VALU_DEP_1) | instskip(NEXT) | instid1(VALU_DEP_1)
	v_dual_add_f32 v8, 1.0, v7 :: v_dual_add_f32 v9, -1.0, v7
	v_add_f32_e32 v11, -1.0, v8
	v_rcp_f32_e32 v14, v8
	v_nop
	s_delay_alu instid0(TRANS32_DEP_1) | instskip(NEXT) | instid1(VALU_DEP_1)
	v_mul_f32_e32 v15, v9, v14
	v_mul_f32_e32 v10, v8, v15
	v_sub_f32_e32 v7, v7, v11
	s_delay_alu instid0(VALU_DEP_2) | instskip(NEXT) | instid1(VALU_DEP_1)
	v_fma_f32 v12, v15, v8, -v10
	v_fmac_f32_e32 v12, v15, v7
	s_delay_alu instid0(VALU_DEP_1) | instskip(NEXT) | instid1(VALU_DEP_1)
	v_add_f32_e32 v8, v10, v12
	v_dual_sub_f32 v11, v9, v8 :: v_dual_mov_b32 v13, v8
	s_delay_alu instid0(VALU_DEP_1) | instskip(NEXT) | instid1(VALU_DEP_1)
	v_pk_add_f32 v[8:9], v[8:9], v[10:11] neg_lo:[0,1] neg_hi:[0,1]
	v_pk_add_f32 v[8:9], v[8:9], v[12:13] neg_lo:[0,1] neg_hi:[0,1]
	v_cvt_f64_f32_e64 v[12:13], |v4|
	s_delay_alu instid0(VALU_DEP_2) | instskip(NEXT) | instid1(VALU_DEP_1)
	v_add_f32_e32 v7, v8, v9
	v_add_f32_e32 v7, v11, v7
	s_delay_alu instid0(VALU_DEP_1) | instskip(NEXT) | instid1(VALU_DEP_1)
	v_mul_f32_e32 v7, v14, v7
	v_add_f32_e32 v8, v15, v7
	s_delay_alu instid0(VALU_DEP_1) | instskip(NEXT) | instid1(VALU_DEP_1)
	v_sub_f32_e32 v9, v8, v15
	v_sub_f32_e32 v18, v7, v9
	v_frexp_exp_i32_f64_e32 v17, v[12:13]
	s_delay_alu instid0(VALU_DEP_2) | instskip(NEXT) | instid1(VALU_DEP_1)
	v_dual_add_f32 v9, v18, v18 :: v_dual_mul_f32 v11, v8, v8
	v_fma_f32 v7, v8, v8, -v11
	s_delay_alu instid0(VALU_DEP_1) | instskip(NEXT) | instid1(VALU_DEP_1)
	v_fmac_f32_e32 v7, v8, v9
	v_add_f32_e32 v10, v11, v7
	s_delay_alu instid0(VALU_DEP_1) | instskip(SKIP_2) | instid1(VALU_DEP_2)
	v_sub_f32_e32 v11, v10, v11
	v_fmaak_f32 v9, s4, v10, 0x3e91f4c4
	v_cmp_eq_f32_e64 s4, 0, v4
	v_dual_sub_f32 v16, v7, v11 :: v_dual_fmaak_f32 v9, v10, v9, 0x3ecccdef
	s_delay_alu instid0(VALU_DEP_1) | instskip(SKIP_1) | instid1(VALU_DEP_1)
	v_mul_f32_e32 v14, v10, v9
	s_wait_xcnt 0x0
	v_fma_f32 v6, v10, v9, -v14
	s_delay_alu instid0(VALU_DEP_1) | instskip(NEXT) | instid1(VALU_DEP_1)
	v_fmac_f32_e32 v6, v16, v9
	v_add_f32_e32 v11, v14, v6
	s_delay_alu instid0(VALU_DEP_1) | instskip(NEXT) | instid1(VALU_DEP_1)
	v_sub_f32_e32 v9, v11, v14
	v_dual_add_f32 v7, 0x3f2aaaaa, v11 :: v_dual_sub_f32 v6, v6, v9
	s_delay_alu instid0(VALU_DEP_1) | instskip(NEXT) | instid1(VALU_DEP_2)
	v_add_f32_e32 v14, 0xbf2aaaaa, v7
	v_add_f32_e32 v9, 0x31739010, v6
	s_delay_alu instid0(VALU_DEP_2) | instskip(NEXT) | instid1(VALU_DEP_1)
	v_sub_f32_e32 v11, v11, v14
	v_pk_mul_f32 v[12:13], v[8:9], v[10:11]
	s_delay_alu instid0(VALU_DEP_1) | instskip(NEXT) | instid1(VALU_DEP_1)
	v_fma_f32 v6, v10, v8, -v12
	v_fmac_f32_e32 v6, v10, v18
	s_delay_alu instid0(VALU_DEP_1) | instskip(SKIP_2) | instid1(VALU_DEP_2)
	v_fmac_f32_e32 v6, v16, v8
	v_pk_add_f32 v[14:15], v[8:9], v[10:11]
	v_subrev_co_ci_u32_e64 v9, null, 0, v17, vcc_lo
	v_mov_b32_e32 v13, v15
	s_delay_alu instid0(VALU_DEP_2) | instskip(NEXT) | instid1(VALU_DEP_2)
	v_cvt_f32_i32_e32 v9, v9
	v_pk_add_f32 v[10:11], v[12:13], v[6:7]
	s_delay_alu instid0(VALU_DEP_1) | instskip(NEXT) | instid1(VALU_DEP_1)
	v_dual_mov_b32 v14, v11 :: v_dual_sub_f32 v13, v10, v12
	v_pk_mul_f32 v[16:17], v[10:11], v[14:15]
	s_delay_alu instid0(VALU_DEP_4) | instskip(NEXT) | instid1(VALU_DEP_3)
	v_dual_sub_f32 v7, v7, v11 :: v_dual_mul_f32 v14, 0x3f317218, v9
	v_sub_f32_e32 v6, v6, v13
	s_delay_alu instid0(VALU_DEP_3) | instskip(NEXT) | instid1(VALU_DEP_3)
	v_fma_f32 v12, v10, v11, -v16
	v_add_f32_e32 v7, v15, v7
	s_delay_alu instid0(VALU_DEP_1) | instskip(SKIP_1) | instid1(VALU_DEP_2)
	v_fmac_f32_e32 v12, v10, v7
	v_fma_f32 v7, 0x3f317218, v9, -v14
	v_fmac_f32_e32 v12, v6, v11
	s_delay_alu instid0(VALU_DEP_2) | instskip(SKIP_1) | instid1(VALU_DEP_1)
	v_fmamk_f32 v6, v9, 0xb102e308, v7
	v_ldexp_f32 v7, v8, 1
	v_dual_add_f32 v15, v16, v12 :: v_dual_mov_b32 v17, v7
	s_delay_alu instid0(VALU_DEP_1) | instskip(SKIP_2) | instid1(VALU_DEP_3)
	v_pk_add_f32 v[8:9], v[14:15], v[6:7]
	v_dual_mov_b32 v10, v15 :: v_dual_mov_b32 v13, v15
	v_ldexp_f32 v7, v18, 1
	v_dual_mov_b32 v11, v9 :: v_dual_mov_b32 v20, v9
	s_delay_alu instid0(VALU_DEP_1) | instskip(NEXT) | instid1(VALU_DEP_1)
	v_pk_add_f32 v[10:11], v[10:11], v[16:17] neg_lo:[0,1] neg_hi:[0,1]
	v_pk_add_f32 v[10:11], v[12:13], v[10:11] neg_lo:[0,1] neg_hi:[0,1]
	s_delay_alu instid0(VALU_DEP_1) | instskip(NEXT) | instid1(VALU_DEP_1)
	v_add_f32_e32 v7, v7, v10
	v_dual_add_f32 v15, v7, v11 :: v_dual_mov_b32 v7, v8
	s_delay_alu instid0(VALU_DEP_1) | instskip(SKIP_1) | instid1(VALU_DEP_2)
	v_pk_add_f32 v[10:11], v[8:9], v[14:15]
	v_pk_add_f32 v[12:13], v[8:9], v[14:15] neg_lo:[0,1] neg_hi:[0,1]
	v_mov_b32_e32 v13, v11
	s_delay_alu instid0(VALU_DEP_1) | instskip(SKIP_2) | instid1(VALU_DEP_3)
	v_pk_add_f32 v[16:17], v[6:7], v[12:13]
	v_mov_b32_e32 v16, v11
	v_pk_add_f32 v[6:7], v[6:7], v[12:13] neg_lo:[0,1] neg_hi:[0,1]
	v_mov_b32_e32 v14, v17
	s_delay_alu instid0(VALU_DEP_1) | instskip(SKIP_1) | instid1(VALU_DEP_2)
	v_pk_add_f32 v[18:19], v[14:15], v[8:9] neg_lo:[0,1] neg_hi:[0,1]
	v_dual_mov_b32 v9, v8 :: v_dual_mov_b32 v8, v15
	v_dual_mov_b32 v15, v18 :: v_dual_mov_b32 v21, v18
	s_delay_alu instid0(VALU_DEP_1) | instskip(NEXT) | instid1(VALU_DEP_2)
	v_pk_add_f32 v[10:11], v[10:11], v[14:15] neg_lo:[0,1] neg_hi:[0,1]
	v_pk_add_f32 v[12:13], v[16:17], v[20:21] neg_lo:[0,1] neg_hi:[0,1]
	v_mov_b32_e32 v10, v6
	s_delay_alu instid0(VALU_DEP_2) | instskip(NEXT) | instid1(VALU_DEP_1)
	v_pk_add_f32 v[8:9], v[8:9], v[12:13] neg_lo:[0,1] neg_hi:[0,1]
	v_pk_add_f32 v[10:11], v[10:11], v[8:9]
	s_delay_alu instid0(VALU_DEP_1) | instskip(NEXT) | instid1(VALU_DEP_1)
	v_mov_b32_e32 v12, v11
	v_pk_add_f32 v[12:13], v[10:11], v[12:13]
	s_delay_alu instid0(VALU_DEP_1) | instskip(NEXT) | instid1(VALU_DEP_1)
	v_pk_add_f32 v[14:15], v[14:15], v[12:13]
	v_dual_mov_b32 v7, v17 :: v_dual_mov_b32 v11, v14
	s_delay_alu instid0(VALU_DEP_1) | instskip(NEXT) | instid1(VALU_DEP_1)
	v_pk_add_f32 v[16:17], v[10:11], v[6:7] neg_lo:[0,1] neg_hi:[0,1]
	v_dual_mov_b32 v9, v12 :: v_dual_sub_f32 v7, v10, v16
	s_delay_alu instid0(VALU_DEP_1) | instskip(NEXT) | instid1(VALU_DEP_2)
	v_pk_add_f32 v[8:9], v[8:9], v[16:17] neg_lo:[0,1] neg_hi:[0,1]
	v_sub_f32_e32 v6, v6, v7
	s_delay_alu instid0(VALU_DEP_1) | instskip(NEXT) | instid1(VALU_DEP_1)
	v_add_f32_e32 v6, v8, v6
	v_add_f32_e32 v6, v6, v9
	s_delay_alu instid0(VALU_DEP_1) | instskip(NEXT) | instid1(VALU_DEP_1)
	v_add_f32_e32 v7, v14, v6
	v_dual_sub_f32 v8, v7, v14 :: v_dual_mul_f32 v9, v5, v7
	s_delay_alu instid0(VALU_DEP_1) | instskip(SKIP_1) | instid1(VALU_DEP_2)
	v_dual_fma_f32 v7, v5, v7, -v9 :: v_dual_sub_f32 v6, v6, v8
	v_cmp_class_f32_e64 vcc_lo, v9, 0x204
	v_fmac_f32_e32 v7, v5, v6
	s_delay_alu instid0(VALU_DEP_1) | instskip(NEXT) | instid1(VALU_DEP_1)
	v_add_f32_e32 v6, v9, v7
	v_cndmask_b32_e32 v8, v6, v9, vcc_lo
	s_delay_alu instid0(VALU_DEP_1) | instskip(SKIP_2) | instid1(VALU_DEP_2)
	v_cmp_eq_f32_e32 vcc_lo, 0x42b17218, v8
	v_cndmask_b32_e64 v10, 0, 0x37000000, vcc_lo
	v_cmp_neq_f32_e64 vcc_lo, 0x7f800000, |v8|
	v_sub_f32_e32 v11, v8, v10
	v_trunc_f32_e32 v8, v5
	s_delay_alu instid0(VALU_DEP_2) | instskip(NEXT) | instid1(VALU_DEP_1)
	v_mul_f32_e32 v12, 0x3fb8aa3b, v11
	v_fma_f32 v13, 0x3fb8aa3b, v11, -v12
	v_rndne_f32_e32 v14, v12
	s_delay_alu instid0(VALU_DEP_1) | instskip(SKIP_1) | instid1(VALU_DEP_1)
	v_dual_fmamk_f32 v13, v11, 0x32a5705f, v13 :: v_dual_sub_f32 v12, v12, v14
	v_sub_f32_e32 v6, v6, v9
	v_dual_add_f32 v12, v12, v13 :: v_dual_sub_f32 v6, v7, v6
	s_delay_alu instid0(VALU_DEP_1) | instskip(SKIP_2) | instid1(VALU_DEP_3)
	v_exp_f32_e32 v9, v12
	v_nop
	v_cvt_i32_f32_e32 v12, v14
	v_cndmask_b32_e32 v6, 0, v6, vcc_lo
	v_cmp_ngt_f32_e32 vcc_lo, 0xc2ce8ed0, v11
	s_delay_alu instid0(TRANS32_DEP_1) | instid1(VALU_DEP_3)
	v_ldexp_f32 v7, v9, v12
	s_delay_alu instid0(VALU_DEP_3) | instskip(NEXT) | instid1(VALU_DEP_2)
	v_dual_mul_f32 v9, 0.5, v5 :: v_dual_add_f32 v6, v10, v6
	v_cndmask_b32_e32 v7, 0, v7, vcc_lo
	s_delay_alu instid0(VALU_DEP_2) | instskip(SKIP_1) | instid1(VALU_DEP_2)
	v_trunc_f32_e32 v12, v9
	v_cmp_nlt_f32_e32 vcc_lo, 0x42b17218, v11
	v_cmp_neq_f32_e64 s2, v12, v9
	s_delay_alu instid0(VALU_DEP_4) | instskip(SKIP_1) | instid1(VALU_DEP_2)
	v_cndmask_b32_e32 v7, 0x7f800000, v7, vcc_lo
	v_cmp_eq_f32_e32 vcc_lo, v8, v5
	v_cmp_class_f32_e64 s3, v7, 0x204
	s_and_b32 s2, vcc_lo, s2
	s_delay_alu instid0(SALU_CYCLE_1) | instskip(NEXT) | instid1(VALU_DEP_1)
	v_dual_fma_f32 v6, v7, v6, v7 :: v_dual_cndmask_b32 v8, 1.0, v4, s2
	v_cndmask_b32_e64 v6, v6, v7, s3
	v_cmp_gt_f32_e64 s3, 0, v5
	s_delay_alu instid0(VALU_DEP_2)
	v_bfi_b32 v5, 0x7fffffff, v6, v8
	s_xor_b32 s3, s3, s4
	v_cndmask_b32_e64 v8, 0, v4, s2
	v_cndmask_b32_e64 v6, 0x7f800000, 0, s3
	v_cmp_class_f32_e64 s2, v4, 0x204
	v_cndmask_b32_e32 v7, 0x7fc00000, v5, vcc_lo
	v_cmp_gt_f32_e32 vcc_lo, 0, v4
	s_delay_alu instid0(VALU_DEP_4) | instskip(NEXT) | instid1(VALU_DEP_3)
	v_bfi_b32 v6, 0x7fffffff, v6, v8
	v_cndmask_b32_e32 v5, v5, v7, vcc_lo
	s_or_b32 vcc_lo, s4, s2
	s_delay_alu instid0(VALU_DEP_1) | instskip(SKIP_3) | instid1(VALU_DEP_3)
	v_cndmask_b32_e32 v5, v5, v6, vcc_lo
	v_cmp_o_f32_e32 vcc_lo, v4, v4
	s_wait_loadcnt 0x0
	v_cvt_f32_i32_e32 v6, v22
	v_cndmask_b32_e32 v4, 0x7fc00000, v5, vcc_lo
	s_delay_alu instid0(VALU_DEP_1) | instskip(SKIP_1) | instid1(VALU_DEP_1)
	v_mul_f32_e32 v7, v4, v6
	s_or_b32 exec_lo, exec_lo, s6
	v_mul_f32_e32 v4, s12, v7
	s_cmp_eq_f32 s13, 0
	s_cbranch_scc0 .LBB12_10
.LBB12_6:
	v_mov_b32_e32 v5, s14
	s_branch .LBB12_11
.LBB12_7:
	s_mov_b32 s3, 0
                                        ; implicit-def: $vgpr4
                                        ; implicit-def: $vgpr6
.LBB12_8:
	s_delay_alu instid0(SALU_CYCLE_1)
	s_or_not1_b32 s20, s3, exec_lo
	s_or_b32 exec_lo, exec_lo, s4
	v_mov_b32_e32 v7, 0
	s_and_saveexec_b32 s6, s20
	s_cbranch_execnz .LBB12_5
.LBB12_9:
	s_or_b32 exec_lo, exec_lo, s6
	s_wait_kmcnt 0x0
	v_mul_f32_e32 v4, s12, v7
	s_cmp_eq_f32 s13, 0
	s_cbranch_scc1 .LBB12_6
.LBB12_10:
	v_div_scale_f32 v8, null, s12, s12, 1.0
	v_cvt_f32_i32_e32 v5, v0
	s_sub_f32 s2, s18, s15
	s_delay_alu instid0(VALU_DEP_2)
	v_rcp_f32_e32 v10, v8
	v_nop
	v_xor_b32_e32 v8, 0x80000000, v8
	s_max_num_f32 s3, s2, 0x3a83126f
	s_delay_alu instid0(TRANS32_DEP_1) | instid1(VALU_DEP_1)
	v_fma_f32 v12, v8, v10, 1.0
	s_delay_alu instid0(VALU_DEP_1)
	v_dual_subrev_f32 v5, s15, v5 :: v_dual_fmac_f32 v10, v12, v10
	s_delay_alu instid0(VALU_DEP_1) | instid1(SALU_CYCLE_1)
	v_div_scale_f32 v6, null, s3, s3, v5
	v_div_scale_f32 v13, vcc_lo, v5, s3, v5
	s_delay_alu instid0(VALU_DEP_2) | instskip(SKIP_1) | instid1(TRANS32_DEP_1)
	v_rcp_f32_e32 v9, v6
	v_nop
	v_fma_f32 v11, -v6, v9, 1.0
	s_delay_alu instid0(VALU_DEP_1) | instskip(SKIP_1) | instid1(VALU_DEP_1)
	v_fmac_f32_e32 v9, v11, v9
	v_div_scale_f32 v11, s2, 1.0, s12, 1.0
	v_dual_mul_f32 v14, v11, v10 :: v_dual_mul_f32 v12, v13, v9
	s_delay_alu instid0(VALU_DEP_1) | instskip(NEXT) | instid1(VALU_DEP_1)
	v_dual_fma_f32 v16, v8, v14, v11 :: v_dual_fma_f32 v15, -v6, v12, v13
	v_dual_fmac_f32 v14, v16, v10 :: v_dual_fmac_f32 v12, v15, v9
	s_delay_alu instid0(VALU_DEP_1) | instskip(NEXT) | instid1(VALU_DEP_1)
	v_dual_fmac_f32 v11, v8, v14 :: v_dual_fma_f32 v6, -v6, v12, v13
	v_div_fmas_f32 v6, v6, v9, v12
	s_mov_b32 vcc_lo, s2
	s_delay_alu instid0(VALU_DEP_2) | instskip(NEXT) | instid1(VALU_DEP_2)
	v_div_fmas_f32 v8, v11, v10, v14
	v_div_fixup_f32 v5, v6, s3, v5 clamp
	s_delay_alu instid0(VALU_DEP_2) | instskip(NEXT) | instid1(VALU_DEP_2)
	v_div_fixup_f32 v8, v8, s12, 1.0
	v_sub_f32_e32 v5, 1.0, v5
	s_delay_alu instid0(VALU_DEP_2) | instskip(SKIP_2) | instid1(SALU_CYCLE_1)
	v_readfirstlane_b32 s2, v8
	s_cmp_lt_f32 s2, 0x800000
	s_cselect_b32 s2, 0x4f800000, 1.0
	v_mul_f32_e32 v8, s2, v8
	s_cselect_b32 s2, 0x41b17218, 0
	s_delay_alu instid0(VALU_DEP_1) | instskip(SKIP_1) | instid1(TRANS32_DEP_1)
	v_log_f32_e32 v8, v8
	v_nop
	v_mul_f32_e32 v9, 0x3f317217, v8
	v_and_b32_e32 v6, 0x7fffffff, v8
	s_delay_alu instid0(VALU_DEP_2) | instskip(NEXT) | instid1(VALU_DEP_2)
	v_xor_b32_e32 v9, 0x80000000, v9
	v_cmp_gt_f32_e32 vcc_lo, 0x7f800000, v6
	s_delay_alu instid0(VALU_DEP_2) | instskip(NEXT) | instid1(VALU_DEP_1)
	v_fmac_f32_e32 v9, 0x3f317217, v8
	v_fmamk_f32 v9, v8, 0x3377d1cf, v9
	s_delay_alu instid0(VALU_DEP_1) | instskip(NEXT) | instid1(VALU_DEP_1)
	v_fmac_f32_e32 v9, 0x3f317217, v8
	v_dual_cndmask_b32 v6, v8, v9 :: v_dual_mov_b32 v9, 1.0
	v_fma_f32 v8, -s13, v5, 1.0
	s_delay_alu instid0(VALU_DEP_2) | instskip(NEXT) | instid1(VALU_DEP_2)
	v_dual_subrev_f32 v6, s2, v6 :: v_dual_mul_f32 v5, s13, v5
	v_mul_f32_e32 v4, v8, v4
	s_delay_alu instid0(VALU_DEP_2) | instskip(NEXT) | instid1(VALU_DEP_1)
	v_fmamk_f32 v6, v6, 0x3dcccccd, v9
	v_dual_fmac_f32 v4, v5, v7 :: v_dual_mul_f32 v5, s14, v6
.LBB12_11:
	s_delay_alu instid0(VALU_DEP_1) | instskip(SKIP_1) | instid1(VALU_DEP_2)
	v_and_b32_e32 v6, 0x7fffffff, v4
	v_cmp_ngt_f32_e64 s4, 0x48000000, |v4|
                                        ; implicit-def: $vgpr8
                                        ; implicit-def: $vgpr7
	v_lshrrev_b32_e32 v9, 23, v6
	s_and_saveexec_b32 s2, s4
	s_delay_alu instid0(SALU_CYCLE_1)
	s_xor_b32 s6, exec_lo, s2
	s_cbranch_execz .LBB12_13
; %bb.12:
	s_mov_b32 s2, 0x7fffff
	v_mov_b32_e32 v11, 0
	v_and_or_b32 v10, v6, s2, 0x800000
	s_mov_b64 s[2:3], 0xfe5163ab
	v_add_nc_u32_e32 v7, 0xffffff88, v9
	s_delay_alu instid0(VALU_DEP_2) | instskip(NEXT) | instid1(VALU_DEP_2)
	v_mul_u64_e32 v[12:13], s[2:3], v[10:11]
	v_cmp_lt_u32_e32 vcc_lo, 63, v7
	v_cndmask_b32_e64 v8, 0, 0xffffffc0, vcc_lo
	s_delay_alu instid0(VALU_DEP_3) | instskip(SKIP_2) | instid1(VALU_DEP_3)
	v_dual_mov_b32 v14, v13 :: v_dual_mov_b32 v15, v11
	v_dual_mov_b32 v17, v11 :: v_dual_mov_b32 v19, v11
	;; [unrolled: 1-line block ×3, first 2 shown]
	v_mad_nc_u64_u32 v[14:15], 0x3c439041, v10, v[14:15]
	v_dual_add_nc_u32 v7, v8, v7 :: v_dual_mov_b32 v25, v11
	s_delay_alu instid0(VALU_DEP_1) | instskip(NEXT) | instid1(VALU_DEP_3)
	v_cmp_lt_u32_e64 s2, 31, v7
	v_mov_b32_e32 v16, v15
	s_delay_alu instid0(VALU_DEP_2) | instskip(NEXT) | instid1(VALU_DEP_2)
	v_cndmask_b32_e64 v8, 0, 0xffffffe0, s2
	v_mad_nc_u64_u32 v[16:17], 0xdb629599, v10, v[16:17]
	s_delay_alu instid0(VALU_DEP_2) | instskip(NEXT) | instid1(VALU_DEP_1)
	v_add_nc_u32_e32 v7, v8, v7
	v_cmp_lt_u32_e64 s3, 31, v7
	s_delay_alu instid0(VALU_DEP_3) | instskip(NEXT) | instid1(VALU_DEP_2)
	v_mov_b32_e32 v18, v17
	v_cndmask_b32_e64 v8, 0, 0xffffffe0, s3
	v_cndmask_b32_e32 v12, v16, v12, vcc_lo
	s_delay_alu instid0(VALU_DEP_3) | instskip(NEXT) | instid1(VALU_DEP_1)
	v_mad_nc_u64_u32 v[18:19], 0xf534ddc0, v10, v[18:19]
	v_dual_cndmask_b32 v8, v18, v14 :: v_dual_add_nc_u32 v7, v8, v7
	s_delay_alu instid0(VALU_DEP_2) | instskip(NEXT) | instid1(VALU_DEP_1)
	v_mov_b32_e32 v20, v19
	v_mad_nc_u64_u32 v[20:21], 0xfc2757d1, v10, v[20:21]
	s_delay_alu instid0(VALU_DEP_1) | instskip(NEXT) | instid1(VALU_DEP_1)
	v_dual_mov_b32 v22, v21 :: v_dual_cndmask_b32 v15, v20, v16
	v_mad_nc_u64_u32 v[22:23], 0x4e441529, v10, v[22:23]
	s_delay_alu instid0(VALU_DEP_1) | instskip(NEXT) | instid1(VALU_DEP_1)
	v_dual_mov_b32 v24, v23 :: v_dual_cndmask_b32 v13, v22, v18
	v_mad_nc_u64_u32 v[10:11], 0xa2f9836e, v10, v[24:25]
	s_delay_alu instid0(VALU_DEP_1) | instskip(SKIP_1) | instid1(VALU_DEP_2)
	v_dual_cndmask_b32 v10, v10, v20 :: v_dual_cndmask_b32 v11, v11, v22
	v_cmp_eq_u32_e32 vcc_lo, 0, v7
	v_dual_cndmask_b32 v14, v10, v13, s2 :: v_dual_cndmask_b32 v10, v11, v10, s2
	v_dual_cndmask_b32 v11, v13, v15, s2 :: v_dual_cndmask_b32 v15, v15, v8, s2
	v_dual_sub_nc_u32 v13, 32, v7 :: v_dual_cndmask_b32 v8, v8, v12, s2
	s_delay_alu instid0(VALU_DEP_3) | instskip(NEXT) | instid1(VALU_DEP_2)
	v_cndmask_b32_e64 v10, v10, v14, s3
	v_dual_cndmask_b32 v14, v14, v11, s3 :: v_dual_cndmask_b32 v8, v15, v8, s3
	s_delay_alu instid0(VALU_DEP_1) | instskip(NEXT) | instid1(VALU_DEP_1)
	v_alignbit_b32 v17, v10, v14, v13
	v_dual_cndmask_b32 v11, v11, v15, s3 :: v_dual_cndmask_b32 v7, v17, v10, vcc_lo
	s_delay_alu instid0(VALU_DEP_1) | instskip(NEXT) | instid1(VALU_DEP_4)
	v_alignbit_b32 v16, v14, v11, v13
	v_alignbit_b32 v13, v11, v8, v13
	s_delay_alu instid0(VALU_DEP_3) | instskip(NEXT) | instid1(VALU_DEP_2)
	v_bfe_u32 v12, v7, 29, 1
	v_dual_cndmask_b32 v10, v16, v14 :: v_dual_cndmask_b32 v11, v13, v11
	s_delay_alu instid0(VALU_DEP_2) | instskip(NEXT) | instid1(VALU_DEP_2)
	v_sub_nc_u32_e32 v15, 0, v12
	v_alignbit_b32 v14, v7, v10, 30
	s_delay_alu instid0(VALU_DEP_3) | instskip(SKIP_1) | instid1(VALU_DEP_3)
	v_alignbit_b32 v10, v10, v11, 30
	v_alignbit_b32 v8, v11, v8, 30
	v_xor_b32_e32 v14, v14, v15
	s_delay_alu instid0(VALU_DEP_2) | instskip(NEXT) | instid1(VALU_DEP_2)
	v_xor_b32_e32 v8, v8, v15
	v_clz_i32_u32_e32 v13, v14
	s_delay_alu instid0(VALU_DEP_1) | instskip(NEXT) | instid1(VALU_DEP_1)
	v_min_u32_e32 v13, 32, v13
	v_dual_lshlrev_b32 v16, 23, v13 :: v_dual_bitop2_b32 v10, v10, v15 bitop3:0x14
	v_sub_nc_u32_e32 v11, 31, v13
	s_delay_alu instid0(VALU_DEP_1) | instskip(SKIP_2) | instid1(VALU_DEP_1)
	v_alignbit_b32 v14, v14, v10, v11
	v_lshrrev_b32_e32 v15, 29, v7
	v_alignbit_b32 v8, v10, v8, v11
	v_alignbit_b32 v11, v14, v8, 9
	s_delay_alu instid0(VALU_DEP_3) | instskip(NEXT) | instid1(VALU_DEP_2)
	v_dual_lshrrev_b32 v14, 9, v14 :: v_dual_lshlrev_b32 v10, 31, v15
	v_clz_i32_u32_e32 v17, v11
	s_delay_alu instid0(VALU_DEP_2) | instskip(SKIP_1) | instid1(VALU_DEP_2)
	v_or_b32_e32 v15, 0.5, v10
	v_or_b32_e32 v10, 0x33000000, v10
	v_sub_nc_u32_e32 v15, v15, v16
	s_delay_alu instid0(VALU_DEP_4) | instskip(NEXT) | instid1(VALU_DEP_1)
	v_min_u32_e32 v16, 32, v17
	v_add_lshl_u32 v13, v16, v13, 23
	s_delay_alu instid0(VALU_DEP_1) | instskip(NEXT) | instid1(VALU_DEP_4)
	v_sub_nc_u32_e32 v10, v10, v13
	v_or_b32_e32 v14, v14, v15
	v_not_b32_e32 v15, v16
	s_delay_alu instid0(VALU_DEP_1) | instskip(NEXT) | instid1(VALU_DEP_1)
	v_alignbit_b32 v8, v11, v8, v15
	v_dual_mul_f32 v17, 0x3fc90fda, v14 :: v_dual_lshrrev_b32 v8, 9, v8
	s_delay_alu instid0(VALU_DEP_1) | instskip(NEXT) | instid1(VALU_DEP_2)
	v_or_b32_e32 v8, v10, v8
	v_fma_f32 v11, 0x3fc90fda, v14, -v17
	s_delay_alu instid0(VALU_DEP_1) | instskip(NEXT) | instid1(VALU_DEP_1)
	v_fmamk_f32 v11, v14, 0x33a22168, v11
	v_dual_fmac_f32 v11, 0x3fc90fda, v8 :: v_dual_lshrrev_b32 v8, 30, v7
	s_delay_alu instid0(VALU_DEP_1)
	v_dual_add_f32 v7, v17, v11 :: v_dual_add_nc_u32 v8, v12, v8
	s_or_saveexec_b32 s2, s6
	v_mul_f32_e64 v12, 0x3f22f983, |v4|
	s_xor_b32 exec_lo, exec_lo, s2
	s_branch .LBB12_14
.LBB12_13:
	s_or_saveexec_b32 s2, s6
	v_mul_f32_e64 v12, 0x3f22f983, |v4|
	s_xor_b32 exec_lo, exec_lo, s2
.LBB12_14:
	s_delay_alu instid0(VALU_DEP_1) | instskip(NEXT) | instid1(VALU_DEP_1)
	v_rndne_f32_e32 v8, v12
	v_fma_f32 v7, 0xbfc90fda, v8, |v4|
	s_delay_alu instid0(VALU_DEP_1) | instskip(NEXT) | instid1(VALU_DEP_1)
	v_fmamk_f32 v7, v8, 0xb3a22168, v7
	v_fmamk_f32 v7, v8, 0xa7c234c4, v7
	v_cvt_i32_f32_e32 v8, v8
; %bb.15:
	s_or_b32 exec_lo, exec_lo, s2
                                        ; implicit-def: $vgpr11
                                        ; implicit-def: $vgpr10
	s_and_saveexec_b32 s2, s4
	s_delay_alu instid0(SALU_CYCLE_1)
	s_xor_b32 s4, exec_lo, s2
	s_cbranch_execz .LBB12_17
; %bb.16:
	s_mov_b32 s2, 0x7fffff
	v_mov_b32_e32 v11, 0
	v_and_or_b32 v10, v6, s2, 0x800000
	s_mov_b64 s[2:3], 0xfe5163ab
	v_add_nc_u32_e32 v9, 0xffffff88, v9
	s_delay_alu instid0(VALU_DEP_2) | instskip(NEXT) | instid1(VALU_DEP_2)
	v_mul_u64_e32 v[12:13], s[2:3], v[10:11]
	v_cmp_lt_u32_e32 vcc_lo, 63, v9
	s_delay_alu instid0(VALU_DEP_2) | instskip(SKIP_2) | instid1(VALU_DEP_3)
	v_dual_mov_b32 v14, v13 :: v_dual_mov_b32 v15, v11
	v_dual_mov_b32 v17, v11 :: v_dual_mov_b32 v19, v11
	;; [unrolled: 1-line block ×3, first 2 shown]
	v_mad_nc_u64_u32 v[14:15], 0x3c439041, v10, v[14:15]
	v_cndmask_b32_e64 v13, 0, 0xffffffc0, vcc_lo
	s_delay_alu instid0(VALU_DEP_1) | instskip(NEXT) | instid1(VALU_DEP_3)
	v_dual_mov_b32 v25, v11 :: v_dual_add_nc_u32 v9, v13, v9
	v_mov_b32_e32 v16, v15
	s_delay_alu instid0(VALU_DEP_2) | instskip(NEXT) | instid1(VALU_DEP_2)
	v_cmp_lt_u32_e64 s2, 31, v9
	v_mad_nc_u64_u32 v[16:17], 0xdb629599, v10, v[16:17]
	s_delay_alu instid0(VALU_DEP_2) | instskip(NEXT) | instid1(VALU_DEP_1)
	v_cndmask_b32_e64 v13, 0, 0xffffffe0, s2
	v_add_nc_u32_e32 v9, v13, v9
	s_delay_alu instid0(VALU_DEP_3) | instskip(NEXT) | instid1(VALU_DEP_2)
	v_mov_b32_e32 v18, v17
	v_cmp_lt_u32_e64 s3, 31, v9
	v_cndmask_b32_e32 v12, v16, v12, vcc_lo
	s_delay_alu instid0(VALU_DEP_3) | instskip(NEXT) | instid1(VALU_DEP_3)
	v_mad_nc_u64_u32 v[18:19], 0xf534ddc0, v10, v[18:19]
	v_cndmask_b32_e64 v13, 0, 0xffffffe0, s3
	s_delay_alu instid0(VALU_DEP_1) | instskip(NEXT) | instid1(VALU_DEP_3)
	v_dual_add_nc_u32 v9, v13, v9 :: v_dual_cndmask_b32 v13, v18, v14, vcc_lo
	v_mov_b32_e32 v20, v19
	s_delay_alu instid0(VALU_DEP_1) | instskip(NEXT) | instid1(VALU_DEP_1)
	v_mad_nc_u64_u32 v[20:21], 0xfc2757d1, v10, v[20:21]
	v_dual_mov_b32 v22, v21 :: v_dual_cndmask_b32 v17, v20, v16
	s_delay_alu instid0(VALU_DEP_1) | instskip(NEXT) | instid1(VALU_DEP_1)
	v_mad_nc_u64_u32 v[22:23], 0x4e441529, v10, v[22:23]
	v_dual_mov_b32 v24, v23 :: v_dual_cndmask_b32 v15, v22, v18
	s_delay_alu instid0(VALU_DEP_1) | instskip(NEXT) | instid1(VALU_DEP_1)
	v_mad_nc_u64_u32 v[10:11], 0xa2f9836e, v10, v[24:25]
	v_dual_cndmask_b32 v10, v10, v20 :: v_dual_cndmask_b32 v11, v11, v22
	v_cmp_eq_u32_e32 vcc_lo, 0, v9
	s_delay_alu instid0(VALU_DEP_2) | instskip(SKIP_2) | instid1(VALU_DEP_3)
	v_dual_cndmask_b32 v14, v10, v15, s2 :: v_dual_cndmask_b32 v10, v11, v10, s2
	v_cndmask_b32_e64 v11, v15, v17, s2
	v_sub_nc_u32_e32 v15, 32, v9
	v_dual_cndmask_b32 v17, v17, v13, s2 :: v_dual_cndmask_b32 v10, v10, v14, s3
	s_delay_alu instid0(VALU_DEP_3) | instskip(NEXT) | instid1(VALU_DEP_1)
	v_cndmask_b32_e64 v14, v14, v11, s3
	v_alignbit_b32 v18, v10, v14, v15
	s_delay_alu instid0(VALU_DEP_1) | instskip(NEXT) | instid1(VALU_DEP_1)
	v_dual_cndmask_b32 v11, v11, v17, s3 :: v_dual_cndmask_b32 v9, v18, v10, vcc_lo
	v_alignbit_b32 v16, v14, v11, v15
	v_cndmask_b32_e64 v10, v13, v12, s2
	s_delay_alu instid0(VALU_DEP_3) | instskip(NEXT) | instid1(VALU_DEP_3)
	v_bfe_u32 v13, v9, 29, 1
	v_cndmask_b32_e32 v12, v16, v14, vcc_lo
	s_delay_alu instid0(VALU_DEP_2) | instskip(NEXT) | instid1(VALU_DEP_2)
	v_dual_cndmask_b32 v10, v17, v10, s3 :: v_dual_sub_nc_u32 v16, 0, v13
	v_alignbit_b32 v14, v9, v12, 30
	s_delay_alu instid0(VALU_DEP_2) | instskip(NEXT) | instid1(VALU_DEP_1)
	v_alignbit_b32 v15, v11, v10, v15
	v_dual_cndmask_b32 v11, v15, v11, vcc_lo :: v_dual_bitop2_b32 v14, v14, v16 bitop3:0x14
	s_delay_alu instid0(VALU_DEP_1) | instskip(NEXT) | instid1(VALU_DEP_2)
	v_clz_i32_u32_e32 v15, v14
	v_alignbit_b32 v12, v12, v11, 30
	v_alignbit_b32 v10, v11, v10, 30
	s_delay_alu instid0(VALU_DEP_3) | instskip(NEXT) | instid1(VALU_DEP_3)
	v_min_u32_e32 v15, 32, v15
	v_xor_b32_e32 v11, v12, v16
	s_delay_alu instid0(VALU_DEP_3) | instskip(NEXT) | instid1(VALU_DEP_3)
	v_dual_lshrrev_b32 v16, 29, v9 :: v_dual_bitop2_b32 v10, v10, v16 bitop3:0x14
	v_dual_lshrrev_b32 v9, 30, v9 :: v_dual_sub_nc_u32 v12, 31, v15
	v_lshlrev_b32_e32 v17, 23, v15
	s_delay_alu instid0(VALU_DEP_2) | instskip(NEXT) | instid1(VALU_DEP_4)
	v_alignbit_b32 v14, v14, v11, v12
	v_alignbit_b32 v10, v11, v10, v12
	v_lshlrev_b32_e32 v11, 31, v16
	s_delay_alu instid0(VALU_DEP_2) | instskip(NEXT) | instid1(VALU_DEP_2)
	v_alignbit_b32 v12, v14, v10, 9
	v_dual_lshrrev_b32 v14, 9, v14 :: v_dual_bitop2_b32 v16, 0.5, v11 bitop3:0x54
	v_or_b32_e32 v11, 0x33000000, v11
	s_delay_alu instid0(VALU_DEP_3) | instskip(NEXT) | instid1(VALU_DEP_3)
	v_clz_i32_u32_e32 v18, v12
	v_sub_nc_u32_e32 v16, v16, v17
	s_delay_alu instid0(VALU_DEP_2) | instskip(NEXT) | instid1(VALU_DEP_1)
	v_min_u32_e32 v17, 32, v18
	v_add_lshl_u32 v15, v17, v15, 23
	s_delay_alu instid0(VALU_DEP_1) | instskip(SKIP_1) | instid1(VALU_DEP_1)
	v_dual_sub_nc_u32 v11, v11, v15 :: v_dual_bitop2_b32 v14, v14, v16 bitop3:0x54
	v_not_b32_e32 v16, v17
	v_alignbit_b32 v10, v12, v10, v16
	s_delay_alu instid0(VALU_DEP_1) | instskip(NEXT) | instid1(VALU_DEP_4)
	v_lshrrev_b32_e32 v10, 9, v10
	v_mul_f32_e32 v18, 0x3fc90fda, v14
	s_delay_alu instid0(VALU_DEP_2) | instskip(NEXT) | instid1(VALU_DEP_2)
	v_or_b32_e32 v10, v11, v10
	v_fma_f32 v12, 0x3fc90fda, v14, -v18
	s_delay_alu instid0(VALU_DEP_1) | instskip(NEXT) | instid1(VALU_DEP_1)
	v_dual_fmamk_f32 v12, v14, 0x33a22168, v12 :: v_dual_add_nc_u32 v11, v13, v9
	v_fmac_f32_e32 v12, 0x3fc90fda, v10
	s_delay_alu instid0(VALU_DEP_1)
	v_add_f32_e32 v10, v18, v12
                                        ; implicit-def: $vgpr12
	s_and_not1_saveexec_b32 s2, s4
	s_cbranch_execnz .LBB12_18
	s_branch .LBB12_19
.LBB12_17:
	s_and_not1_saveexec_b32 s2, s4
.LBB12_18:
	v_rndne_f32_e32 v9, v12
	s_delay_alu instid0(VALU_DEP_1) | instskip(SKIP_1) | instid1(VALU_DEP_2)
	v_fma_f32 v10, 0xbfc90fda, v9, |v4|
	v_cvt_i32_f32_e32 v11, v9
	v_fmamk_f32 v10, v9, 0xb3a22168, v10
	s_delay_alu instid0(VALU_DEP_1)
	v_fmamk_f32 v10, v9, 0xa7c234c4, v10
.LBB12_19:
	s_or_b32 exec_lo, exec_lo, s2
	v_mad_u32 v9, v1, s9, v0
	v_mul_lo_u32 v12, v2, s5
	s_load_b128 s[0:3], s[0:1], 0x0
	s_ashr_i32 s5, s17, 31
	s_mov_b32 s4, s17
	v_mad_u32 v0, v1, s16, v0
	s_lshl_b64 s[4:5], s[4:5], 1
	v_dual_lshlrev_b32 v11, 30, v11 :: v_dual_bitop2_b32 v1, 1, v11 bitop3:0x40
	s_delay_alu instid0(VALU_DEP_4) | instskip(NEXT) | instid1(VALU_DEP_4)
	v_mad_u32 v9, v2, s8, v9
	v_sub_nc_u32_e32 v3, v3, v12
	s_delay_alu instid0(VALU_DEP_3) | instskip(SKIP_1) | instid1(VALU_DEP_3)
	v_and_b32_e32 v11, 0x80000000, v11
	v_mad_u32 v0, v2, s11, v0
	v_mad_u32 v12, v3, s7, v9
	s_delay_alu instid0(VALU_DEP_1) | instskip(NEXT) | instid1(VALU_DEP_3)
	v_ashrrev_i32_e32 v13, 31, v12
	v_mad_u32 v0, v3, s10, v0
	s_wait_kmcnt 0x0
	s_delay_alu instid0(VALU_DEP_2) | instskip(NEXT) | instid1(VALU_DEP_1)
	v_lshl_add_u64 v[14:15], v[12:13], 1, s[0:1]
	v_add_nc_u64_e32 v[14:15], s[4:5], v[14:15]
	s_clause 0x1
	global_load_u16 v9, v[14:15], off
	global_load_u16 v13, v12, s[0:1] scale_offset
	s_wait_xcnt 0x0
	v_dual_mul_f32 v12, v7, v7 :: v_dual_bitop2_b32 v14, 1, v8 bitop3:0x40
	s_mov_b32 s0, 0xb94c1982
	v_dual_mul_f32 v15, v10, v10 :: v_dual_lshlrev_b32 v8, 30, v8
	s_delay_alu instid0(VALU_DEP_2) | instskip(SKIP_2) | instid1(VALU_DEP_2)
	v_fmaak_f32 v16, s0, v12, 0x3c0881c4
	s_mov_b32 s1, 0x37d75334
	v_cmp_eq_u32_e32 vcc_lo, 0, v14
	v_fmaak_f32 v16, v12, v16, 0xbe2aaa9d
	s_delay_alu instid0(VALU_DEP_1) | instskip(SKIP_1) | instid1(VALU_DEP_2)
	v_dual_fmaak_f32 v19, s1, v15, 0xbab64f3b :: v_dual_mul_f32 v16, v12, v16
	v_fmaak_f32 v18, s0, v15, 0x3c0881c4
	v_fmaak_f32 v19, v15, v19, 0x3d2aabf7
	s_delay_alu instid0(VALU_DEP_3) | instskip(NEXT) | instid1(VALU_DEP_3)
	v_fmac_f32_e32 v7, v7, v16
	v_fmaak_f32 v18, v15, v18, 0xbe2aaa9d
	v_fmaak_f32 v17, s1, v12, 0xbab64f3b
	s_delay_alu instid0(VALU_DEP_2) | instskip(NEXT) | instid1(VALU_DEP_1)
	v_dual_fmaak_f32 v19, v15, v19, 0xbf000004 :: v_dual_mul_f32 v18, v15, v18
	v_dual_fmaak_f32 v17, v12, v17, 0x3d2aabf7 :: v_dual_fmac_f32 v10, v10, v18
	s_delay_alu instid0(VALU_DEP_1) | instskip(NEXT) | instid1(VALU_DEP_1)
	v_fmaak_f32 v17, v12, v17, 0xbf000004
	v_fma_f32 v2, v12, v17, 1.0
	v_xor_b32_e32 v6, v6, v4
	v_fma_f32 v12, v15, v19, 1.0
	s_delay_alu instid0(VALU_DEP_3) | instskip(SKIP_1) | instid1(VALU_DEP_2)
	v_cndmask_b32_e64 v2, -v7, v2, vcc_lo
	v_cmp_eq_u32_e32 vcc_lo, 0, v1
	v_bitop3_b32 v2, v8, v2, 0x80000000 bitop3:0x6c
	s_delay_alu instid0(VALU_DEP_4) | instskip(SKIP_1) | instid1(VALU_DEP_2)
	v_cndmask_b32_e32 v1, v12, v10, vcc_lo
	v_cmp_class_f32_e64 vcc_lo, v4, 0x1f8
	v_xor3_b32 v1, v6, v11, v1
	s_wait_loadcnt 0x1
	v_cvt_f32_f16_e32 v7, v9
	s_wait_loadcnt 0x0
	v_cvt_f32_f16_e32 v8, v13
	v_cndmask_b32_e32 v4, 0x7fc00000, v2, vcc_lo
	v_dual_cndmask_b32 v2, 0x7fc00000, v1 :: v_dual_ashrrev_i32 v1, 31, v0
	s_delay_alu instid0(VALU_DEP_1) | instskip(NEXT) | instid1(VALU_DEP_2)
	v_mul_f32_e32 v6, v5, v2
	v_lshl_add_u64 v[2:3], v[0:1], 1, s[2:3]
	s_delay_alu instid0(VALU_DEP_2) | instskip(SKIP_1) | instid1(VALU_DEP_3)
	v_dual_mul_f32 v1, v5, v4 :: v_dual_mul_f32 v4, v6, v7
	v_mul_f32_e32 v5, v6, v8
	v_add_nc_u64_e32 v[2:3], s[4:5], v[2:3]
	s_delay_alu instid0(VALU_DEP_3) | instskip(NEXT) | instid1(VALU_DEP_3)
	v_fma_mixlo_f16 v4, v1, v13, -v4 op_sel_hi:[0,1,0]
	v_fma_mixlo_f16 v1, v1, v9, v5 op_sel_hi:[0,1,0]
	s_clause 0x1
	global_store_b16 v0, v4, s[2:3] scale_offset
	global_store_b16 v[2:3], v1, off
.LBB12_20:
	s_endpgm
	.section	.rodata,"a",@progbits
	.p2align	6, 0x0
	.amdhsa_kernel _ZL11rope_visionILb1ELb0E6__halfEvPKT1_PS1_iiiiiiiiiiPKifff14rope_corr_dimsfPKf14mrope_sections
		.amdhsa_group_segment_fixed_size 0
		.amdhsa_private_segment_fixed_size 0
		.amdhsa_kernarg_size 368
		.amdhsa_user_sgpr_count 2
		.amdhsa_user_sgpr_dispatch_ptr 0
		.amdhsa_user_sgpr_queue_ptr 0
		.amdhsa_user_sgpr_kernarg_segment_ptr 1
		.amdhsa_user_sgpr_dispatch_id 0
		.amdhsa_user_sgpr_kernarg_preload_length 0
		.amdhsa_user_sgpr_kernarg_preload_offset 0
		.amdhsa_user_sgpr_private_segment_size 0
		.amdhsa_wavefront_size32 1
		.amdhsa_uses_dynamic_stack 0
		.amdhsa_enable_private_segment 0
		.amdhsa_system_sgpr_workgroup_id_x 1
		.amdhsa_system_sgpr_workgroup_id_y 1
		.amdhsa_system_sgpr_workgroup_id_z 0
		.amdhsa_system_sgpr_workgroup_info 0
		.amdhsa_system_vgpr_workitem_id 1
		.amdhsa_next_free_vgpr 26
		.amdhsa_next_free_sgpr 21
		.amdhsa_named_barrier_count 0
		.amdhsa_reserve_vcc 1
		.amdhsa_float_round_mode_32 0
		.amdhsa_float_round_mode_16_64 0
		.amdhsa_float_denorm_mode_32 3
		.amdhsa_float_denorm_mode_16_64 3
		.amdhsa_fp16_overflow 0
		.amdhsa_memory_ordered 1
		.amdhsa_forward_progress 1
		.amdhsa_inst_pref_size 37
		.amdhsa_round_robin_scheduling 0
		.amdhsa_exception_fp_ieee_invalid_op 0
		.amdhsa_exception_fp_denorm_src 0
		.amdhsa_exception_fp_ieee_div_zero 0
		.amdhsa_exception_fp_ieee_overflow 0
		.amdhsa_exception_fp_ieee_underflow 0
		.amdhsa_exception_fp_ieee_inexact 0
		.amdhsa_exception_int_div_zero 0
	.end_amdhsa_kernel
	.section	.text._ZL11rope_visionILb1ELb0E6__halfEvPKT1_PS1_iiiiiiiiiiPKifff14rope_corr_dimsfPKf14mrope_sections,"axG",@progbits,_ZL11rope_visionILb1ELb0E6__halfEvPKT1_PS1_iiiiiiiiiiPKifff14rope_corr_dimsfPKf14mrope_sections,comdat
.Lfunc_end12:
	.size	_ZL11rope_visionILb1ELb0E6__halfEvPKT1_PS1_iiiiiiiiiiPKifff14rope_corr_dimsfPKf14mrope_sections, .Lfunc_end12-_ZL11rope_visionILb1ELb0E6__halfEvPKT1_PS1_iiiiiiiiiiPKifff14rope_corr_dimsfPKf14mrope_sections
                                        ; -- End function
	.set _ZL11rope_visionILb1ELb0E6__halfEvPKT1_PS1_iiiiiiiiiiPKifff14rope_corr_dimsfPKf14mrope_sections.num_vgpr, 26
	.set _ZL11rope_visionILb1ELb0E6__halfEvPKT1_PS1_iiiiiiiiiiPKifff14rope_corr_dimsfPKf14mrope_sections.num_agpr, 0
	.set _ZL11rope_visionILb1ELb0E6__halfEvPKT1_PS1_iiiiiiiiiiPKifff14rope_corr_dimsfPKf14mrope_sections.numbered_sgpr, 21
	.set _ZL11rope_visionILb1ELb0E6__halfEvPKT1_PS1_iiiiiiiiiiPKifff14rope_corr_dimsfPKf14mrope_sections.num_named_barrier, 0
	.set _ZL11rope_visionILb1ELb0E6__halfEvPKT1_PS1_iiiiiiiiiiPKifff14rope_corr_dimsfPKf14mrope_sections.private_seg_size, 0
	.set _ZL11rope_visionILb1ELb0E6__halfEvPKT1_PS1_iiiiiiiiiiPKifff14rope_corr_dimsfPKf14mrope_sections.uses_vcc, 1
	.set _ZL11rope_visionILb1ELb0E6__halfEvPKT1_PS1_iiiiiiiiiiPKifff14rope_corr_dimsfPKf14mrope_sections.uses_flat_scratch, 0
	.set _ZL11rope_visionILb1ELb0E6__halfEvPKT1_PS1_iiiiiiiiiiPKifff14rope_corr_dimsfPKf14mrope_sections.has_dyn_sized_stack, 0
	.set _ZL11rope_visionILb1ELb0E6__halfEvPKT1_PS1_iiiiiiiiiiPKifff14rope_corr_dimsfPKf14mrope_sections.has_recursion, 0
	.set _ZL11rope_visionILb1ELb0E6__halfEvPKT1_PS1_iiiiiiiiiiPKifff14rope_corr_dimsfPKf14mrope_sections.has_indirect_call, 0
	.section	.AMDGPU.csdata,"",@progbits
; Kernel info:
; codeLenInByte = 4668
; TotalNumSgprs: 23
; NumVgprs: 26
; ScratchSize: 0
; MemoryBound: 0
; FloatMode: 240
; IeeeMode: 1
; LDSByteSize: 0 bytes/workgroup (compile time only)
; SGPRBlocks: 0
; VGPRBlocks: 1
; NumSGPRsForWavesPerEU: 23
; NumVGPRsForWavesPerEU: 26
; NamedBarCnt: 0
; Occupancy: 16
; WaveLimiterHint : 0
; COMPUTE_PGM_RSRC2:SCRATCH_EN: 0
; COMPUTE_PGM_RSRC2:USER_SGPR: 2
; COMPUTE_PGM_RSRC2:TRAP_HANDLER: 0
; COMPUTE_PGM_RSRC2:TGID_X_EN: 1
; COMPUTE_PGM_RSRC2:TGID_Y_EN: 1
; COMPUTE_PGM_RSRC2:TGID_Z_EN: 0
; COMPUTE_PGM_RSRC2:TIDIG_COMP_CNT: 1
	.section	.text._ZL11rope_visionILb1ELb1E6__halfEvPKT1_PS1_iiiiiiiiiiPKifff14rope_corr_dimsfPKf14mrope_sections,"axG",@progbits,_ZL11rope_visionILb1ELb1E6__halfEvPKT1_PS1_iiiiiiiiiiPKifff14rope_corr_dimsfPKf14mrope_sections,comdat
	.globl	_ZL11rope_visionILb1ELb1E6__halfEvPKT1_PS1_iiiiiiiiiiPKifff14rope_corr_dimsfPKf14mrope_sections ; -- Begin function _ZL11rope_visionILb1ELb1E6__halfEvPKT1_PS1_iiiiiiiiiiPKifff14rope_corr_dimsfPKf14mrope_sections
	.p2align	8
	.type	_ZL11rope_visionILb1ELb1E6__halfEvPKT1_PS1_iiiiiiiiiiPKifff14rope_corr_dimsfPKf14mrope_sections,@function
_ZL11rope_visionILb1ELb1E6__halfEvPKT1_PS1_iiiiiiiiiiPKifff14rope_corr_dimsfPKf14mrope_sections: ; @_ZL11rope_visionILb1ELb1E6__halfEvPKT1_PS1_iiiiiiiiiiPKifff14rope_corr_dimsfPKf14mrope_sections
; %bb.0:
	s_clause 0x1
	s_load_u16 s3, s[0:1], 0x7e
	s_load_b256 s[4:11], s[0:1], 0x10
	s_bfe_u32 s2, ttmp6, 0x40010
	s_bfe_u32 s13, ttmp6, 0x40004
	s_add_co_i32 s2, s2, 1
	v_bfe_u32 v1, v0, 10, 10
	s_mul_i32 s12, ttmp7, s2
	s_getreg_b32 s2, hwreg(HW_REG_IB_STS2, 6, 4)
	s_add_co_i32 s13, s13, s12
	s_cmp_eq_u32 s2, 0
	s_cselect_b32 s12, ttmp7, s13
	s_wait_kmcnt 0x0
	s_mul_i32 s12, s12, s3
	s_mov_b32 s3, exec_lo
	v_add_lshl_u32 v1, s12, v1, 1
	s_delay_alu instid0(VALU_DEP_1)
	v_cmpx_gt_i32_e64 s4, v1
	s_cbranch_execz .LBB13_20
; %bb.1:
	s_add_nc_u64 s[12:13], s[0:1], 0x70
	s_bfe_u32 s4, ttmp6, 0x4000c
	s_load_b32 s3, s[12:13], 0xc
	s_add_co_i32 s4, s4, 1
	s_wait_xcnt 0x0
	s_and_b32 s12, ttmp6, 15
	s_mul_i32 s4, ttmp9, s4
	v_and_b32_e32 v0, 0x3ff, v0
	s_add_co_i32 s12, s12, s4
	s_mul_i32 s4, s6, s5
	s_wait_kmcnt 0x0
	s_and_b32 s3, s3, 0xffff
	s_cmp_eq_u32 s2, 0
	s_cselect_b32 s2, ttmp9, s12
	s_abs_i32 s12, s4
	v_mad_u32 v0, s2, s3, v0
	s_cvt_f32_u32 s13, s12
	s_delay_alu instid0(SALU_CYCLE_3) | instskip(SKIP_1) | instid1(TRANS32_DEP_1)
	v_rcp_iflag_f32_e32 v2, s13
	v_nop
	v_readfirstlane_b32 s2, v2
	s_delay_alu instid0(VALU_DEP_3) | instskip(SKIP_1) | instid1(VALU_DEP_1)
	v_sub_nc_u32_e32 v2, 0, v0
	s_mul_f32 s2, s2, 0x4f7ffffe
	v_max_i32_e32 v2, v0, v2
	s_delay_alu instid0(SALU_CYCLE_2) | instskip(SKIP_1) | instid1(SALU_CYCLE_2)
	s_cvt_u32_f32 s13, s2
	s_sub_co_i32 s2, 0, s12
	s_mul_i32 s2, s2, s13
	s_delay_alu instid0(SALU_CYCLE_1) | instskip(SKIP_2) | instid1(SALU_CYCLE_1)
	s_mul_hi_u32 s14, s13, s2
	s_load_b64 s[2:3], s[0:1], 0x60
	s_add_co_i32 s13, s13, s14
	v_mul_hi_u32 v3, v2, s13
	s_delay_alu instid0(VALU_DEP_1) | instskip(SKIP_2) | instid1(SALU_CYCLE_1)
	v_mul_lo_u32 v4, v3, s12
	s_wait_kmcnt 0x0
	s_add_co_i32 s3, s3, s2
	s_abs_i32 s20, s3
	s_delay_alu instid0(SALU_CYCLE_1) | instskip(NEXT) | instid1(VALU_DEP_1)
	s_cvt_f32_u32 s13, s20
	v_dual_sub_nc_u32 v2, v2, v4 :: v_dual_add_nc_u32 v4, 1, v3
	s_delay_alu instid0(SALU_CYCLE_2) | instskip(SKIP_1) | instid1(VALU_DEP_1)
	v_rcp_iflag_f32_e32 v5, s13
	s_cvt_f32_u32 s13, s5
	v_subrev_nc_u32_e32 v6, s12, v2
	v_cmp_le_u32_e32 vcc_lo, s12, v2
	s_delay_alu instid0(TRANS32_DEP_1) | instskip(SKIP_1) | instid1(VALU_DEP_4)
	v_readfirstlane_b32 s14, v5
	v_cndmask_b32_e32 v3, v3, v4, vcc_lo
	v_dual_cndmask_b32 v5, v2, v6, vcc_lo :: v_dual_bitop2_b32 v4, s4, v0 bitop3:0x14
	v_ashrrev_i32_e32 v2, 1, v1
	s_mul_f32 s14, s14, 0x4f7ffffe
	s_delay_alu instid0(VALU_DEP_2) | instskip(NEXT) | instid1(VALU_DEP_3)
	v_dual_add_nc_u32 v6, 1, v3 :: v_dual_ashrrev_i32 v4, 31, v4
	v_cmp_le_u32_e32 vcc_lo, s12, v5
	v_rcp_iflag_f32_e32 v5, s13
	s_cvt_u32_f32 s12, s14
	s_sub_co_i32 s13, 0, s20
	v_dual_ashrrev_i32 v1, 31, v1 :: v_dual_cndmask_b32 v3, v3, v6, vcc_lo
	v_sub_nc_u32_e32 v6, 0, v2
	s_mul_i32 s13, s13, s12
	s_delay_alu instid0(TRANS32_DEP_1) | instskip(SKIP_4) | instid1(VALU_DEP_1)
	v_readfirstlane_b32 s14, v5
	s_mul_hi_u32 s13, s12, s13
	v_max_i32_e32 v6, v2, v6
	v_xor_b32_e32 v3, v3, v4
	s_add_co_i32 s12, s12, s13
	v_sub_nc_u32_e32 v3, v3, v4
	s_delay_alu instid0(VALU_DEP_3) | instskip(SKIP_1) | instid1(VALU_DEP_2)
	v_mul_hi_u32 v4, v6, s12
	s_sub_co_i32 s12, 0, s5
	v_mul_lo_u32 v5, s4, v3
	s_mul_f32 s4, s14, 0x4f7ffffe
	s_delay_alu instid0(SALU_CYCLE_3) | instskip(NEXT) | instid1(VALU_DEP_2)
	s_cvt_u32_f32 s4, s4
	v_mul_lo_u32 v4, v4, s20
	s_delay_alu instid0(SALU_CYCLE_2) | instskip(NEXT) | instid1(VALU_DEP_2)
	s_mul_i32 s12, s12, s4
	v_sub_nc_u32_e32 v5, v0, v5
	s_mul_hi_u32 s12, s4, s12
	s_delay_alu instid0(SALU_CYCLE_1)
	s_add_co_i32 s4, s4, s12
	s_clause 0x2
	s_load_b64 s[18:19], s[0:1], 0x50
	s_load_b64 s[16:17], s[0:1], 0x30
	s_load_b128 s[12:15], s[0:1], 0x40
	v_mul_hi_u32 v0, v5, s4
	s_mov_b32 s4, exec_lo
	s_delay_alu instid0(VALU_DEP_1) | instskip(NEXT) | instid1(VALU_DEP_1)
	v_mul_lo_u32 v7, v0, s5
	v_dual_sub_nc_u32 v4, v6, v4 :: v_dual_sub_nc_u32 v7, v5, v7
	s_delay_alu instid0(VALU_DEP_1) | instskip(SKIP_1) | instid1(VALU_DEP_2)
	v_subrev_nc_u32_e32 v6, s20, v4
	v_cmp_le_u32_e32 vcc_lo, s20, v4
	v_cndmask_b32_e32 v4, v4, v6, vcc_lo
	s_delay_alu instid0(VALU_DEP_1) | instskip(SKIP_3) | instid1(VALU_DEP_3)
	v_subrev_nc_u32_e32 v6, s20, v4
	v_cmp_le_u32_e32 vcc_lo, s20, v4
	v_add_nc_u32_e32 v8, 1, v0
	s_mov_b32 s20, -1
	v_cndmask_b32_e32 v4, v4, v6, vcc_lo
	v_subrev_nc_u32_e32 v6, s5, v7
	v_cmp_le_u32_e32 vcc_lo, s5, v7
	v_cndmask_b32_e32 v8, v0, v8, vcc_lo
	s_delay_alu instid0(VALU_DEP_3) | instskip(NEXT) | instid1(VALU_DEP_1)
	v_dual_cndmask_b32 v4, v7, v6, vcc_lo :: v_dual_bitop2_b32 v0, v4, v1 bitop3:0x14
	v_dual_add_nc_u32 v6, 1, v8 :: v_dual_sub_nc_u32 v0, v0, v1
	s_delay_alu instid0(VALU_DEP_2) | instskip(NEXT) | instid1(VALU_DEP_2)
	v_cmp_le_u32_e32 vcc_lo, s5, v4
	v_cndmask_b32_e32 v4, v8, v6, vcc_lo
	s_delay_alu instid0(VALU_DEP_1) | instskip(NEXT) | instid1(VALU_DEP_4)
	v_mov_b32_e32 v6, v4
	v_cmpx_le_i32_e64 s2, v0
	s_cbranch_execz .LBB13_6
; %bb.2:
	s_cmp_gt_i32 s3, -1
	s_mov_b32 s3, -1
	s_cbranch_scc0 .LBB13_4
; %bb.3:
	v_subrev_nc_u32_e32 v0, s2, v0
	v_add_nc_u32_e32 v6, s6, v4
	s_branch .LBB13_5
.LBB13_4:
	s_mov_b32 s3, 0
                                        ; implicit-def: $vgpr0
                                        ; implicit-def: $vgpr6
.LBB13_5:
	s_delay_alu instid0(SALU_CYCLE_1)
	s_or_not1_b32 s20, s3, exec_lo
.LBB13_6:
	s_or_b32 exec_lo, exec_lo, s4
	v_mov_b32_e32 v1, 0
	s_and_saveexec_b32 s6, s20
	s_cbranch_execz .LBB13_8
; %bb.7:
	s_wait_kmcnt 0x0
	s_cmp_neq_f32 s19, 1.0
	v_cvt_f32_i32_e32 v0, v0
	s_load_b64 s[2:3], s[0:1], 0x38
	s_mov_b32 s4, 0x3e76c4e1
	s_cselect_b32 vcc_lo, -1, 0
	s_delay_alu instid0(VALU_DEP_1) | instskip(NEXT) | instid1(VALU_DEP_1)
	v_cndmask_b32_e32 v1, 1.0, v0, vcc_lo
	v_cmp_neq_f32_e32 vcc_lo, 0, v1
	v_cndmask_b32_e64 v0, 1.0, s19, vcc_lo
	s_delay_alu instid0(VALU_DEP_1) | instskip(SKIP_4) | instid1(VALU_DEP_1)
	v_frexp_mant_f32_e64 v7, |v0|
	s_wait_kmcnt 0x0
	global_load_b32 v22, v6, s[2:3] scale_offset
	v_cmp_gt_f32_e32 vcc_lo, 0x3f2aaaab, v7
	v_cndmask_b32_e64 v8, 1.0, 2.0, vcc_lo
	v_mul_f32_e32 v7, v7, v8
	s_delay_alu instid0(VALU_DEP_1) | instskip(NEXT) | instid1(VALU_DEP_1)
	v_dual_add_f32 v8, 1.0, v7 :: v_dual_add_f32 v9, -1.0, v7
	v_add_f32_e32 v11, -1.0, v8
	v_rcp_f32_e32 v14, v8
	v_nop
	s_delay_alu instid0(TRANS32_DEP_1) | instskip(NEXT) | instid1(VALU_DEP_1)
	v_mul_f32_e32 v15, v9, v14
	v_mul_f32_e32 v10, v8, v15
	v_sub_f32_e32 v7, v7, v11
	s_delay_alu instid0(VALU_DEP_2) | instskip(NEXT) | instid1(VALU_DEP_1)
	v_fma_f32 v12, v15, v8, -v10
	v_fmac_f32_e32 v12, v15, v7
	s_delay_alu instid0(VALU_DEP_1) | instskip(NEXT) | instid1(VALU_DEP_1)
	v_add_f32_e32 v8, v10, v12
	v_dual_sub_f32 v11, v9, v8 :: v_dual_mov_b32 v13, v8
	s_delay_alu instid0(VALU_DEP_1) | instskip(NEXT) | instid1(VALU_DEP_1)
	v_pk_add_f32 v[8:9], v[8:9], v[10:11] neg_lo:[0,1] neg_hi:[0,1]
	v_pk_add_f32 v[8:9], v[8:9], v[12:13] neg_lo:[0,1] neg_hi:[0,1]
	v_cvt_f64_f32_e64 v[12:13], |v0|
	s_delay_alu instid0(VALU_DEP_2) | instskip(NEXT) | instid1(VALU_DEP_1)
	v_add_f32_e32 v7, v8, v9
	v_add_f32_e32 v7, v11, v7
	s_delay_alu instid0(VALU_DEP_1) | instskip(NEXT) | instid1(VALU_DEP_1)
	v_mul_f32_e32 v7, v14, v7
	v_add_f32_e32 v8, v15, v7
	s_delay_alu instid0(VALU_DEP_1) | instskip(NEXT) | instid1(VALU_DEP_1)
	v_sub_f32_e32 v9, v8, v15
	v_sub_f32_e32 v18, v7, v9
	v_frexp_exp_i32_f64_e32 v17, v[12:13]
	s_delay_alu instid0(VALU_DEP_2) | instskip(NEXT) | instid1(VALU_DEP_1)
	v_dual_add_f32 v9, v18, v18 :: v_dual_mul_f32 v11, v8, v8
	v_fma_f32 v7, v8, v8, -v11
	s_delay_alu instid0(VALU_DEP_1) | instskip(NEXT) | instid1(VALU_DEP_1)
	v_fmac_f32_e32 v7, v8, v9
	v_add_f32_e32 v10, v11, v7
	s_delay_alu instid0(VALU_DEP_1) | instskip(SKIP_2) | instid1(VALU_DEP_2)
	v_sub_f32_e32 v11, v10, v11
	v_fmaak_f32 v9, s4, v10, 0x3e91f4c4
	v_cmp_eq_f32_e64 s4, 0, v0
	v_dual_sub_f32 v16, v7, v11 :: v_dual_fmaak_f32 v9, v10, v9, 0x3ecccdef
	s_delay_alu instid0(VALU_DEP_1) | instskip(SKIP_1) | instid1(VALU_DEP_1)
	v_mul_f32_e32 v14, v10, v9
	s_wait_xcnt 0x0
	v_fma_f32 v6, v10, v9, -v14
	s_delay_alu instid0(VALU_DEP_1) | instskip(NEXT) | instid1(VALU_DEP_1)
	v_fmac_f32_e32 v6, v16, v9
	v_add_f32_e32 v11, v14, v6
	s_delay_alu instid0(VALU_DEP_1) | instskip(NEXT) | instid1(VALU_DEP_1)
	v_sub_f32_e32 v9, v11, v14
	v_dual_add_f32 v7, 0x3f2aaaaa, v11 :: v_dual_sub_f32 v6, v6, v9
	s_delay_alu instid0(VALU_DEP_1) | instskip(NEXT) | instid1(VALU_DEP_2)
	v_add_f32_e32 v14, 0xbf2aaaaa, v7
	v_add_f32_e32 v9, 0x31739010, v6
	s_delay_alu instid0(VALU_DEP_2) | instskip(NEXT) | instid1(VALU_DEP_1)
	v_sub_f32_e32 v11, v11, v14
	v_pk_mul_f32 v[12:13], v[8:9], v[10:11]
	s_delay_alu instid0(VALU_DEP_1) | instskip(NEXT) | instid1(VALU_DEP_1)
	v_fma_f32 v6, v10, v8, -v12
	v_fmac_f32_e32 v6, v10, v18
	s_delay_alu instid0(VALU_DEP_1) | instskip(SKIP_2) | instid1(VALU_DEP_2)
	v_fmac_f32_e32 v6, v16, v8
	v_pk_add_f32 v[14:15], v[8:9], v[10:11]
	v_subrev_co_ci_u32_e64 v9, null, 0, v17, vcc_lo
	v_mov_b32_e32 v13, v15
	s_delay_alu instid0(VALU_DEP_2) | instskip(NEXT) | instid1(VALU_DEP_2)
	v_cvt_f32_i32_e32 v9, v9
	v_pk_add_f32 v[10:11], v[12:13], v[6:7]
	s_delay_alu instid0(VALU_DEP_1) | instskip(NEXT) | instid1(VALU_DEP_1)
	v_dual_mov_b32 v14, v11 :: v_dual_sub_f32 v13, v10, v12
	v_pk_mul_f32 v[16:17], v[10:11], v[14:15]
	s_delay_alu instid0(VALU_DEP_4) | instskip(NEXT) | instid1(VALU_DEP_3)
	v_dual_sub_f32 v7, v7, v11 :: v_dual_mul_f32 v14, 0x3f317218, v9
	v_sub_f32_e32 v6, v6, v13
	s_delay_alu instid0(VALU_DEP_3) | instskip(NEXT) | instid1(VALU_DEP_3)
	v_fma_f32 v12, v10, v11, -v16
	v_add_f32_e32 v7, v15, v7
	s_delay_alu instid0(VALU_DEP_1) | instskip(SKIP_1) | instid1(VALU_DEP_2)
	v_fmac_f32_e32 v12, v10, v7
	v_fma_f32 v7, 0x3f317218, v9, -v14
	v_fmac_f32_e32 v12, v6, v11
	s_delay_alu instid0(VALU_DEP_2) | instskip(SKIP_1) | instid1(VALU_DEP_1)
	v_fmamk_f32 v6, v9, 0xb102e308, v7
	v_ldexp_f32 v7, v8, 1
	v_dual_add_f32 v15, v16, v12 :: v_dual_mov_b32 v17, v7
	s_delay_alu instid0(VALU_DEP_1) | instskip(SKIP_2) | instid1(VALU_DEP_3)
	v_pk_add_f32 v[8:9], v[14:15], v[6:7]
	v_dual_mov_b32 v10, v15 :: v_dual_mov_b32 v13, v15
	v_ldexp_f32 v7, v18, 1
	v_dual_mov_b32 v11, v9 :: v_dual_mov_b32 v20, v9
	s_delay_alu instid0(VALU_DEP_1) | instskip(NEXT) | instid1(VALU_DEP_1)
	v_pk_add_f32 v[10:11], v[10:11], v[16:17] neg_lo:[0,1] neg_hi:[0,1]
	v_pk_add_f32 v[10:11], v[12:13], v[10:11] neg_lo:[0,1] neg_hi:[0,1]
	s_delay_alu instid0(VALU_DEP_1) | instskip(NEXT) | instid1(VALU_DEP_1)
	v_add_f32_e32 v7, v7, v10
	v_dual_add_f32 v15, v7, v11 :: v_dual_mov_b32 v7, v8
	s_delay_alu instid0(VALU_DEP_1) | instskip(SKIP_1) | instid1(VALU_DEP_2)
	v_pk_add_f32 v[10:11], v[8:9], v[14:15]
	v_pk_add_f32 v[12:13], v[8:9], v[14:15] neg_lo:[0,1] neg_hi:[0,1]
	v_mov_b32_e32 v13, v11
	s_delay_alu instid0(VALU_DEP_1) | instskip(SKIP_2) | instid1(VALU_DEP_3)
	v_pk_add_f32 v[16:17], v[6:7], v[12:13]
	v_mov_b32_e32 v16, v11
	v_pk_add_f32 v[6:7], v[6:7], v[12:13] neg_lo:[0,1] neg_hi:[0,1]
	v_mov_b32_e32 v14, v17
	s_delay_alu instid0(VALU_DEP_1) | instskip(SKIP_1) | instid1(VALU_DEP_2)
	v_pk_add_f32 v[18:19], v[14:15], v[8:9] neg_lo:[0,1] neg_hi:[0,1]
	v_dual_mov_b32 v9, v8 :: v_dual_mov_b32 v8, v15
	v_dual_mov_b32 v15, v18 :: v_dual_mov_b32 v21, v18
	s_delay_alu instid0(VALU_DEP_1) | instskip(NEXT) | instid1(VALU_DEP_2)
	v_pk_add_f32 v[10:11], v[10:11], v[14:15] neg_lo:[0,1] neg_hi:[0,1]
	v_pk_add_f32 v[12:13], v[16:17], v[20:21] neg_lo:[0,1] neg_hi:[0,1]
	v_mov_b32_e32 v10, v6
	s_delay_alu instid0(VALU_DEP_2) | instskip(NEXT) | instid1(VALU_DEP_1)
	v_pk_add_f32 v[8:9], v[8:9], v[12:13] neg_lo:[0,1] neg_hi:[0,1]
	v_pk_add_f32 v[10:11], v[10:11], v[8:9]
	s_delay_alu instid0(VALU_DEP_1) | instskip(NEXT) | instid1(VALU_DEP_1)
	v_mov_b32_e32 v12, v11
	v_pk_add_f32 v[12:13], v[10:11], v[12:13]
	s_delay_alu instid0(VALU_DEP_1) | instskip(NEXT) | instid1(VALU_DEP_1)
	v_pk_add_f32 v[14:15], v[14:15], v[12:13]
	v_dual_mov_b32 v7, v17 :: v_dual_mov_b32 v11, v14
	s_delay_alu instid0(VALU_DEP_1) | instskip(NEXT) | instid1(VALU_DEP_1)
	v_pk_add_f32 v[16:17], v[10:11], v[6:7] neg_lo:[0,1] neg_hi:[0,1]
	v_dual_mov_b32 v9, v12 :: v_dual_sub_f32 v7, v10, v16
	s_delay_alu instid0(VALU_DEP_1) | instskip(NEXT) | instid1(VALU_DEP_2)
	v_pk_add_f32 v[8:9], v[8:9], v[16:17] neg_lo:[0,1] neg_hi:[0,1]
	v_sub_f32_e32 v6, v6, v7
	s_delay_alu instid0(VALU_DEP_1) | instskip(NEXT) | instid1(VALU_DEP_1)
	v_add_f32_e32 v6, v8, v6
	v_add_f32_e32 v6, v6, v9
	s_delay_alu instid0(VALU_DEP_1) | instskip(NEXT) | instid1(VALU_DEP_1)
	v_add_f32_e32 v7, v14, v6
	v_dual_sub_f32 v8, v7, v14 :: v_dual_mul_f32 v9, v1, v7
	s_delay_alu instid0(VALU_DEP_1) | instskip(SKIP_1) | instid1(VALU_DEP_2)
	v_dual_fma_f32 v7, v1, v7, -v9 :: v_dual_sub_f32 v6, v6, v8
	v_cmp_class_f32_e64 vcc_lo, v9, 0x204
	v_fmac_f32_e32 v7, v1, v6
	s_delay_alu instid0(VALU_DEP_1) | instskip(NEXT) | instid1(VALU_DEP_1)
	v_add_f32_e32 v6, v9, v7
	v_cndmask_b32_e32 v8, v6, v9, vcc_lo
	s_delay_alu instid0(VALU_DEP_1) | instskip(SKIP_2) | instid1(VALU_DEP_2)
	v_cmp_eq_f32_e32 vcc_lo, 0x42b17218, v8
	v_cndmask_b32_e64 v10, 0, 0x37000000, vcc_lo
	v_cmp_neq_f32_e64 vcc_lo, 0x7f800000, |v8|
	v_sub_f32_e32 v11, v8, v10
	v_trunc_f32_e32 v8, v1
	s_delay_alu instid0(VALU_DEP_2) | instskip(NEXT) | instid1(VALU_DEP_1)
	v_mul_f32_e32 v12, 0x3fb8aa3b, v11
	v_fma_f32 v13, 0x3fb8aa3b, v11, -v12
	v_rndne_f32_e32 v14, v12
	s_delay_alu instid0(VALU_DEP_1) | instskip(SKIP_1) | instid1(VALU_DEP_1)
	v_dual_fmamk_f32 v13, v11, 0x32a5705f, v13 :: v_dual_sub_f32 v12, v12, v14
	v_sub_f32_e32 v6, v6, v9
	v_dual_add_f32 v12, v12, v13 :: v_dual_sub_f32 v6, v7, v6
	s_delay_alu instid0(VALU_DEP_1) | instskip(SKIP_2) | instid1(VALU_DEP_3)
	v_exp_f32_e32 v9, v12
	v_nop
	v_cvt_i32_f32_e32 v12, v14
	v_cndmask_b32_e32 v6, 0, v6, vcc_lo
	v_cmp_ngt_f32_e32 vcc_lo, 0xc2ce8ed0, v11
	s_delay_alu instid0(TRANS32_DEP_1) | instid1(VALU_DEP_3)
	v_ldexp_f32 v7, v9, v12
	s_delay_alu instid0(VALU_DEP_3) | instskip(NEXT) | instid1(VALU_DEP_2)
	v_dual_mul_f32 v9, 0.5, v1 :: v_dual_add_f32 v6, v10, v6
	v_cndmask_b32_e32 v7, 0, v7, vcc_lo
	s_delay_alu instid0(VALU_DEP_2) | instskip(SKIP_1) | instid1(VALU_DEP_2)
	v_trunc_f32_e32 v12, v9
	v_cmp_nlt_f32_e32 vcc_lo, 0x42b17218, v11
	v_cmp_neq_f32_e64 s2, v12, v9
	s_delay_alu instid0(VALU_DEP_4) | instskip(SKIP_1) | instid1(VALU_DEP_2)
	v_cndmask_b32_e32 v7, 0x7f800000, v7, vcc_lo
	v_cmp_eq_f32_e32 vcc_lo, v8, v1
	v_cmp_class_f32_e64 s3, v7, 0x204
	s_and_b32 s2, vcc_lo, s2
	s_delay_alu instid0(SALU_CYCLE_1) | instskip(NEXT) | instid1(VALU_DEP_1)
	v_dual_fma_f32 v6, v7, v6, v7 :: v_dual_cndmask_b32 v8, 1.0, v0, s2
	v_cndmask_b32_e64 v6, v6, v7, s3
	v_cmp_gt_f32_e64 s3, 0, v1
	s_delay_alu instid0(VALU_DEP_2)
	v_bfi_b32 v1, 0x7fffffff, v6, v8
	s_xor_b32 s3, s3, s4
	v_cndmask_b32_e64 v8, 0, v0, s2
	v_cndmask_b32_e64 v6, 0x7f800000, 0, s3
	v_cmp_class_f32_e64 s2, v0, 0x204
	v_cndmask_b32_e32 v7, 0x7fc00000, v1, vcc_lo
	v_cmp_gt_f32_e32 vcc_lo, 0, v0
	s_delay_alu instid0(VALU_DEP_4) | instskip(NEXT) | instid1(VALU_DEP_3)
	v_bfi_b32 v6, 0x7fffffff, v6, v8
	v_cndmask_b32_e32 v1, v1, v7, vcc_lo
	s_or_b32 vcc_lo, s4, s2
	s_delay_alu instid0(VALU_DEP_1) | instskip(SKIP_3) | instid1(VALU_DEP_3)
	v_cndmask_b32_e32 v1, v1, v6, vcc_lo
	v_cmp_o_f32_e32 vcc_lo, v0, v0
	s_wait_loadcnt 0x0
	v_cvt_f32_i32_e32 v6, v22
	v_cndmask_b32_e32 v0, 0x7fc00000, v1, vcc_lo
	s_delay_alu instid0(VALU_DEP_1)
	v_mul_f32_e32 v1, v0, v6
.LBB13_8:
	s_or_b32 exec_lo, exec_lo, s6
	s_load_b64 s[2:3], s[0:1], 0x58
	s_wait_kmcnt 0x0
	s_cmp_eq_f32 s13, 0
	global_load_b32 v0, v2, s[2:3] scale_offset
	s_wait_loadcnt 0x0
	v_div_scale_f32 v6, null, v0, v0, v1
	v_div_scale_f32 v9, vcc_lo, v1, v0, v1
	s_delay_alu instid0(VALU_DEP_2) | instskip(SKIP_1) | instid1(TRANS32_DEP_1)
	v_rcp_f32_e32 v7, v6
	v_nop
	v_fma_f32 v8, -v6, v7, 1.0
	s_delay_alu instid0(VALU_DEP_1) | instskip(NEXT) | instid1(VALU_DEP_1)
	v_fmac_f32_e32 v7, v8, v7
	v_mul_f32_e32 v8, v9, v7
	s_delay_alu instid0(VALU_DEP_1) | instskip(NEXT) | instid1(VALU_DEP_1)
	v_fma_f32 v10, -v6, v8, v9
	v_fmac_f32_e32 v8, v10, v7
	s_delay_alu instid0(VALU_DEP_1) | instskip(NEXT) | instid1(VALU_DEP_1)
	v_fma_f32 v6, -v6, v8, v9
	v_div_fmas_f32 v6, v6, v7, v8
	s_delay_alu instid0(VALU_DEP_1) | instskip(NEXT) | instid1(VALU_DEP_1)
	v_div_fixup_f32 v0, v6, v0, v1
	v_mul_f32_e32 v1, s12, v0
	s_cbranch_scc1 .LBB13_10
; %bb.9:
	v_cvt_f32_i32_e32 v6, v2
	s_sub_f32 s2, s18, s15
	v_div_scale_f32 v8, null, s12, s12, 1.0
	s_delay_alu instid0(SALU_CYCLE_2) | instskip(SKIP_4) | instid1(VALU_DEP_3)
	s_max_num_f32 s3, s2, 0x3a83126f
	v_subrev_f32_e32 v6, s15, v6
	v_rcp_f32_e32 v10, v8
	v_nop
	v_xor_b32_e32 v8, 0x80000000, v8
	v_div_scale_f32 v7, null, s3, s3, v6
	s_delay_alu instid0(TRANS32_DEP_1) | instid1(VALU_DEP_2)
	v_fma_f32 v12, v8, v10, 1.0
	s_delay_alu instid0(VALU_DEP_2) | instskip(SKIP_1) | instid1(TRANS32_DEP_1)
	v_rcp_f32_e32 v9, v7
	v_nop
	v_fma_f32 v11, -v7, v9, 1.0
	s_delay_alu instid0(VALU_DEP_1) | instskip(SKIP_2) | instid1(VALU_DEP_2)
	v_fmac_f32_e32 v9, v11, v9
	v_div_scale_f32 v13, vcc_lo, v6, s3, v6
	v_div_scale_f32 v11, s2, 1.0, s12, 1.0
	v_dual_fmac_f32 v10, v12, v10 :: v_dual_mul_f32 v12, v13, v9
	s_delay_alu instid0(VALU_DEP_1) | instskip(NEXT) | instid1(VALU_DEP_1)
	v_mul_f32_e32 v14, v11, v10
	v_dual_fma_f32 v15, -v7, v12, v13 :: v_dual_fma_f32 v16, v8, v14, v11
	s_delay_alu instid0(VALU_DEP_1) | instskip(NEXT) | instid1(VALU_DEP_1)
	v_dual_fmac_f32 v12, v15, v9 :: v_dual_fmac_f32 v14, v16, v10
	v_dual_fma_f32 v7, -v7, v12, v13 :: v_dual_fmac_f32 v11, v8, v14
	s_delay_alu instid0(VALU_DEP_1) | instskip(SKIP_1) | instid1(VALU_DEP_2)
	v_div_fmas_f32 v7, v7, v9, v12
	s_mov_b32 vcc_lo, s2
	v_div_fmas_f32 v8, v11, v10, v14
	s_delay_alu instid0(VALU_DEP_2) | instskip(NEXT) | instid1(VALU_DEP_2)
	v_div_fixup_f32 v6, v7, s3, v6 clamp
	v_div_fixup_f32 v8, v8, s12, 1.0
	s_delay_alu instid0(VALU_DEP_2) | instskip(NEXT) | instid1(VALU_DEP_2)
	v_sub_f32_e32 v10, 1.0, v6
	v_readfirstlane_b32 s2, v8
	s_delay_alu instid0(VALU_DEP_2) | instskip(SKIP_2) | instid1(SALU_CYCLE_1)
	v_mul_f32_e32 v6, s13, v10
	s_cmp_lt_f32 s2, 0x800000
	s_cselect_b32 s2, 0x4f800000, 1.0
	v_mul_f32_e32 v8, s2, v8
	s_cselect_b32 s2, 0x41b17218, 0
	s_delay_alu instid0(VALU_DEP_1) | instskip(SKIP_1) | instid1(TRANS32_DEP_1)
	v_log_f32_e32 v8, v8
	v_nop
	v_mul_f32_e32 v9, 0x3f317217, v8
	v_and_b32_e32 v7, 0x7fffffff, v8
	s_delay_alu instid0(VALU_DEP_2) | instskip(NEXT) | instid1(VALU_DEP_2)
	v_xor_b32_e32 v9, 0x80000000, v9
	v_cmp_gt_f32_e32 vcc_lo, 0x7f800000, v7
	v_fma_f32 v7, -s13, v10, 1.0
	s_delay_alu instid0(VALU_DEP_3) | instskip(NEXT) | instid1(VALU_DEP_2)
	v_fmac_f32_e32 v9, 0x3f317217, v8
	v_pk_mul_f32 v[0:1], v[6:7], v[0:1]
	s_delay_alu instid0(VALU_DEP_2) | instskip(NEXT) | instid1(VALU_DEP_2)
	v_fmamk_f32 v9, v8, 0x3377d1cf, v9
	v_add_f32_e32 v1, v0, v1
	s_delay_alu instid0(VALU_DEP_2) | instskip(NEXT) | instid1(VALU_DEP_1)
	v_fmac_f32_e32 v9, 0x3f317217, v8
	v_dual_cndmask_b32 v8, v8, v9 :: v_dual_mov_b32 v9, 1.0
	s_delay_alu instid0(VALU_DEP_1) | instskip(NEXT) | instid1(VALU_DEP_1)
	v_subrev_f32_e32 v8, s2, v8
	v_fmamk_f32 v6, v8, 0x3dcccccd, v9
	s_delay_alu instid0(VALU_DEP_1)
	v_mul_f32_e32 v6, s14, v6
	s_branch .LBB13_11
.LBB13_10:
	v_mov_b32_e32 v6, s14
.LBB13_11:
	s_delay_alu instid0(VALU_DEP_2) | instskip(SKIP_1) | instid1(VALU_DEP_2)
	v_and_b32_e32 v0, 0x7fffffff, v1
	v_cmp_ngt_f32_e64 s4, 0x48000000, |v1|
                                        ; implicit-def: $vgpr8
                                        ; implicit-def: $vgpr7
	v_lshrrev_b32_e32 v9, 23, v0
	s_and_saveexec_b32 s2, s4
	s_delay_alu instid0(SALU_CYCLE_1)
	s_xor_b32 s6, exec_lo, s2
	s_cbranch_execz .LBB13_13
; %bb.12:
	s_mov_b32 s2, 0x7fffff
	v_mov_b32_e32 v11, 0
	v_and_or_b32 v10, v0, s2, 0x800000
	s_mov_b64 s[2:3], 0xfe5163ab
	v_add_nc_u32_e32 v7, 0xffffff88, v9
	s_delay_alu instid0(VALU_DEP_2) | instskip(NEXT) | instid1(VALU_DEP_2)
	v_mul_u64_e32 v[12:13], s[2:3], v[10:11]
	v_cmp_lt_u32_e32 vcc_lo, 63, v7
	v_cndmask_b32_e64 v8, 0, 0xffffffc0, vcc_lo
	s_delay_alu instid0(VALU_DEP_3) | instskip(SKIP_2) | instid1(VALU_DEP_3)
	v_dual_mov_b32 v14, v13 :: v_dual_mov_b32 v15, v11
	v_dual_mov_b32 v17, v11 :: v_dual_mov_b32 v19, v11
	;; [unrolled: 1-line block ×3, first 2 shown]
	v_mad_nc_u64_u32 v[14:15], 0x3c439041, v10, v[14:15]
	v_dual_add_nc_u32 v7, v8, v7 :: v_dual_mov_b32 v25, v11
	s_delay_alu instid0(VALU_DEP_1) | instskip(NEXT) | instid1(VALU_DEP_3)
	v_cmp_lt_u32_e64 s2, 31, v7
	v_mov_b32_e32 v16, v15
	s_delay_alu instid0(VALU_DEP_2) | instskip(NEXT) | instid1(VALU_DEP_2)
	v_cndmask_b32_e64 v8, 0, 0xffffffe0, s2
	v_mad_nc_u64_u32 v[16:17], 0xdb629599, v10, v[16:17]
	s_delay_alu instid0(VALU_DEP_2) | instskip(NEXT) | instid1(VALU_DEP_1)
	v_add_nc_u32_e32 v7, v8, v7
	v_cmp_lt_u32_e64 s3, 31, v7
	s_delay_alu instid0(VALU_DEP_3) | instskip(NEXT) | instid1(VALU_DEP_2)
	v_mov_b32_e32 v18, v17
	v_cndmask_b32_e64 v8, 0, 0xffffffe0, s3
	v_cndmask_b32_e32 v12, v16, v12, vcc_lo
	s_delay_alu instid0(VALU_DEP_3) | instskip(NEXT) | instid1(VALU_DEP_1)
	v_mad_nc_u64_u32 v[18:19], 0xf534ddc0, v10, v[18:19]
	v_dual_cndmask_b32 v8, v18, v14 :: v_dual_add_nc_u32 v7, v8, v7
	s_delay_alu instid0(VALU_DEP_2) | instskip(NEXT) | instid1(VALU_DEP_1)
	v_mov_b32_e32 v20, v19
	v_mad_nc_u64_u32 v[20:21], 0xfc2757d1, v10, v[20:21]
	s_delay_alu instid0(VALU_DEP_1) | instskip(NEXT) | instid1(VALU_DEP_1)
	v_dual_mov_b32 v22, v21 :: v_dual_cndmask_b32 v15, v20, v16
	v_mad_nc_u64_u32 v[22:23], 0x4e441529, v10, v[22:23]
	s_delay_alu instid0(VALU_DEP_1) | instskip(NEXT) | instid1(VALU_DEP_1)
	v_dual_mov_b32 v24, v23 :: v_dual_cndmask_b32 v13, v22, v18
	v_mad_nc_u64_u32 v[10:11], 0xa2f9836e, v10, v[24:25]
	s_delay_alu instid0(VALU_DEP_1) | instskip(SKIP_1) | instid1(VALU_DEP_2)
	v_dual_cndmask_b32 v10, v10, v20 :: v_dual_cndmask_b32 v11, v11, v22
	v_cmp_eq_u32_e32 vcc_lo, 0, v7
	v_dual_cndmask_b32 v14, v10, v13, s2 :: v_dual_cndmask_b32 v10, v11, v10, s2
	v_dual_cndmask_b32 v11, v13, v15, s2 :: v_dual_cndmask_b32 v15, v15, v8, s2
	v_dual_sub_nc_u32 v13, 32, v7 :: v_dual_cndmask_b32 v8, v8, v12, s2
	s_delay_alu instid0(VALU_DEP_3) | instskip(NEXT) | instid1(VALU_DEP_2)
	v_cndmask_b32_e64 v10, v10, v14, s3
	v_dual_cndmask_b32 v14, v14, v11, s3 :: v_dual_cndmask_b32 v8, v15, v8, s3
	s_delay_alu instid0(VALU_DEP_1) | instskip(NEXT) | instid1(VALU_DEP_1)
	v_alignbit_b32 v17, v10, v14, v13
	v_dual_cndmask_b32 v11, v11, v15, s3 :: v_dual_cndmask_b32 v7, v17, v10, vcc_lo
	s_delay_alu instid0(VALU_DEP_1) | instskip(NEXT) | instid1(VALU_DEP_4)
	v_alignbit_b32 v16, v14, v11, v13
	v_alignbit_b32 v13, v11, v8, v13
	s_delay_alu instid0(VALU_DEP_3) | instskip(NEXT) | instid1(VALU_DEP_2)
	v_bfe_u32 v12, v7, 29, 1
	v_dual_cndmask_b32 v10, v16, v14 :: v_dual_cndmask_b32 v11, v13, v11
	s_delay_alu instid0(VALU_DEP_2) | instskip(NEXT) | instid1(VALU_DEP_2)
	v_sub_nc_u32_e32 v15, 0, v12
	v_alignbit_b32 v14, v7, v10, 30
	s_delay_alu instid0(VALU_DEP_3) | instskip(SKIP_1) | instid1(VALU_DEP_3)
	v_alignbit_b32 v10, v10, v11, 30
	v_alignbit_b32 v8, v11, v8, 30
	v_xor_b32_e32 v14, v14, v15
	s_delay_alu instid0(VALU_DEP_2) | instskip(NEXT) | instid1(VALU_DEP_2)
	v_xor_b32_e32 v8, v8, v15
	v_clz_i32_u32_e32 v13, v14
	s_delay_alu instid0(VALU_DEP_1) | instskip(NEXT) | instid1(VALU_DEP_1)
	v_min_u32_e32 v13, 32, v13
	v_dual_lshlrev_b32 v16, 23, v13 :: v_dual_bitop2_b32 v10, v10, v15 bitop3:0x14
	v_sub_nc_u32_e32 v11, 31, v13
	s_delay_alu instid0(VALU_DEP_1) | instskip(SKIP_2) | instid1(VALU_DEP_1)
	v_alignbit_b32 v14, v14, v10, v11
	v_lshrrev_b32_e32 v15, 29, v7
	v_alignbit_b32 v8, v10, v8, v11
	v_alignbit_b32 v11, v14, v8, 9
	s_delay_alu instid0(VALU_DEP_3) | instskip(NEXT) | instid1(VALU_DEP_2)
	v_dual_lshrrev_b32 v14, 9, v14 :: v_dual_lshlrev_b32 v10, 31, v15
	v_clz_i32_u32_e32 v17, v11
	s_delay_alu instid0(VALU_DEP_2) | instskip(SKIP_1) | instid1(VALU_DEP_2)
	v_or_b32_e32 v15, 0.5, v10
	v_or_b32_e32 v10, 0x33000000, v10
	v_sub_nc_u32_e32 v15, v15, v16
	s_delay_alu instid0(VALU_DEP_4) | instskip(NEXT) | instid1(VALU_DEP_1)
	v_min_u32_e32 v16, 32, v17
	v_add_lshl_u32 v13, v16, v13, 23
	s_delay_alu instid0(VALU_DEP_1) | instskip(NEXT) | instid1(VALU_DEP_4)
	v_sub_nc_u32_e32 v10, v10, v13
	v_or_b32_e32 v14, v14, v15
	v_not_b32_e32 v15, v16
	s_delay_alu instid0(VALU_DEP_1) | instskip(NEXT) | instid1(VALU_DEP_1)
	v_alignbit_b32 v8, v11, v8, v15
	v_dual_mul_f32 v17, 0x3fc90fda, v14 :: v_dual_lshrrev_b32 v8, 9, v8
	s_delay_alu instid0(VALU_DEP_1) | instskip(NEXT) | instid1(VALU_DEP_2)
	v_or_b32_e32 v8, v10, v8
	v_fma_f32 v11, 0x3fc90fda, v14, -v17
	s_delay_alu instid0(VALU_DEP_1) | instskip(NEXT) | instid1(VALU_DEP_1)
	v_fmamk_f32 v11, v14, 0x33a22168, v11
	v_dual_fmac_f32 v11, 0x3fc90fda, v8 :: v_dual_lshrrev_b32 v8, 30, v7
	s_delay_alu instid0(VALU_DEP_1)
	v_dual_add_f32 v7, v17, v11 :: v_dual_add_nc_u32 v8, v12, v8
	s_or_saveexec_b32 s2, s6
	v_mul_f32_e64 v12, 0x3f22f983, |v1|
	s_xor_b32 exec_lo, exec_lo, s2
	s_branch .LBB13_14
.LBB13_13:
	s_or_saveexec_b32 s2, s6
	v_mul_f32_e64 v12, 0x3f22f983, |v1|
	s_xor_b32 exec_lo, exec_lo, s2
.LBB13_14:
	s_delay_alu instid0(VALU_DEP_1) | instskip(NEXT) | instid1(VALU_DEP_1)
	v_rndne_f32_e32 v8, v12
	v_fma_f32 v7, 0xbfc90fda, v8, |v1|
	s_delay_alu instid0(VALU_DEP_1) | instskip(NEXT) | instid1(VALU_DEP_1)
	v_fmamk_f32 v7, v8, 0xb3a22168, v7
	v_fmamk_f32 v7, v8, 0xa7c234c4, v7
	v_cvt_i32_f32_e32 v8, v8
; %bb.15:
	s_or_b32 exec_lo, exec_lo, s2
                                        ; implicit-def: $vgpr11
                                        ; implicit-def: $vgpr10
	s_and_saveexec_b32 s2, s4
	s_delay_alu instid0(SALU_CYCLE_1)
	s_xor_b32 s4, exec_lo, s2
	s_cbranch_execz .LBB13_17
; %bb.16:
	s_mov_b32 s2, 0x7fffff
	v_mov_b32_e32 v11, 0
	v_and_or_b32 v10, v0, s2, 0x800000
	s_mov_b64 s[2:3], 0xfe5163ab
	v_add_nc_u32_e32 v9, 0xffffff88, v9
	s_delay_alu instid0(VALU_DEP_2) | instskip(NEXT) | instid1(VALU_DEP_2)
	v_mul_u64_e32 v[12:13], s[2:3], v[10:11]
	v_cmp_lt_u32_e32 vcc_lo, 63, v9
	s_delay_alu instid0(VALU_DEP_2) | instskip(SKIP_2) | instid1(VALU_DEP_3)
	v_dual_mov_b32 v14, v13 :: v_dual_mov_b32 v15, v11
	v_dual_mov_b32 v17, v11 :: v_dual_mov_b32 v19, v11
	;; [unrolled: 1-line block ×3, first 2 shown]
	v_mad_nc_u64_u32 v[14:15], 0x3c439041, v10, v[14:15]
	v_cndmask_b32_e64 v13, 0, 0xffffffc0, vcc_lo
	s_delay_alu instid0(VALU_DEP_1) | instskip(NEXT) | instid1(VALU_DEP_3)
	v_dual_mov_b32 v25, v11 :: v_dual_add_nc_u32 v9, v13, v9
	v_mov_b32_e32 v16, v15
	s_delay_alu instid0(VALU_DEP_2) | instskip(NEXT) | instid1(VALU_DEP_2)
	v_cmp_lt_u32_e64 s2, 31, v9
	v_mad_nc_u64_u32 v[16:17], 0xdb629599, v10, v[16:17]
	s_delay_alu instid0(VALU_DEP_2) | instskip(NEXT) | instid1(VALU_DEP_1)
	v_cndmask_b32_e64 v13, 0, 0xffffffe0, s2
	v_add_nc_u32_e32 v9, v13, v9
	s_delay_alu instid0(VALU_DEP_3) | instskip(NEXT) | instid1(VALU_DEP_2)
	v_mov_b32_e32 v18, v17
	v_cmp_lt_u32_e64 s3, 31, v9
	v_cndmask_b32_e32 v12, v16, v12, vcc_lo
	s_delay_alu instid0(VALU_DEP_3) | instskip(NEXT) | instid1(VALU_DEP_3)
	v_mad_nc_u64_u32 v[18:19], 0xf534ddc0, v10, v[18:19]
	v_cndmask_b32_e64 v13, 0, 0xffffffe0, s3
	s_delay_alu instid0(VALU_DEP_1) | instskip(NEXT) | instid1(VALU_DEP_3)
	v_dual_add_nc_u32 v9, v13, v9 :: v_dual_cndmask_b32 v13, v18, v14, vcc_lo
	v_mov_b32_e32 v20, v19
	s_delay_alu instid0(VALU_DEP_1) | instskip(NEXT) | instid1(VALU_DEP_1)
	v_mad_nc_u64_u32 v[20:21], 0xfc2757d1, v10, v[20:21]
	v_dual_mov_b32 v22, v21 :: v_dual_cndmask_b32 v17, v20, v16
	s_delay_alu instid0(VALU_DEP_1) | instskip(NEXT) | instid1(VALU_DEP_1)
	v_mad_nc_u64_u32 v[22:23], 0x4e441529, v10, v[22:23]
	v_dual_mov_b32 v24, v23 :: v_dual_cndmask_b32 v15, v22, v18
	s_delay_alu instid0(VALU_DEP_1) | instskip(NEXT) | instid1(VALU_DEP_1)
	v_mad_nc_u64_u32 v[10:11], 0xa2f9836e, v10, v[24:25]
	v_dual_cndmask_b32 v10, v10, v20 :: v_dual_cndmask_b32 v11, v11, v22
	v_cmp_eq_u32_e32 vcc_lo, 0, v9
	s_delay_alu instid0(VALU_DEP_2) | instskip(SKIP_2) | instid1(VALU_DEP_3)
	v_dual_cndmask_b32 v14, v10, v15, s2 :: v_dual_cndmask_b32 v10, v11, v10, s2
	v_cndmask_b32_e64 v11, v15, v17, s2
	v_sub_nc_u32_e32 v15, 32, v9
	v_dual_cndmask_b32 v17, v17, v13, s2 :: v_dual_cndmask_b32 v10, v10, v14, s3
	s_delay_alu instid0(VALU_DEP_3) | instskip(NEXT) | instid1(VALU_DEP_1)
	v_cndmask_b32_e64 v14, v14, v11, s3
	v_alignbit_b32 v18, v10, v14, v15
	s_delay_alu instid0(VALU_DEP_1) | instskip(NEXT) | instid1(VALU_DEP_1)
	v_dual_cndmask_b32 v11, v11, v17, s3 :: v_dual_cndmask_b32 v9, v18, v10, vcc_lo
	v_alignbit_b32 v16, v14, v11, v15
	v_cndmask_b32_e64 v10, v13, v12, s2
	s_delay_alu instid0(VALU_DEP_3) | instskip(NEXT) | instid1(VALU_DEP_3)
	v_bfe_u32 v13, v9, 29, 1
	v_cndmask_b32_e32 v12, v16, v14, vcc_lo
	s_delay_alu instid0(VALU_DEP_2) | instskip(NEXT) | instid1(VALU_DEP_2)
	v_dual_cndmask_b32 v10, v17, v10, s3 :: v_dual_sub_nc_u32 v16, 0, v13
	v_alignbit_b32 v14, v9, v12, 30
	s_delay_alu instid0(VALU_DEP_2) | instskip(NEXT) | instid1(VALU_DEP_1)
	v_alignbit_b32 v15, v11, v10, v15
	v_dual_cndmask_b32 v11, v15, v11, vcc_lo :: v_dual_bitop2_b32 v14, v14, v16 bitop3:0x14
	s_delay_alu instid0(VALU_DEP_1) | instskip(NEXT) | instid1(VALU_DEP_2)
	v_clz_i32_u32_e32 v15, v14
	v_alignbit_b32 v12, v12, v11, 30
	v_alignbit_b32 v10, v11, v10, 30
	s_delay_alu instid0(VALU_DEP_3) | instskip(NEXT) | instid1(VALU_DEP_3)
	v_min_u32_e32 v15, 32, v15
	v_xor_b32_e32 v11, v12, v16
	s_delay_alu instid0(VALU_DEP_3) | instskip(NEXT) | instid1(VALU_DEP_3)
	v_dual_lshrrev_b32 v16, 29, v9 :: v_dual_bitop2_b32 v10, v10, v16 bitop3:0x14
	v_dual_lshrrev_b32 v9, 30, v9 :: v_dual_sub_nc_u32 v12, 31, v15
	v_lshlrev_b32_e32 v17, 23, v15
	s_delay_alu instid0(VALU_DEP_2) | instskip(NEXT) | instid1(VALU_DEP_4)
	v_alignbit_b32 v14, v14, v11, v12
	v_alignbit_b32 v10, v11, v10, v12
	v_lshlrev_b32_e32 v11, 31, v16
	s_delay_alu instid0(VALU_DEP_2) | instskip(NEXT) | instid1(VALU_DEP_2)
	v_alignbit_b32 v12, v14, v10, 9
	v_dual_lshrrev_b32 v14, 9, v14 :: v_dual_bitop2_b32 v16, 0.5, v11 bitop3:0x54
	v_or_b32_e32 v11, 0x33000000, v11
	s_delay_alu instid0(VALU_DEP_3) | instskip(NEXT) | instid1(VALU_DEP_3)
	v_clz_i32_u32_e32 v18, v12
	v_sub_nc_u32_e32 v16, v16, v17
	s_delay_alu instid0(VALU_DEP_2) | instskip(NEXT) | instid1(VALU_DEP_1)
	v_min_u32_e32 v17, 32, v18
	v_add_lshl_u32 v15, v17, v15, 23
	s_delay_alu instid0(VALU_DEP_1) | instskip(SKIP_1) | instid1(VALU_DEP_1)
	v_dual_sub_nc_u32 v11, v11, v15 :: v_dual_bitop2_b32 v14, v14, v16 bitop3:0x54
	v_not_b32_e32 v16, v17
	v_alignbit_b32 v10, v12, v10, v16
	s_delay_alu instid0(VALU_DEP_1) | instskip(NEXT) | instid1(VALU_DEP_4)
	v_lshrrev_b32_e32 v10, 9, v10
	v_mul_f32_e32 v18, 0x3fc90fda, v14
	s_delay_alu instid0(VALU_DEP_2) | instskip(NEXT) | instid1(VALU_DEP_2)
	v_or_b32_e32 v10, v11, v10
	v_fma_f32 v12, 0x3fc90fda, v14, -v18
	s_delay_alu instid0(VALU_DEP_1) | instskip(NEXT) | instid1(VALU_DEP_1)
	v_dual_fmamk_f32 v12, v14, 0x33a22168, v12 :: v_dual_add_nc_u32 v11, v13, v9
	v_fmac_f32_e32 v12, 0x3fc90fda, v10
	s_delay_alu instid0(VALU_DEP_1)
	v_add_f32_e32 v10, v18, v12
                                        ; implicit-def: $vgpr12
	s_and_not1_saveexec_b32 s2, s4
	s_cbranch_execnz .LBB13_18
	s_branch .LBB13_19
.LBB13_17:
	s_and_not1_saveexec_b32 s2, s4
.LBB13_18:
	v_rndne_f32_e32 v9, v12
	s_delay_alu instid0(VALU_DEP_1) | instskip(SKIP_1) | instid1(VALU_DEP_2)
	v_fma_f32 v10, 0xbfc90fda, v9, |v1|
	v_cvt_i32_f32_e32 v11, v9
	v_fmamk_f32 v10, v9, 0xb3a22168, v10
	s_delay_alu instid0(VALU_DEP_1)
	v_fmamk_f32 v10, v9, 0xa7c234c4, v10
.LBB13_19:
	s_or_b32 exec_lo, exec_lo, s2
	v_mad_u32 v9, v3, s9, v2
	v_mul_lo_u32 v12, v4, s5
	s_load_b128 s[0:3], s[0:1], 0x0
	s_ashr_i32 s5, s17, 31
	s_mov_b32 s4, s17
	v_mad_u32 v2, v3, s16, v2
	s_lshl_b64 s[4:5], s[4:5], 1
	v_dual_lshlrev_b32 v11, 30, v11 :: v_dual_bitop2_b32 v3, 1, v11 bitop3:0x40
	s_delay_alu instid0(VALU_DEP_4) | instskip(NEXT) | instid1(VALU_DEP_4)
	v_mad_u32 v9, v4, s8, v9
	v_sub_nc_u32_e32 v5, v5, v12
	s_delay_alu instid0(VALU_DEP_3) | instskip(SKIP_1) | instid1(VALU_DEP_3)
	v_and_b32_e32 v11, 0x80000000, v11
	v_mad_u32 v2, v4, s11, v2
	v_mad_u32 v12, v5, s7, v9
	s_delay_alu instid0(VALU_DEP_1) | instskip(SKIP_1) | instid1(VALU_DEP_1)
	v_ashrrev_i32_e32 v13, 31, v12
	s_wait_kmcnt 0x0
	v_lshl_add_u64 v[14:15], v[12:13], 1, s[0:1]
	s_delay_alu instid0(VALU_DEP_1)
	v_add_nc_u64_e32 v[14:15], s[4:5], v[14:15]
	s_clause 0x1
	global_load_u16 v9, v[14:15], off
	global_load_u16 v13, v12, s[0:1] scale_offset
	s_wait_xcnt 0x0
	v_dual_mul_f32 v12, v7, v7 :: v_dual_bitop2_b32 v14, 1, v8 bitop3:0x40
	v_dual_mul_f32 v15, v10, v10 :: v_dual_lshlrev_b32 v8, 30, v8
	s_mov_b32 s0, 0xb94c1982
	s_mov_b32 s1, 0x37d75334
	s_delay_alu instid0(VALU_DEP_2) | instskip(SKIP_3) | instid1(VALU_DEP_3)
	v_cmp_eq_u32_e32 vcc_lo, 0, v14
	v_fmaak_f32 v17, s1, v12, 0xbab64f3b
	v_fmaak_f32 v18, s0, v15, 0x3c0881c4
	v_xor_b32_e32 v20, v0, v1
	v_fmaak_f32 v17, v12, v17, 0x3d2aabf7
	s_delay_alu instid0(VALU_DEP_3) | instskip(SKIP_1) | instid1(VALU_DEP_1)
	v_fmaak_f32 v18, v15, v18, 0xbe2aaa9d
	v_fmaak_f32 v16, s0, v12, 0x3c0881c4
	v_fmaak_f32 v16, v12, v16, 0xbe2aaa9d
	s_delay_alu instid0(VALU_DEP_1) | instskip(NEXT) | instid1(VALU_DEP_4)
	v_dual_fmaak_f32 v19, s1, v15, 0xbab64f3b :: v_dual_mul_f32 v0, v12, v16
	v_dual_fmaak_f32 v16, v12, v17, 0xbf000004 :: v_dual_mul_f32 v17, v15, v18
	s_delay_alu instid0(VALU_DEP_2) | instskip(NEXT) | instid1(VALU_DEP_3)
	v_fmaak_f32 v19, v15, v19, 0x3d2aabf7
	v_fmac_f32_e32 v7, v7, v0
	s_delay_alu instid0(VALU_DEP_3) | instskip(NEXT) | instid1(VALU_DEP_1)
	v_fma_f32 v0, v12, v16, 1.0
	v_dual_fmac_f32 v10, v10, v17 :: v_dual_cndmask_b32 v7, -v7, v0, vcc_lo
	v_cmp_eq_u32_e32 vcc_lo, 0, v3
	v_fmaak_f32 v18, v15, v19, 0xbf000004
	v_mad_u32 v0, v5, s10, v2
	s_delay_alu instid0(VALU_DEP_4) | instskip(NEXT) | instid1(VALU_DEP_3)
	v_bitop3_b32 v2, v8, v7, 0x80000000 bitop3:0x6c
	v_fma_f32 v4, v15, v18, 1.0
	s_delay_alu instid0(VALU_DEP_1) | instskip(SKIP_2) | instid1(VALU_DEP_3)
	v_cndmask_b32_e32 v3, v4, v10, vcc_lo
	v_cmp_class_f32_e64 vcc_lo, v1, 0x1f8
	v_ashrrev_i32_e32 v1, 31, v0
	v_xor3_b32 v3, v20, v11, v3
	s_wait_loadcnt 0x1
	v_cvt_f32_f16_e32 v7, v9
	s_wait_loadcnt 0x0
	v_cvt_f32_f16_e32 v8, v13
	v_cndmask_b32_e32 v4, 0x7fc00000, v2, vcc_lo
	v_cndmask_b32_e32 v2, 0x7fc00000, v3, vcc_lo
	s_delay_alu instid0(VALU_DEP_1) | instskip(SKIP_1) | instid1(VALU_DEP_2)
	v_mul_f32_e32 v5, v6, v2
	v_lshl_add_u64 v[2:3], v[0:1], 1, s[2:3]
	v_dual_mul_f32 v1, v6, v4 :: v_dual_mul_f32 v4, v5, v7
	v_mul_f32_e32 v5, v5, v8
	s_delay_alu instid0(VALU_DEP_3) | instskip(NEXT) | instid1(VALU_DEP_3)
	v_add_nc_u64_e32 v[2:3], s[4:5], v[2:3]
	v_fma_mixlo_f16 v4, v1, v13, -v4 op_sel_hi:[0,1,0]
	s_delay_alu instid0(VALU_DEP_3)
	v_fma_mixlo_f16 v1, v1, v9, v5 op_sel_hi:[0,1,0]
	s_clause 0x1
	global_store_b16 v0, v4, s[2:3] scale_offset
	global_store_b16 v[2:3], v1, off
.LBB13_20:
	s_endpgm
	.section	.rodata,"a",@progbits
	.p2align	6, 0x0
	.amdhsa_kernel _ZL11rope_visionILb1ELb1E6__halfEvPKT1_PS1_iiiiiiiiiiPKifff14rope_corr_dimsfPKf14mrope_sections
		.amdhsa_group_segment_fixed_size 0
		.amdhsa_private_segment_fixed_size 0
		.amdhsa_kernarg_size 368
		.amdhsa_user_sgpr_count 2
		.amdhsa_user_sgpr_dispatch_ptr 0
		.amdhsa_user_sgpr_queue_ptr 0
		.amdhsa_user_sgpr_kernarg_segment_ptr 1
		.amdhsa_user_sgpr_dispatch_id 0
		.amdhsa_user_sgpr_kernarg_preload_length 0
		.amdhsa_user_sgpr_kernarg_preload_offset 0
		.amdhsa_user_sgpr_private_segment_size 0
		.amdhsa_wavefront_size32 1
		.amdhsa_uses_dynamic_stack 0
		.amdhsa_enable_private_segment 0
		.amdhsa_system_sgpr_workgroup_id_x 1
		.amdhsa_system_sgpr_workgroup_id_y 1
		.amdhsa_system_sgpr_workgroup_id_z 0
		.amdhsa_system_sgpr_workgroup_info 0
		.amdhsa_system_vgpr_workitem_id 1
		.amdhsa_next_free_vgpr 26
		.amdhsa_next_free_sgpr 21
		.amdhsa_named_barrier_count 0
		.amdhsa_reserve_vcc 1
		.amdhsa_float_round_mode_32 0
		.amdhsa_float_round_mode_16_64 0
		.amdhsa_float_denorm_mode_32 3
		.amdhsa_float_denorm_mode_16_64 3
		.amdhsa_fp16_overflow 0
		.amdhsa_memory_ordered 1
		.amdhsa_forward_progress 1
		.amdhsa_inst_pref_size 38
		.amdhsa_round_robin_scheduling 0
		.amdhsa_exception_fp_ieee_invalid_op 0
		.amdhsa_exception_fp_denorm_src 0
		.amdhsa_exception_fp_ieee_div_zero 0
		.amdhsa_exception_fp_ieee_overflow 0
		.amdhsa_exception_fp_ieee_underflow 0
		.amdhsa_exception_fp_ieee_inexact 0
		.amdhsa_exception_int_div_zero 0
	.end_amdhsa_kernel
	.section	.text._ZL11rope_visionILb1ELb1E6__halfEvPKT1_PS1_iiiiiiiiiiPKifff14rope_corr_dimsfPKf14mrope_sections,"axG",@progbits,_ZL11rope_visionILb1ELb1E6__halfEvPKT1_PS1_iiiiiiiiiiPKifff14rope_corr_dimsfPKf14mrope_sections,comdat
.Lfunc_end13:
	.size	_ZL11rope_visionILb1ELb1E6__halfEvPKT1_PS1_iiiiiiiiiiPKifff14rope_corr_dimsfPKf14mrope_sections, .Lfunc_end13-_ZL11rope_visionILb1ELb1E6__halfEvPKT1_PS1_iiiiiiiiiiPKifff14rope_corr_dimsfPKf14mrope_sections
                                        ; -- End function
	.set _ZL11rope_visionILb1ELb1E6__halfEvPKT1_PS1_iiiiiiiiiiPKifff14rope_corr_dimsfPKf14mrope_sections.num_vgpr, 26
	.set _ZL11rope_visionILb1ELb1E6__halfEvPKT1_PS1_iiiiiiiiiiPKifff14rope_corr_dimsfPKf14mrope_sections.num_agpr, 0
	.set _ZL11rope_visionILb1ELb1E6__halfEvPKT1_PS1_iiiiiiiiiiPKifff14rope_corr_dimsfPKf14mrope_sections.numbered_sgpr, 21
	.set _ZL11rope_visionILb1ELb1E6__halfEvPKT1_PS1_iiiiiiiiiiPKifff14rope_corr_dimsfPKf14mrope_sections.num_named_barrier, 0
	.set _ZL11rope_visionILb1ELb1E6__halfEvPKT1_PS1_iiiiiiiiiiPKifff14rope_corr_dimsfPKf14mrope_sections.private_seg_size, 0
	.set _ZL11rope_visionILb1ELb1E6__halfEvPKT1_PS1_iiiiiiiiiiPKifff14rope_corr_dimsfPKf14mrope_sections.uses_vcc, 1
	.set _ZL11rope_visionILb1ELb1E6__halfEvPKT1_PS1_iiiiiiiiiiPKifff14rope_corr_dimsfPKf14mrope_sections.uses_flat_scratch, 0
	.set _ZL11rope_visionILb1ELb1E6__halfEvPKT1_PS1_iiiiiiiiiiPKifff14rope_corr_dimsfPKf14mrope_sections.has_dyn_sized_stack, 0
	.set _ZL11rope_visionILb1ELb1E6__halfEvPKT1_PS1_iiiiiiiiiiPKifff14rope_corr_dimsfPKf14mrope_sections.has_recursion, 0
	.set _ZL11rope_visionILb1ELb1E6__halfEvPKT1_PS1_iiiiiiiiiiPKifff14rope_corr_dimsfPKf14mrope_sections.has_indirect_call, 0
	.section	.AMDGPU.csdata,"",@progbits
; Kernel info:
; codeLenInByte = 4772
; TotalNumSgprs: 23
; NumVgprs: 26
; ScratchSize: 0
; MemoryBound: 0
; FloatMode: 240
; IeeeMode: 1
; LDSByteSize: 0 bytes/workgroup (compile time only)
; SGPRBlocks: 0
; VGPRBlocks: 1
; NumSGPRsForWavesPerEU: 23
; NumVGPRsForWavesPerEU: 26
; NamedBarCnt: 0
; Occupancy: 16
; WaveLimiterHint : 0
; COMPUTE_PGM_RSRC2:SCRATCH_EN: 0
; COMPUTE_PGM_RSRC2:USER_SGPR: 2
; COMPUTE_PGM_RSRC2:TRAP_HANDLER: 0
; COMPUTE_PGM_RSRC2:TGID_X_EN: 1
; COMPUTE_PGM_RSRC2:TGID_Y_EN: 1
; COMPUTE_PGM_RSRC2:TGID_Z_EN: 0
; COMPUTE_PGM_RSRC2:TIDIG_COMP_CNT: 1
	.section	.text._ZL9rope_normILb1ELb0EffEvPKT1_PT2_iiiiiiiiiiPKifff14rope_corr_dimsfPKfPKli,"axG",@progbits,_ZL9rope_normILb1ELb0EffEvPKT1_PT2_iiiiiiiiiiPKifff14rope_corr_dimsfPKfPKli,comdat
	.globl	_ZL9rope_normILb1ELb0EffEvPKT1_PT2_iiiiiiiiiiPKifff14rope_corr_dimsfPKfPKli ; -- Begin function _ZL9rope_normILb1ELb0EffEvPKT1_PT2_iiiiiiiiiiPKifff14rope_corr_dimsfPKfPKli
	.p2align	8
	.type	_ZL9rope_normILb1ELb0EffEvPKT1_PT2_iiiiiiiiiiPKifff14rope_corr_dimsfPKfPKli,@function
_ZL9rope_normILb1ELb0EffEvPKT1_PT2_iiiiiiiiiiPKifff14rope_corr_dimsfPKfPKli: ; @_ZL9rope_normILb1ELb0EffEvPKT1_PT2_iiiiiiiiiiPKifff14rope_corr_dimsfPKfPKli
; %bb.0:
	s_clause 0x1
	s_load_u16 s3, s[0:1], 0x7e
	s_load_b256 s[4:11], s[0:1], 0x10
	s_bfe_u32 s2, ttmp6, 0x40010
	s_bfe_u32 s13, ttmp6, 0x40004
	s_add_co_i32 s2, s2, 1
	v_bfe_u32 v1, v0, 10, 10
	s_mul_i32 s12, ttmp7, s2
	s_getreg_b32 s2, hwreg(HW_REG_IB_STS2, 6, 4)
	s_add_co_i32 s13, s13, s12
	s_cmp_eq_u32 s2, 0
	s_cselect_b32 s12, ttmp7, s13
	s_wait_kmcnt 0x0
	s_mul_i32 s12, s12, s3
	s_mov_b32 s3, exec_lo
	v_add_lshl_u32 v7, s12, v1, 1
	s_delay_alu instid0(VALU_DEP_1)
	v_cmpx_gt_i32_e64 s4, v7
	s_cbranch_execz .LBB14_19
; %bb.1:
	s_add_nc_u64 s[12:13], s[0:1], 0x70
	s_bfe_u32 s4, ttmp6, 0x4000c
	s_load_b32 s3, s[12:13], 0xc
	s_add_co_i32 s4, s4, 1
	s_wait_xcnt 0x0
	s_and_b32 s12, ttmp6, 15
	s_mul_i32 s4, ttmp9, s4
	v_and_b32_e32 v0, 0x3ff, v0
	s_add_co_i32 s12, s12, s4
	s_wait_kmcnt 0x0
	s_and_b32 s3, s3, 0xffff
	s_cmp_eq_u32 s2, 0
	s_mul_i32 s2, s6, s5
	s_cselect_b32 s4, ttmp9, s12
	s_abs_i32 s6, s2
	v_mad_u32 v2, s4, s3, v0
	s_cvt_f32_u32 s12, s6
	s_sub_co_i32 s4, 0, s6
	s_delay_alu instid0(SALU_CYCLE_2) | instskip(NEXT) | instid1(VALU_DEP_1)
	v_rcp_iflag_f32_e32 v1, s12
	v_sub_nc_u32_e32 v0, 0, v2
	s_delay_alu instid0(TRANS32_DEP_1) | instskip(NEXT) | instid1(VALU_DEP_2)
	v_readfirstlane_b32 s3, v1
	v_max_i32_e32 v0, v2, v0
	s_mul_f32 s3, s3, 0x4f7ffffe
	s_delay_alu instid0(SALU_CYCLE_3) | instskip(NEXT) | instid1(SALU_CYCLE_3)
	s_cvt_u32_f32 s3, s3
	s_mul_i32 s4, s4, s3
	s_delay_alu instid0(SALU_CYCLE_1) | instskip(NEXT) | instid1(SALU_CYCLE_1)
	s_mul_hi_u32 s4, s3, s4
	s_add_co_i32 s3, s3, s4
	s_load_b32 s4, s[0:1], 0x68
	v_mul_hi_u32 v1, v0, s3
	s_cvt_f32_u32 s3, s5
	s_delay_alu instid0(VALU_DEP_1) | instskip(NEXT) | instid1(VALU_DEP_1)
	v_mul_lo_u32 v3, v1, s6
	v_dual_sub_nc_u32 v0, v0, v3 :: v_dual_add_nc_u32 v3, 1, v1
	s_delay_alu instid0(VALU_DEP_1) | instskip(NEXT) | instid1(VALU_DEP_2)
	v_cmp_le_u32_e32 vcc_lo, s6, v0
	v_dual_cndmask_b32 v1, v1, v3, vcc_lo :: v_dual_bitop2_b32 v3, s2, v2 bitop3:0x14
	v_subrev_nc_u32_e32 v4, s6, v0
	s_delay_alu instid0(VALU_DEP_1) | instskip(NEXT) | instid1(VALU_DEP_1)
	v_dual_cndmask_b32 v0, v0, v4, vcc_lo :: v_dual_add_nc_u32 v4, 1, v1
	v_cmp_le_u32_e32 vcc_lo, s6, v0
	s_delay_alu instid0(VALU_DEP_2) | instskip(SKIP_1) | instid1(VALU_DEP_1)
	v_dual_cndmask_b32 v0, v1, v4 :: v_dual_ashrrev_i32 v3, 31, v3
	v_rcp_iflag_f32_e32 v1, s3
	v_xor_b32_e32 v0, v0, v3
	s_delay_alu instid0(TRANS32_DEP_1) | instskip(NEXT) | instid1(VALU_DEP_2)
	v_readfirstlane_b32 s3, v1
	v_sub_nc_u32_e32 v0, v0, v3
	s_delay_alu instid0(VALU_DEP_1) | instskip(SKIP_2) | instid1(SALU_CYCLE_2)
	v_mul_lo_u32 v1, s2, v0
	s_mul_f32 s2, s3, 0x4f7ffffe
	s_sub_co_i32 s3, 0, s5
	s_cvt_u32_f32 s2, s2
	s_delay_alu instid0(SALU_CYCLE_3) | instskip(NEXT) | instid1(VALU_DEP_1)
	s_mul_i32 s3, s3, s2
	v_sub_nc_u32_e32 v1, v2, v1
	s_mul_hi_u32 s3, s2, s3
	s_delay_alu instid0(SALU_CYCLE_1)
	s_add_co_i32 s2, s2, s3
	s_delay_alu instid0(VALU_DEP_1) | instid1(SALU_CYCLE_1)
	v_mul_hi_u32 v2, v1, s2
	s_load_b64 s[2:3], s[0:1], 0x30
	s_wait_kmcnt 0x0
	s_cmp_eq_u32 s4, 0
	s_delay_alu instid0(VALU_DEP_1) | instskip(NEXT) | instid1(VALU_DEP_1)
	v_mul_lo_u32 v3, v2, s5
	v_sub_nc_u32_e32 v3, v1, v3
	s_delay_alu instid0(VALU_DEP_1) | instskip(SKIP_1) | instid1(VALU_DEP_2)
	v_subrev_nc_u32_e32 v5, s5, v3
	v_cmp_le_u32_e32 vcc_lo, s5, v3
	v_dual_cndmask_b32 v3, v3, v5 :: v_dual_add_nc_u32 v4, 1, v2
	s_delay_alu instid0(VALU_DEP_1) | instskip(NEXT) | instid1(VALU_DEP_2)
	v_cndmask_b32_e32 v2, v2, v4, vcc_lo
	v_cmp_le_u32_e32 vcc_lo, s5, v3
	s_delay_alu instid0(VALU_DEP_2) | instskip(NEXT) | instid1(VALU_DEP_1)
	v_add_nc_u32_e32 v4, 1, v2
	v_cndmask_b32_e32 v4, v2, v4, vcc_lo
	s_cbranch_scc1 .LBB14_3
; %bb.2:
	s_load_b64 s[12:13], s[0:1], 0x60
	v_mov_b32_e32 v5, 0
	s_wait_kmcnt 0x0
	s_delay_alu instid0(VALU_DEP_1)
	v_lshl_add_u64 v[2:3], v[4:5], 3, s[12:13]
	global_load_b32 v2, v[2:3], off
	s_wait_loadcnt 0x0
	v_mul_lo_u32 v3, s4, v2
	s_branch .LBB14_4
.LBB14_3:
	v_mul_lo_u32 v2, v0, s2
	s_delay_alu instid0(VALU_DEP_1)
	v_mad_u32 v3, v4, s11, v2
.LBB14_4:
	v_mad_u32 v0, v0, s9, v7
	v_mul_lo_u32 v2, v4, s5
	s_mov_b32 s2, exec_lo
	s_delay_alu instid0(VALU_DEP_2) | instskip(NEXT) | instid1(VALU_DEP_2)
	v_mad_u32 v0, v4, s8, v0
	v_sub_nc_u32_e32 v1, v1, v2
	s_delay_alu instid0(VALU_DEP_1) | instskip(SKIP_1) | instid1(VALU_DEP_3)
	v_mul_lo_u32 v5, v1, s10
	s_load_b128 s[8:11], s[0:1], 0x0
	v_mad_u32 v2, v1, s7, v0
	s_delay_alu instid0(VALU_DEP_2) | instskip(NEXT) | instid1(VALU_DEP_1)
	v_add3_u32 v0, v5, v7, v3
	v_dual_ashrrev_i32 v1, 31, v0 :: v_dual_ashrrev_i32 v3, 31, v2
	v_cmpx_le_i32_e64 s3, v7
	s_xor_b32 s2, exec_lo, s2
	s_cbranch_execz .LBB14_6
; %bb.5:
	s_wait_kmcnt 0x0
	v_lshl_add_u64 v[2:3], v[2:3], 2, s[8:9]
	v_lshl_add_u64 v[0:1], v[0:1], 2, s[10:11]
                                        ; implicit-def: $vgpr4
                                        ; implicit-def: $vgpr7
	global_load_b64 v[2:3], v[2:3], off
	s_wait_loadcnt 0x0
	global_store_b64 v[0:1], v[2:3], off
                                        ; implicit-def: $vgpr2
                                        ; implicit-def: $vgpr0
.LBB14_6:
	s_wait_xcnt 0x0
	s_and_not1_saveexec_b32 s2, s2
	s_cbranch_execz .LBB14_19
; %bb.7:
	s_load_b64 s[6:7], s[0:1], 0x50
	v_cvt_f32_i32_e32 v5, v7
	s_mov_b32 s4, 0x3e76c4e1
	s_clause 0x1
	s_load_b64 s[2:3], s[0:1], 0x38
	s_load_b128 s[12:15], s[0:1], 0x40
	v_mul_f32_e32 v5, 0.5, v5
	s_wait_kmcnt 0x0
	s_cmp_neq_f32 s7, 1.0
	global_load_b32 v24, v4, s[2:3] scale_offset
	s_cselect_b32 vcc_lo, -1, 0
	v_cndmask_b32_e32 v6, 1.0, v5, vcc_lo
	s_delay_alu instid0(VALU_DEP_1) | instskip(SKIP_1) | instid1(VALU_DEP_1)
	v_cmp_neq_f32_e32 vcc_lo, 0, v6
	v_cndmask_b32_e64 v5, 1.0, s7, vcc_lo
	v_frexp_mant_f32_e64 v8, |v5|
	v_cmp_lt_f32_e64 s7, |v5|, 1.0
	v_cmp_class_f32_e64 s0, v5, 0x204
	s_delay_alu instid0(VALU_DEP_3) | instskip(SKIP_1) | instid1(VALU_DEP_1)
	v_cmp_gt_f32_e32 vcc_lo, 0x3f2aaaab, v8
	v_cndmask_b32_e64 v9, 1.0, 2.0, vcc_lo
	v_mul_f32_e32 v8, v8, v9
	s_delay_alu instid0(VALU_DEP_1) | instskip(SKIP_1) | instid1(VALU_DEP_2)
	v_dual_add_f32 v11, 1.0, v8 :: v_dual_add_f32 v9, -1.0, v8
	v_cmp_neq_f32_e64 s5, v6, |v6|
	v_rcp_f32_e32 v14, v11
	v_add_f32_e32 v12, -1.0, v11
	s_xor_b32 s5, s5, s7
	s_delay_alu instid0(TRANS32_DEP_1) | instid1(VALU_DEP_1)
	v_dual_mul_f32 v15, v9, v14 :: v_dual_sub_f32 v8, v8, v12
	s_delay_alu instid0(VALU_DEP_1) | instskip(NEXT) | instid1(VALU_DEP_1)
	v_mul_f32_e32 v10, v11, v15
	v_fma_f32 v12, v15, v11, -v10
	s_delay_alu instid0(VALU_DEP_1) | instskip(NEXT) | instid1(VALU_DEP_1)
	v_fmac_f32_e32 v12, v15, v8
	v_add_f32_e32 v8, v10, v12
	s_delay_alu instid0(VALU_DEP_1) | instskip(NEXT) | instid1(VALU_DEP_1)
	v_dual_sub_f32 v11, v9, v8 :: v_dual_mov_b32 v13, v8
	v_pk_add_f32 v[8:9], v[8:9], v[10:11] neg_lo:[0,1] neg_hi:[0,1]
	s_delay_alu instid0(VALU_DEP_1) | instskip(NEXT) | instid1(VALU_DEP_1)
	v_pk_add_f32 v[8:9], v[8:9], v[12:13] neg_lo:[0,1] neg_hi:[0,1]
	v_add_f32_e32 v8, v8, v9
	s_delay_alu instid0(VALU_DEP_1) | instskip(NEXT) | instid1(VALU_DEP_1)
	v_add_f32_e32 v8, v11, v8
	v_mul_f32_e32 v9, v14, v8
	s_delay_alu instid0(VALU_DEP_1) | instskip(NEXT) | instid1(VALU_DEP_1)
	v_add_f32_e32 v8, v15, v9
	v_sub_f32_e32 v10, v8, v15
	s_delay_alu instid0(VALU_DEP_1) | instskip(NEXT) | instid1(VALU_DEP_1)
	v_sub_f32_e32 v20, v9, v10
	v_add_f32_e32 v10, v20, v20
	v_mul_f32_e32 v11, v8, v8
	s_delay_alu instid0(VALU_DEP_1) | instskip(NEXT) | instid1(VALU_DEP_1)
	v_fma_f32 v9, v8, v8, -v11
	v_fmac_f32_e32 v9, v8, v10
	s_delay_alu instid0(VALU_DEP_1) | instskip(NEXT) | instid1(VALU_DEP_1)
	v_add_f32_e32 v10, v11, v9
	v_dual_fmaak_f32 v12, s4, v10, 0x3e91f4c4 :: v_dual_sub_f32 v11, v10, v11
	v_cmp_eq_f32_e64 s4, 0, v5
	s_delay_alu instid0(VALU_DEP_2) | instskip(SKIP_1) | instid1(VALU_DEP_2)
	v_fmaak_f32 v14, v10, v12, 0x3ecccdef
	v_cvt_f64_f32_e64 v[12:13], |v5|
	v_dual_sub_f32 v18, v9, v11 :: v_dual_mul_f32 v15, v10, v14
	s_delay_alu instid0(VALU_DEP_1) | instskip(NEXT) | instid1(VALU_DEP_1)
	v_fma_f32 v9, v10, v14, -v15
	v_fmac_f32_e32 v9, v18, v14
	s_wait_xcnt 0x0
	s_delay_alu instid0(VALU_DEP_1) | instskip(NEXT) | instid1(VALU_DEP_1)
	v_add_f32_e32 v4, v15, v9
	v_sub_f32_e32 v11, v4, v15
	v_add_f32_e32 v15, 0x3f2aaaaa, v4
	s_delay_alu instid0(VALU_DEP_2) | instskip(NEXT) | instid1(VALU_DEP_2)
	v_sub_f32_e32 v9, v9, v11
	v_add_f32_e32 v11, 0xbf2aaaaa, v15
	v_frexp_exp_i32_f64_e32 v19, v[12:13]
	s_delay_alu instid0(VALU_DEP_3) | instskip(NEXT) | instid1(VALU_DEP_3)
	v_add_f32_e32 v9, 0x31739010, v9
	v_sub_f32_e32 v11, v4, v11
	s_delay_alu instid0(VALU_DEP_1) | instskip(NEXT) | instid1(VALU_DEP_1)
	v_pk_mul_f32 v[12:13], v[8:9], v[10:11]
	v_fma_f32 v14, v10, v8, -v12
	s_delay_alu instid0(VALU_DEP_1) | instskip(SKIP_1) | instid1(VALU_DEP_1)
	v_fmac_f32_e32 v14, v10, v20
	v_pk_add_f32 v[16:17], v[8:9], v[10:11]
	v_dual_fmac_f32 v14, v18, v8 :: v_dual_mov_b32 v13, v17
	s_delay_alu instid0(VALU_DEP_1) | instskip(SKIP_1) | instid1(VALU_DEP_2)
	v_pk_add_f32 v[10:11], v[12:13], v[14:15]
	v_subrev_co_ci_u32_e64 v9, null, 0, v19, vcc_lo
	v_mov_b32_e32 v4, v11
	v_sub_f32_e32 v13, v15, v11
	s_delay_alu instid0(VALU_DEP_2) | instskip(NEXT) | instid1(VALU_DEP_4)
	v_pk_mul_f32 v[18:19], v[10:11], v[4:5]
	v_cvt_f32_i32_e32 v4, v9
	s_delay_alu instid0(VALU_DEP_3) | instskip(NEXT) | instid1(VALU_DEP_3)
	v_dual_sub_f32 v9, v10, v12 :: v_dual_add_f32 v13, v17, v13
	v_fma_f32 v12, v10, v11, -v18
	s_delay_alu instid0(VALU_DEP_2) | instskip(NEXT) | instid1(VALU_DEP_2)
	v_dual_mul_f32 v16, 0x3f317218, v4 :: v_dual_sub_f32 v9, v14, v9
	v_fmac_f32_e32 v12, v10, v13
	s_delay_alu instid0(VALU_DEP_2) | instskip(NEXT) | instid1(VALU_DEP_2)
	v_fma_f32 v10, 0x3f317218, v4, -v16
	v_fmac_f32_e32 v12, v9, v11
	s_delay_alu instid0(VALU_DEP_2) | instskip(SKIP_2) | instid1(VALU_DEP_2)
	v_fmamk_f32 v10, v4, 0xb102e308, v10
	v_ldexp_f32 v11, v8, 1
	v_ldexp_f32 v4, v20, 1
	v_dual_add_f32 v17, v18, v12 :: v_dual_mov_b32 v19, v11
	s_delay_alu instid0(VALU_DEP_1) | instskip(SKIP_1) | instid1(VALU_DEP_2)
	v_pk_add_f32 v[8:9], v[16:17], v[10:11]
	v_dual_mov_b32 v14, v17 :: v_dual_mov_b32 v13, v17
	v_dual_mov_b32 v15, v9 :: v_dual_mov_b32 v11, v8
	v_mov_b32_e32 v22, v9
	s_delay_alu instid0(VALU_DEP_2) | instskip(NEXT) | instid1(VALU_DEP_1)
	v_pk_add_f32 v[14:15], v[14:15], v[18:19] neg_lo:[0,1] neg_hi:[0,1]
	v_pk_add_f32 v[12:13], v[12:13], v[14:15] neg_lo:[0,1] neg_hi:[0,1]
	s_delay_alu instid0(VALU_DEP_1) | instskip(NEXT) | instid1(VALU_DEP_1)
	v_add_f32_e32 v4, v4, v12
	v_add_f32_e32 v17, v4, v13
	s_delay_alu instid0(VALU_DEP_1) | instskip(SKIP_1) | instid1(VALU_DEP_2)
	v_pk_add_f32 v[12:13], v[8:9], v[16:17]
	v_pk_add_f32 v[14:15], v[8:9], v[16:17] neg_lo:[0,1] neg_hi:[0,1]
	v_mov_b32_e32 v15, v13
	s_delay_alu instid0(VALU_DEP_1) | instskip(SKIP_1) | instid1(VALU_DEP_2)
	v_pk_add_f32 v[18:19], v[10:11], v[14:15]
	v_pk_add_f32 v[10:11], v[10:11], v[14:15] neg_lo:[0,1] neg_hi:[0,1]
	v_dual_mov_b32 v4, v19 :: v_dual_mov_b32 v11, v19
	s_delay_alu instid0(VALU_DEP_1) | instskip(SKIP_1) | instid1(VALU_DEP_2)
	v_pk_add_f32 v[20:21], v[4:5], v[8:9] neg_lo:[0,1] neg_hi:[0,1]
	v_dual_mov_b32 v18, v13 :: v_dual_mov_b32 v9, v8
	v_dual_mov_b32 v8, v17 :: v_dual_mov_b32 v23, v20
	v_mov_b32_e32 v17, v20
	s_delay_alu instid0(VALU_DEP_2) | instskip(NEXT) | instid1(VALU_DEP_2)
	v_pk_add_f32 v[14:15], v[18:19], v[22:23] neg_lo:[0,1] neg_hi:[0,1]
	v_pk_add_f32 v[12:13], v[12:13], v[16:17] neg_lo:[0,1] neg_hi:[0,1]
	v_mov_b32_e32 v12, v10
	s_delay_alu instid0(VALU_DEP_3) | instskip(NEXT) | instid1(VALU_DEP_1)
	v_pk_add_f32 v[8:9], v[8:9], v[14:15] neg_lo:[0,1] neg_hi:[0,1]
	v_pk_add_f32 v[12:13], v[12:13], v[8:9]
	s_delay_alu instid0(VALU_DEP_1) | instskip(NEXT) | instid1(VALU_DEP_1)
	v_mov_b32_e32 v14, v13
	v_pk_add_f32 v[14:15], v[12:13], v[14:15]
	s_delay_alu instid0(VALU_DEP_1) | instskip(NEXT) | instid1(VALU_DEP_1)
	v_pk_add_f32 v[16:17], v[4:5], v[14:15]
	v_dual_mov_b32 v9, v14 :: v_dual_mov_b32 v13, v16
	s_delay_alu instid0(VALU_DEP_1) | instskip(NEXT) | instid1(VALU_DEP_1)
	v_pk_add_f32 v[18:19], v[12:13], v[10:11] neg_lo:[0,1] neg_hi:[0,1]
	v_sub_f32_e32 v4, v12, v18
	s_delay_alu instid0(VALU_DEP_2) | instskip(NEXT) | instid1(VALU_DEP_2)
	v_pk_add_f32 v[8:9], v[8:9], v[18:19] neg_lo:[0,1] neg_hi:[0,1]
	v_sub_f32_e32 v4, v10, v4
	s_delay_alu instid0(VALU_DEP_1) | instskip(NEXT) | instid1(VALU_DEP_1)
	v_add_f32_e32 v4, v8, v4
	v_add_f32_e32 v4, v4, v9
	s_delay_alu instid0(VALU_DEP_1) | instskip(NEXT) | instid1(VALU_DEP_1)
	v_add_f32_e32 v8, v16, v4
	v_sub_f32_e32 v9, v8, v16
	v_mul_f32_e32 v10, v6, v8
	s_delay_alu instid0(VALU_DEP_1) | instskip(SKIP_1) | instid1(VALU_DEP_2)
	v_dual_fma_f32 v8, v6, v8, -v10 :: v_dual_sub_f32 v4, v4, v9
	v_cmp_class_f32_e64 vcc_lo, v10, 0x204
	v_fmac_f32_e32 v8, v6, v4
	s_delay_alu instid0(VALU_DEP_1) | instskip(NEXT) | instid1(VALU_DEP_1)
	v_add_f32_e32 v4, v10, v8
	v_dual_cndmask_b32 v9, v4, v10 :: v_dual_sub_f32 v4, v4, v10
	s_delay_alu instid0(VALU_DEP_1) | instskip(NEXT) | instid1(VALU_DEP_2)
	v_cmp_eq_f32_e32 vcc_lo, 0x42b17218, v9
	v_sub_f32_e32 v4, v8, v4
	v_cndmask_b32_e64 v11, 0, 0x37000000, vcc_lo
	v_cmp_neq_f32_e64 vcc_lo, 0x7f800000, |v9|
	s_delay_alu instid0(VALU_DEP_1) | instskip(SKIP_1) | instid1(VALU_DEP_2)
	v_dual_sub_f32 v12, v9, v11 :: v_dual_cndmask_b32 v4, 0, v4, vcc_lo
	v_trunc_f32_e32 v9, v6
	v_mul_f32_e32 v13, 0x3fb8aa3b, v12
	v_cmp_ngt_f32_e32 vcc_lo, 0xc2ce8ed0, v12
	s_delay_alu instid0(VALU_DEP_4) | instskip(NEXT) | instid1(VALU_DEP_3)
	v_add_f32_e32 v4, v11, v4
	v_fma_f32 v14, 0x3fb8aa3b, v12, -v13
	v_rndne_f32_e32 v15, v13
	s_delay_alu instid0(VALU_DEP_1) | instskip(NEXT) | instid1(VALU_DEP_1)
	v_dual_fmamk_f32 v14, v12, 0x32a5705f, v14 :: v_dual_sub_f32 v13, v13, v15
	v_add_f32_e32 v13, v13, v14
	s_delay_alu instid0(VALU_DEP_1)
	v_exp_f32_e32 v10, v13
	v_nop
	v_cvt_i32_f32_e32 v13, v15
	s_delay_alu instid0(TRANS32_DEP_1) | instid1(VALU_DEP_1)
	v_ldexp_f32 v8, v10, v13
	s_delay_alu instid0(VALU_DEP_1) | instskip(SKIP_1) | instid1(VALU_DEP_2)
	v_dual_mul_f32 v10, 0.5, v6 :: v_dual_cndmask_b32 v8, 0, v8, vcc_lo
	v_cmp_nlt_f32_e32 vcc_lo, 0x42b17218, v12
	v_trunc_f32_e32 v13, v10
	s_delay_alu instid0(VALU_DEP_3) | instskip(SKIP_1) | instid1(VALU_DEP_3)
	v_cndmask_b32_e32 v8, 0x7f800000, v8, vcc_lo
	v_cmp_eq_f32_e32 vcc_lo, v9, v6
	v_cmp_neq_f32_e64 s2, v13, v10
	s_delay_alu instid0(VALU_DEP_3) | instskip(SKIP_2) | instid1(SALU_CYCLE_1)
	v_fma_f32 v4, v8, v4, v8
	v_cmp_class_f32_e64 s3, v8, 0x204
	s_and_b32 s2, vcc_lo, s2
	v_dual_cndmask_b32 v9, 1.0, v5, s2 :: v_dual_cndmask_b32 v11, 0, v5, s2
	v_cndmask_b32_e64 v4, v4, v8, s3
	v_cndmask_b32_e64 v8, 0x7f800000, 0, s5
	v_cmp_gt_f32_e64 s3, 0, v6
	s_delay_alu instid0(VALU_DEP_3) | instskip(SKIP_1) | instid1(SALU_CYCLE_1)
	v_bfi_b32 v4, 0x7fffffff, v4, v9
	s_xor_b32 s3, s3, s4
	v_cndmask_b32_e64 v9, 0x7f800000, 0, s3
	s_delay_alu instid0(VALU_DEP_2) | instskip(SKIP_1) | instid1(VALU_DEP_3)
	v_cndmask_b32_e32 v10, 0x7fc00000, v4, vcc_lo
	v_cmp_neq_f32_e64 vcc_lo, |v5|, 1.0
	v_bfi_b32 v9, 0x7fffffff, v9, v11
	v_cndmask_b32_e32 v8, 1.0, v8, vcc_lo
	v_cmp_gt_f32_e32 vcc_lo, 0, v5
	v_cndmask_b32_e32 v4, v4, v10, vcc_lo
	v_cmp_class_f32_e64 vcc_lo, v6, 0x204
	s_wait_loadcnt 0x0
	v_cvt_f32_i32_e32 v6, v24
	s_delay_alu instid0(VALU_DEP_3) | instskip(SKIP_2) | instid1(VALU_DEP_1)
	v_cndmask_b32_e32 v4, v4, v8, vcc_lo
	s_or_b32 vcc_lo, s4, s0
	s_cmp_eq_f32 s13, 0
	v_cndmask_b32_e32 v4, v4, v9, vcc_lo
	v_cmp_o_f32_e32 vcc_lo, v5, v5
	s_delay_alu instid0(VALU_DEP_2) | instskip(NEXT) | instid1(VALU_DEP_1)
	v_cndmask_b32_e32 v4, 0x7fc00000, v4, vcc_lo
	v_mul_f32_e32 v4, v4, v6
	s_delay_alu instid0(VALU_DEP_1)
	v_mul_f32_e32 v5, s12, v4
	s_cbranch_scc1 .LBB14_9
; %bb.8:
	v_ashrrev_i32_e32 v6, 1, v7
	s_sub_f32 s0, s6, s15
	v_div_scale_f32 v8, null, s12, s12, 1.0
	s_delay_alu instid0(SALU_CYCLE_2) | instskip(SKIP_4) | instid1(VALU_DEP_3)
	s_max_num_f32 s1, s0, 0x3a83126f
	v_cvt_f32_i32_e32 v6, v6
	v_rcp_f32_e32 v10, v8
	v_nop
	v_xor_b32_e32 v8, 0x80000000, v8
	v_subrev_f32_e32 v6, s15, v6
	s_delay_alu instid0(TRANS32_DEP_1) | instid1(VALU_DEP_2)
	v_fma_f32 v12, v8, v10, 1.0
	s_delay_alu instid0(VALU_DEP_2) | instskip(SKIP_1) | instid1(VALU_DEP_3)
	v_div_scale_f32 v7, null, s1, s1, v6
	v_div_scale_f32 v13, vcc_lo, v6, s1, v6
	v_fmac_f32_e32 v10, v12, v10
	s_delay_alu instid0(VALU_DEP_3) | instskip(SKIP_1) | instid1(TRANS32_DEP_1)
	v_rcp_f32_e32 v9, v7
	v_nop
	v_fma_f32 v11, -v7, v9, 1.0
	s_delay_alu instid0(VALU_DEP_1) | instskip(SKIP_1) | instid1(VALU_DEP_2)
	v_fmac_f32_e32 v9, v11, v9
	v_div_scale_f32 v11, s0, 1.0, s12, 1.0
	v_mul_f32_e32 v12, v13, v9
	s_delay_alu instid0(VALU_DEP_1) | instskip(NEXT) | instid1(VALU_DEP_3)
	v_fma_f32 v15, -v7, v12, v13
	v_mul_f32_e32 v14, v11, v10
	s_delay_alu instid0(VALU_DEP_1) | instskip(NEXT) | instid1(VALU_DEP_1)
	v_dual_fmac_f32 v12, v15, v9 :: v_dual_fma_f32 v16, v8, v14, v11
	v_dual_fma_f32 v7, -v7, v12, v13 :: v_dual_fmac_f32 v14, v16, v10
	s_delay_alu instid0(VALU_DEP_1) | instskip(NEXT) | instid1(VALU_DEP_2)
	v_div_fmas_f32 v7, v7, v9, v12
	v_fmac_f32_e32 v11, v8, v14
	s_mov_b32 vcc_lo, s0
	s_delay_alu instid0(VALU_DEP_2) | instskip(NEXT) | instid1(VALU_DEP_2)
	v_div_fixup_f32 v6, v7, s1, v6 clamp
	v_div_fmas_f32 v8, v11, v10, v14
	s_delay_alu instid0(VALU_DEP_2) | instskip(NEXT) | instid1(VALU_DEP_2)
	v_sub_f32_e32 v10, 1.0, v6
	v_div_fixup_f32 v8, v8, s12, 1.0
	s_delay_alu instid0(VALU_DEP_2) | instskip(NEXT) | instid1(VALU_DEP_2)
	v_mul_f32_e32 v6, s13, v10
	v_readfirstlane_b32 s0, v8
	s_cmp_lt_f32 s0, 0x800000
	s_cselect_b32 s0, 0x4f800000, 1.0
	s_delay_alu instid0(SALU_CYCLE_1) | instskip(SKIP_1) | instid1(VALU_DEP_1)
	v_mul_f32_e32 v8, s0, v8
	s_cselect_b32 s0, 0x41b17218, 0
	v_log_f32_e32 v8, v8
	v_nop
	s_delay_alu instid0(TRANS32_DEP_1) | instskip(SKIP_1) | instid1(VALU_DEP_2)
	v_mul_f32_e32 v9, 0x3f317217, v8
	v_and_b32_e32 v7, 0x7fffffff, v8
	v_xor_b32_e32 v9, 0x80000000, v9
	s_delay_alu instid0(VALU_DEP_2) | instskip(SKIP_1) | instid1(VALU_DEP_3)
	v_cmp_gt_f32_e32 vcc_lo, 0x7f800000, v7
	v_fma_f32 v7, -s13, v10, 1.0
	v_fmac_f32_e32 v9, 0x3f317217, v8
	s_delay_alu instid0(VALU_DEP_2) | instskip(NEXT) | instid1(VALU_DEP_2)
	v_pk_mul_f32 v[4:5], v[6:7], v[4:5]
	v_fmamk_f32 v9, v8, 0x3377d1cf, v9
	s_delay_alu instid0(VALU_DEP_2) | instskip(NEXT) | instid1(VALU_DEP_2)
	v_add_f32_e32 v5, v4, v5
	v_fmac_f32_e32 v9, 0x3f317217, v8
	s_delay_alu instid0(VALU_DEP_1) | instskip(NEXT) | instid1(VALU_DEP_1)
	v_dual_cndmask_b32 v8, v8, v9 :: v_dual_mov_b32 v9, 1.0
	v_subrev_f32_e32 v8, s0, v8
	s_delay_alu instid0(VALU_DEP_1) | instskip(NEXT) | instid1(VALU_DEP_1)
	v_fmamk_f32 v6, v8, 0x3dcccccd, v9
	v_mul_f32_e32 v6, s14, v6
	s_branch .LBB14_10
.LBB14_9:
	v_mov_b32_e32 v6, s14
.LBB14_10:
	s_delay_alu instid0(VALU_DEP_2) | instskip(SKIP_1) | instid1(VALU_DEP_2)
	v_and_b32_e32 v4, 0x7fffffff, v5
	v_cmp_ngt_f32_e64 s2, 0x48000000, |v5|
                                        ; implicit-def: $vgpr8
                                        ; implicit-def: $vgpr7
	v_lshrrev_b32_e32 v9, 23, v4
	s_and_saveexec_b32 s0, s2
	s_delay_alu instid0(SALU_CYCLE_1)
	s_xor_b32 s3, exec_lo, s0
	s_cbranch_execz .LBB14_12
; %bb.11:
	s_mov_b32 s0, 0x7fffff
	v_mov_b32_e32 v11, 0
	v_and_or_b32 v10, v4, s0, 0x800000
	s_mov_b64 s[0:1], 0xfe5163ab
	v_add_nc_u32_e32 v7, 0xffffff88, v9
	s_delay_alu instid0(VALU_DEP_2) | instskip(NEXT) | instid1(VALU_DEP_2)
	v_mul_u64_e32 v[12:13], s[0:1], v[10:11]
	v_cmp_lt_u32_e32 vcc_lo, 63, v7
	v_cndmask_b32_e64 v8, 0, 0xffffffc0, vcc_lo
	s_delay_alu instid0(VALU_DEP_3) | instskip(SKIP_2) | instid1(VALU_DEP_3)
	v_dual_mov_b32 v14, v13 :: v_dual_mov_b32 v15, v11
	v_dual_mov_b32 v17, v11 :: v_dual_mov_b32 v19, v11
	;; [unrolled: 1-line block ×3, first 2 shown]
	v_mad_nc_u64_u32 v[14:15], 0x3c439041, v10, v[14:15]
	v_dual_add_nc_u32 v7, v8, v7 :: v_dual_mov_b32 v25, v11
	s_delay_alu instid0(VALU_DEP_1) | instskip(NEXT) | instid1(VALU_DEP_3)
	v_cmp_lt_u32_e64 s0, 31, v7
	v_mov_b32_e32 v16, v15
	s_delay_alu instid0(VALU_DEP_2) | instskip(NEXT) | instid1(VALU_DEP_2)
	v_cndmask_b32_e64 v8, 0, 0xffffffe0, s0
	v_mad_nc_u64_u32 v[16:17], 0xdb629599, v10, v[16:17]
	s_delay_alu instid0(VALU_DEP_2) | instskip(NEXT) | instid1(VALU_DEP_1)
	v_add_nc_u32_e32 v7, v8, v7
	v_cmp_lt_u32_e64 s1, 31, v7
	s_delay_alu instid0(VALU_DEP_3) | instskip(NEXT) | instid1(VALU_DEP_2)
	v_mov_b32_e32 v18, v17
	v_cndmask_b32_e64 v8, 0, 0xffffffe0, s1
	v_cndmask_b32_e32 v12, v16, v12, vcc_lo
	s_delay_alu instid0(VALU_DEP_3) | instskip(NEXT) | instid1(VALU_DEP_1)
	v_mad_nc_u64_u32 v[18:19], 0xf534ddc0, v10, v[18:19]
	v_dual_cndmask_b32 v8, v18, v14 :: v_dual_add_nc_u32 v7, v8, v7
	s_delay_alu instid0(VALU_DEP_2) | instskip(NEXT) | instid1(VALU_DEP_1)
	v_mov_b32_e32 v20, v19
	v_mad_nc_u64_u32 v[20:21], 0xfc2757d1, v10, v[20:21]
	s_delay_alu instid0(VALU_DEP_1) | instskip(NEXT) | instid1(VALU_DEP_1)
	v_dual_mov_b32 v22, v21 :: v_dual_cndmask_b32 v15, v20, v16
	v_mad_nc_u64_u32 v[22:23], 0x4e441529, v10, v[22:23]
	s_delay_alu instid0(VALU_DEP_1) | instskip(NEXT) | instid1(VALU_DEP_1)
	v_dual_mov_b32 v24, v23 :: v_dual_cndmask_b32 v13, v22, v18
	v_mad_nc_u64_u32 v[10:11], 0xa2f9836e, v10, v[24:25]
	s_delay_alu instid0(VALU_DEP_1) | instskip(SKIP_1) | instid1(VALU_DEP_2)
	v_dual_cndmask_b32 v10, v10, v20 :: v_dual_cndmask_b32 v11, v11, v22
	v_cmp_eq_u32_e32 vcc_lo, 0, v7
	v_dual_cndmask_b32 v14, v10, v13, s0 :: v_dual_cndmask_b32 v10, v11, v10, s0
	v_dual_cndmask_b32 v11, v13, v15, s0 :: v_dual_cndmask_b32 v15, v15, v8, s0
	v_dual_sub_nc_u32 v13, 32, v7 :: v_dual_cndmask_b32 v8, v8, v12, s0
	s_delay_alu instid0(VALU_DEP_3) | instskip(NEXT) | instid1(VALU_DEP_2)
	v_cndmask_b32_e64 v10, v10, v14, s1
	v_dual_cndmask_b32 v14, v14, v11, s1 :: v_dual_cndmask_b32 v8, v15, v8, s1
	s_delay_alu instid0(VALU_DEP_1) | instskip(NEXT) | instid1(VALU_DEP_1)
	v_alignbit_b32 v17, v10, v14, v13
	v_dual_cndmask_b32 v11, v11, v15, s1 :: v_dual_cndmask_b32 v7, v17, v10, vcc_lo
	s_delay_alu instid0(VALU_DEP_1) | instskip(NEXT) | instid1(VALU_DEP_4)
	v_alignbit_b32 v16, v14, v11, v13
	v_alignbit_b32 v13, v11, v8, v13
	s_delay_alu instid0(VALU_DEP_3) | instskip(NEXT) | instid1(VALU_DEP_2)
	v_bfe_u32 v12, v7, 29, 1
	v_dual_cndmask_b32 v10, v16, v14 :: v_dual_cndmask_b32 v11, v13, v11
	s_delay_alu instid0(VALU_DEP_2) | instskip(NEXT) | instid1(VALU_DEP_2)
	v_sub_nc_u32_e32 v15, 0, v12
	v_alignbit_b32 v14, v7, v10, 30
	s_delay_alu instid0(VALU_DEP_3) | instskip(SKIP_1) | instid1(VALU_DEP_3)
	v_alignbit_b32 v10, v10, v11, 30
	v_alignbit_b32 v8, v11, v8, 30
	v_xor_b32_e32 v14, v14, v15
	s_delay_alu instid0(VALU_DEP_2) | instskip(NEXT) | instid1(VALU_DEP_2)
	v_xor_b32_e32 v8, v8, v15
	v_clz_i32_u32_e32 v13, v14
	s_delay_alu instid0(VALU_DEP_1) | instskip(NEXT) | instid1(VALU_DEP_1)
	v_min_u32_e32 v13, 32, v13
	v_dual_lshlrev_b32 v16, 23, v13 :: v_dual_bitop2_b32 v10, v10, v15 bitop3:0x14
	v_sub_nc_u32_e32 v11, 31, v13
	s_delay_alu instid0(VALU_DEP_1) | instskip(SKIP_2) | instid1(VALU_DEP_1)
	v_alignbit_b32 v14, v14, v10, v11
	v_lshrrev_b32_e32 v15, 29, v7
	v_alignbit_b32 v8, v10, v8, v11
	v_alignbit_b32 v11, v14, v8, 9
	s_delay_alu instid0(VALU_DEP_3) | instskip(NEXT) | instid1(VALU_DEP_2)
	v_dual_lshrrev_b32 v14, 9, v14 :: v_dual_lshlrev_b32 v10, 31, v15
	v_clz_i32_u32_e32 v17, v11
	s_delay_alu instid0(VALU_DEP_2) | instskip(SKIP_1) | instid1(VALU_DEP_2)
	v_or_b32_e32 v15, 0.5, v10
	v_or_b32_e32 v10, 0x33000000, v10
	v_sub_nc_u32_e32 v15, v15, v16
	s_delay_alu instid0(VALU_DEP_4) | instskip(NEXT) | instid1(VALU_DEP_1)
	v_min_u32_e32 v16, 32, v17
	v_add_lshl_u32 v13, v16, v13, 23
	s_delay_alu instid0(VALU_DEP_1) | instskip(NEXT) | instid1(VALU_DEP_4)
	v_sub_nc_u32_e32 v10, v10, v13
	v_or_b32_e32 v14, v14, v15
	v_not_b32_e32 v15, v16
	s_delay_alu instid0(VALU_DEP_1) | instskip(NEXT) | instid1(VALU_DEP_1)
	v_alignbit_b32 v8, v11, v8, v15
	v_dual_mul_f32 v17, 0x3fc90fda, v14 :: v_dual_lshrrev_b32 v8, 9, v8
	s_delay_alu instid0(VALU_DEP_1) | instskip(NEXT) | instid1(VALU_DEP_2)
	v_or_b32_e32 v8, v10, v8
	v_fma_f32 v11, 0x3fc90fda, v14, -v17
	s_delay_alu instid0(VALU_DEP_1) | instskip(NEXT) | instid1(VALU_DEP_1)
	v_fmamk_f32 v11, v14, 0x33a22168, v11
	v_dual_fmac_f32 v11, 0x3fc90fda, v8 :: v_dual_lshrrev_b32 v8, 30, v7
	s_delay_alu instid0(VALU_DEP_1)
	v_dual_add_f32 v7, v17, v11 :: v_dual_add_nc_u32 v8, v12, v8
	s_or_saveexec_b32 s0, s3
	v_mul_f32_e64 v12, 0x3f22f983, |v5|
	s_xor_b32 exec_lo, exec_lo, s0
	s_branch .LBB14_13
.LBB14_12:
	s_or_saveexec_b32 s0, s3
	v_mul_f32_e64 v12, 0x3f22f983, |v5|
	s_xor_b32 exec_lo, exec_lo, s0
.LBB14_13:
	s_delay_alu instid0(VALU_DEP_1) | instskip(NEXT) | instid1(VALU_DEP_1)
	v_rndne_f32_e32 v8, v12
	v_fma_f32 v7, 0xbfc90fda, v8, |v5|
	s_delay_alu instid0(VALU_DEP_1) | instskip(NEXT) | instid1(VALU_DEP_1)
	v_fmamk_f32 v7, v8, 0xb3a22168, v7
	v_fmamk_f32 v7, v8, 0xa7c234c4, v7
	v_cvt_i32_f32_e32 v8, v8
; %bb.14:
	s_or_b32 exec_lo, exec_lo, s0
                                        ; implicit-def: $vgpr11
                                        ; implicit-def: $vgpr10
	s_and_saveexec_b32 s0, s2
	s_delay_alu instid0(SALU_CYCLE_1)
	s_xor_b32 s2, exec_lo, s0
	s_cbranch_execz .LBB14_16
; %bb.15:
	s_mov_b32 s0, 0x7fffff
	v_mov_b32_e32 v11, 0
	v_and_or_b32 v10, v4, s0, 0x800000
	s_mov_b64 s[0:1], 0xfe5163ab
	v_add_nc_u32_e32 v9, 0xffffff88, v9
	s_delay_alu instid0(VALU_DEP_2) | instskip(NEXT) | instid1(VALU_DEP_2)
	v_mul_u64_e32 v[12:13], s[0:1], v[10:11]
	v_cmp_lt_u32_e32 vcc_lo, 63, v9
	s_delay_alu instid0(VALU_DEP_2) | instskip(SKIP_2) | instid1(VALU_DEP_3)
	v_dual_mov_b32 v14, v13 :: v_dual_mov_b32 v15, v11
	v_dual_mov_b32 v17, v11 :: v_dual_mov_b32 v19, v11
	;; [unrolled: 1-line block ×3, first 2 shown]
	v_mad_nc_u64_u32 v[14:15], 0x3c439041, v10, v[14:15]
	v_cndmask_b32_e64 v13, 0, 0xffffffc0, vcc_lo
	s_delay_alu instid0(VALU_DEP_1) | instskip(NEXT) | instid1(VALU_DEP_3)
	v_dual_mov_b32 v25, v11 :: v_dual_add_nc_u32 v9, v13, v9
	v_mov_b32_e32 v16, v15
	s_delay_alu instid0(VALU_DEP_2) | instskip(NEXT) | instid1(VALU_DEP_2)
	v_cmp_lt_u32_e64 s0, 31, v9
	v_mad_nc_u64_u32 v[16:17], 0xdb629599, v10, v[16:17]
	s_delay_alu instid0(VALU_DEP_2) | instskip(NEXT) | instid1(VALU_DEP_1)
	v_cndmask_b32_e64 v13, 0, 0xffffffe0, s0
	v_add_nc_u32_e32 v9, v13, v9
	s_delay_alu instid0(VALU_DEP_3) | instskip(NEXT) | instid1(VALU_DEP_2)
	v_mov_b32_e32 v18, v17
	v_cmp_lt_u32_e64 s1, 31, v9
	v_cndmask_b32_e32 v12, v16, v12, vcc_lo
	s_delay_alu instid0(VALU_DEP_3) | instskip(NEXT) | instid1(VALU_DEP_3)
	v_mad_nc_u64_u32 v[18:19], 0xf534ddc0, v10, v[18:19]
	v_cndmask_b32_e64 v13, 0, 0xffffffe0, s1
	s_delay_alu instid0(VALU_DEP_1) | instskip(NEXT) | instid1(VALU_DEP_3)
	v_dual_add_nc_u32 v9, v13, v9 :: v_dual_cndmask_b32 v13, v18, v14, vcc_lo
	v_mov_b32_e32 v20, v19
	s_delay_alu instid0(VALU_DEP_1) | instskip(NEXT) | instid1(VALU_DEP_1)
	v_mad_nc_u64_u32 v[20:21], 0xfc2757d1, v10, v[20:21]
	v_dual_mov_b32 v22, v21 :: v_dual_cndmask_b32 v17, v20, v16
	s_delay_alu instid0(VALU_DEP_1) | instskip(NEXT) | instid1(VALU_DEP_1)
	v_mad_nc_u64_u32 v[22:23], 0x4e441529, v10, v[22:23]
	v_dual_mov_b32 v24, v23 :: v_dual_cndmask_b32 v15, v22, v18
	s_delay_alu instid0(VALU_DEP_1) | instskip(NEXT) | instid1(VALU_DEP_1)
	v_mad_nc_u64_u32 v[10:11], 0xa2f9836e, v10, v[24:25]
	v_dual_cndmask_b32 v10, v10, v20 :: v_dual_cndmask_b32 v11, v11, v22
	v_cmp_eq_u32_e32 vcc_lo, 0, v9
	s_delay_alu instid0(VALU_DEP_2) | instskip(SKIP_2) | instid1(VALU_DEP_3)
	v_dual_cndmask_b32 v14, v10, v15, s0 :: v_dual_cndmask_b32 v10, v11, v10, s0
	v_cndmask_b32_e64 v11, v15, v17, s0
	v_sub_nc_u32_e32 v15, 32, v9
	v_dual_cndmask_b32 v17, v17, v13, s0 :: v_dual_cndmask_b32 v10, v10, v14, s1
	s_delay_alu instid0(VALU_DEP_3) | instskip(NEXT) | instid1(VALU_DEP_1)
	v_cndmask_b32_e64 v14, v14, v11, s1
	v_alignbit_b32 v18, v10, v14, v15
	s_delay_alu instid0(VALU_DEP_1) | instskip(NEXT) | instid1(VALU_DEP_1)
	v_dual_cndmask_b32 v11, v11, v17, s1 :: v_dual_cndmask_b32 v9, v18, v10, vcc_lo
	v_alignbit_b32 v16, v14, v11, v15
	v_cndmask_b32_e64 v10, v13, v12, s0
	s_delay_alu instid0(VALU_DEP_3) | instskip(NEXT) | instid1(VALU_DEP_3)
	v_bfe_u32 v13, v9, 29, 1
	v_cndmask_b32_e32 v12, v16, v14, vcc_lo
	s_delay_alu instid0(VALU_DEP_2) | instskip(NEXT) | instid1(VALU_DEP_2)
	v_dual_cndmask_b32 v10, v17, v10, s1 :: v_dual_sub_nc_u32 v16, 0, v13
	v_alignbit_b32 v14, v9, v12, 30
	s_delay_alu instid0(VALU_DEP_2) | instskip(NEXT) | instid1(VALU_DEP_1)
	v_alignbit_b32 v15, v11, v10, v15
	v_dual_cndmask_b32 v11, v15, v11, vcc_lo :: v_dual_bitop2_b32 v14, v14, v16 bitop3:0x14
	s_delay_alu instid0(VALU_DEP_1) | instskip(NEXT) | instid1(VALU_DEP_2)
	v_clz_i32_u32_e32 v15, v14
	v_alignbit_b32 v12, v12, v11, 30
	v_alignbit_b32 v10, v11, v10, 30
	s_delay_alu instid0(VALU_DEP_3) | instskip(NEXT) | instid1(VALU_DEP_3)
	v_min_u32_e32 v15, 32, v15
	v_xor_b32_e32 v11, v12, v16
	s_delay_alu instid0(VALU_DEP_3) | instskip(NEXT) | instid1(VALU_DEP_3)
	v_dual_lshrrev_b32 v16, 29, v9 :: v_dual_bitop2_b32 v10, v10, v16 bitop3:0x14
	v_dual_lshrrev_b32 v9, 30, v9 :: v_dual_sub_nc_u32 v12, 31, v15
	v_lshlrev_b32_e32 v17, 23, v15
	s_delay_alu instid0(VALU_DEP_2) | instskip(NEXT) | instid1(VALU_DEP_4)
	v_alignbit_b32 v14, v14, v11, v12
	v_alignbit_b32 v10, v11, v10, v12
	v_lshlrev_b32_e32 v11, 31, v16
	s_delay_alu instid0(VALU_DEP_2) | instskip(NEXT) | instid1(VALU_DEP_2)
	v_alignbit_b32 v12, v14, v10, 9
	v_dual_lshrrev_b32 v14, 9, v14 :: v_dual_bitop2_b32 v16, 0.5, v11 bitop3:0x54
	v_or_b32_e32 v11, 0x33000000, v11
	s_delay_alu instid0(VALU_DEP_3) | instskip(NEXT) | instid1(VALU_DEP_3)
	v_clz_i32_u32_e32 v18, v12
	v_sub_nc_u32_e32 v16, v16, v17
	s_delay_alu instid0(VALU_DEP_2) | instskip(NEXT) | instid1(VALU_DEP_1)
	v_min_u32_e32 v17, 32, v18
	v_add_lshl_u32 v15, v17, v15, 23
	s_delay_alu instid0(VALU_DEP_1) | instskip(SKIP_1) | instid1(VALU_DEP_1)
	v_dual_sub_nc_u32 v11, v11, v15 :: v_dual_bitop2_b32 v14, v14, v16 bitop3:0x54
	v_not_b32_e32 v16, v17
	v_alignbit_b32 v10, v12, v10, v16
	s_delay_alu instid0(VALU_DEP_1) | instskip(NEXT) | instid1(VALU_DEP_4)
	v_lshrrev_b32_e32 v10, 9, v10
	v_mul_f32_e32 v18, 0x3fc90fda, v14
	s_delay_alu instid0(VALU_DEP_2) | instskip(NEXT) | instid1(VALU_DEP_2)
	v_or_b32_e32 v10, v11, v10
	v_fma_f32 v12, 0x3fc90fda, v14, -v18
	s_delay_alu instid0(VALU_DEP_1) | instskip(NEXT) | instid1(VALU_DEP_1)
	v_dual_fmamk_f32 v12, v14, 0x33a22168, v12 :: v_dual_add_nc_u32 v11, v13, v9
	v_fmac_f32_e32 v12, 0x3fc90fda, v10
	s_delay_alu instid0(VALU_DEP_1)
	v_add_f32_e32 v10, v18, v12
                                        ; implicit-def: $vgpr12
	s_and_not1_saveexec_b32 s0, s2
	s_cbranch_execnz .LBB14_17
	s_branch .LBB14_18
.LBB14_16:
	s_and_not1_saveexec_b32 s0, s2
.LBB14_17:
	v_rndne_f32_e32 v9, v12
	s_delay_alu instid0(VALU_DEP_1) | instskip(SKIP_1) | instid1(VALU_DEP_2)
	v_fma_f32 v10, 0xbfc90fda, v9, |v5|
	v_cvt_i32_f32_e32 v11, v9
	v_fmamk_f32 v10, v9, 0xb3a22168, v10
	s_delay_alu instid0(VALU_DEP_1)
	v_fmamk_f32 v10, v9, 0xa7c234c4, v10
.LBB14_18:
	s_or_b32 exec_lo, exec_lo, s0
	v_lshl_add_u64 v[2:3], v[2:3], 2, s[8:9]
	s_delay_alu instid0(VALU_DEP_2)
	v_dual_mul_f32 v9, v7, v7 :: v_dual_mul_f32 v12, v10, v10
	s_mov_b32 s0, 0xb94c1982
	s_mov_b32 s1, 0x37d75334
	global_load_b64 v[2:3], v[2:3], off
	v_xor_b32_e32 v4, v4, v5
	v_fmaak_f32 v15, s0, v12, 0x3c0881c4
	v_lshl_add_u64 v[0:1], v[0:1], 2, s[10:11]
	s_delay_alu instid0(VALU_DEP_2) | instskip(NEXT) | instid1(VALU_DEP_1)
	v_fmaak_f32 v15, v12, v15, 0xbe2aaa9d
	v_dual_fmaak_f32 v14, s1, v9, 0xbab64f3b :: v_dual_mul_f32 v15, v12, v15
	s_delay_alu instid0(VALU_DEP_1) | instskip(NEXT) | instid1(VALU_DEP_1)
	v_dual_fmaak_f32 v13, s0, v9, 0x3c0881c4 :: v_dual_fmac_f32 v10, v10, v15
	v_fmaak_f32 v13, v9, v13, 0xbe2aaa9d
	s_delay_alu instid0(VALU_DEP_1) | instskip(NEXT) | instid1(VALU_DEP_4)
	v_dual_fmaak_f32 v16, s1, v12, 0xbab64f3b :: v_dual_mul_f32 v13, v9, v13
	v_fmaak_f32 v14, v9, v14, 0x3d2aabf7
	s_delay_alu instid0(VALU_DEP_2) | instskip(NEXT) | instid1(VALU_DEP_2)
	v_dual_fmaak_f32 v16, v12, v16, 0x3d2aabf7 :: v_dual_fmac_f32 v7, v7, v13
	v_fmaak_f32 v14, v9, v14, 0xbf000004
	s_delay_alu instid0(VALU_DEP_1) | instskip(SKIP_3) | instid1(VALU_DEP_3)
	v_fma_f32 v9, v9, v14, 1.0
	v_and_b32_e32 v13, 1, v8
	v_dual_lshlrev_b32 v11, 30, v11 :: v_dual_bitop2_b32 v14, 1, v11 bitop3:0x40
	v_lshlrev_b32_e32 v8, 30, v8
	v_cmp_eq_u32_e32 vcc_lo, 0, v13
	v_cndmask_b32_e64 v7, -v7, v9, vcc_lo
	s_delay_alu instid0(VALU_DEP_4) | instskip(SKIP_1) | instid1(VALU_DEP_3)
	v_cmp_eq_u32_e32 vcc_lo, 0, v14
	v_fmaak_f32 v16, v12, v16, 0xbf000004
	v_bitop3_b32 v7, v8, v7, 0x80000000 bitop3:0x6c
	s_delay_alu instid0(VALU_DEP_2) | instskip(NEXT) | instid1(VALU_DEP_1)
	v_fma_f32 v12, v12, v16, 1.0
	v_cndmask_b32_e32 v9, v12, v10, vcc_lo
	v_and_b32_e32 v10, 0x80000000, v11
	v_cmp_class_f32_e64 vcc_lo, v5, 0x1f8
	s_delay_alu instid0(VALU_DEP_2) | instskip(SKIP_1) | instid1(VALU_DEP_2)
	v_xor3_b32 v4, v4, v10, v9
	v_cndmask_b32_e32 v7, 0x7fc00000, v7, vcc_lo
	v_cndmask_b32_e32 v4, 0x7fc00000, v4, vcc_lo
	s_delay_alu instid0(VALU_DEP_1) | instskip(NEXT) | instid1(VALU_DEP_1)
	v_dual_mul_f32 v5, v6, v4 :: v_dual_mul_f32 v4, v6, v7
	v_dual_mov_b32 v6, v5 :: v_dual_mov_b32 v7, v4
	s_wait_loadcnt 0x0
	v_dual_mul_f32 v8, v4, v3 :: v_dual_mul_f32 v10, v5, v3
	s_delay_alu instid0(VALU_DEP_1) | instskip(SKIP_1) | instid1(VALU_DEP_2)
	v_pk_fma_f32 v[6:7], v[6:7], v[2:3], v[8:9] op_sel_hi:[1,1,0]
	s_wait_xcnt 0x0
	v_pk_fma_f32 v[2:3], v[4:5], v[2:3], v[10:11] op_sel_hi:[1,1,0] neg_lo:[0,0,1] neg_hi:[0,0,1]
	s_delay_alu instid0(VALU_DEP_2)
	v_mov_b32_e32 v3, v6
	global_store_b64 v[0:1], v[2:3], off
.LBB14_19:
	s_endpgm
	.section	.rodata,"a",@progbits
	.p2align	6, 0x0
	.amdhsa_kernel _ZL9rope_normILb1ELb0EffEvPKT1_PT2_iiiiiiiiiiPKifff14rope_corr_dimsfPKfPKli
		.amdhsa_group_segment_fixed_size 0
		.amdhsa_private_segment_fixed_size 0
		.amdhsa_kernarg_size 368
		.amdhsa_user_sgpr_count 2
		.amdhsa_user_sgpr_dispatch_ptr 0
		.amdhsa_user_sgpr_queue_ptr 0
		.amdhsa_user_sgpr_kernarg_segment_ptr 1
		.amdhsa_user_sgpr_dispatch_id 0
		.amdhsa_user_sgpr_kernarg_preload_length 0
		.amdhsa_user_sgpr_kernarg_preload_offset 0
		.amdhsa_user_sgpr_private_segment_size 0
		.amdhsa_wavefront_size32 1
		.amdhsa_uses_dynamic_stack 0
		.amdhsa_enable_private_segment 0
		.amdhsa_system_sgpr_workgroup_id_x 1
		.amdhsa_system_sgpr_workgroup_id_y 1
		.amdhsa_system_sgpr_workgroup_id_z 0
		.amdhsa_system_sgpr_workgroup_info 0
		.amdhsa_system_vgpr_workitem_id 1
		.amdhsa_next_free_vgpr 26
		.amdhsa_next_free_sgpr 16
		.amdhsa_named_barrier_count 0
		.amdhsa_reserve_vcc 1
		.amdhsa_float_round_mode_32 0
		.amdhsa_float_round_mode_16_64 0
		.amdhsa_float_denorm_mode_32 3
		.amdhsa_float_denorm_mode_16_64 3
		.amdhsa_fp16_overflow 0
		.amdhsa_memory_ordered 1
		.amdhsa_forward_progress 1
		.amdhsa_inst_pref_size 36
		.amdhsa_round_robin_scheduling 0
		.amdhsa_exception_fp_ieee_invalid_op 0
		.amdhsa_exception_fp_denorm_src 0
		.amdhsa_exception_fp_ieee_div_zero 0
		.amdhsa_exception_fp_ieee_overflow 0
		.amdhsa_exception_fp_ieee_underflow 0
		.amdhsa_exception_fp_ieee_inexact 0
		.amdhsa_exception_int_div_zero 0
	.end_amdhsa_kernel
	.section	.text._ZL9rope_normILb1ELb0EffEvPKT1_PT2_iiiiiiiiiiPKifff14rope_corr_dimsfPKfPKli,"axG",@progbits,_ZL9rope_normILb1ELb0EffEvPKT1_PT2_iiiiiiiiiiPKifff14rope_corr_dimsfPKfPKli,comdat
.Lfunc_end14:
	.size	_ZL9rope_normILb1ELb0EffEvPKT1_PT2_iiiiiiiiiiPKifff14rope_corr_dimsfPKfPKli, .Lfunc_end14-_ZL9rope_normILb1ELb0EffEvPKT1_PT2_iiiiiiiiiiPKifff14rope_corr_dimsfPKfPKli
                                        ; -- End function
	.set _ZL9rope_normILb1ELb0EffEvPKT1_PT2_iiiiiiiiiiPKifff14rope_corr_dimsfPKfPKli.num_vgpr, 26
	.set _ZL9rope_normILb1ELb0EffEvPKT1_PT2_iiiiiiiiiiPKifff14rope_corr_dimsfPKfPKli.num_agpr, 0
	.set _ZL9rope_normILb1ELb0EffEvPKT1_PT2_iiiiiiiiiiPKifff14rope_corr_dimsfPKfPKli.numbered_sgpr, 16
	.set _ZL9rope_normILb1ELb0EffEvPKT1_PT2_iiiiiiiiiiPKifff14rope_corr_dimsfPKfPKli.num_named_barrier, 0
	.set _ZL9rope_normILb1ELb0EffEvPKT1_PT2_iiiiiiiiiiPKifff14rope_corr_dimsfPKfPKli.private_seg_size, 0
	.set _ZL9rope_normILb1ELb0EffEvPKT1_PT2_iiiiiiiiiiPKifff14rope_corr_dimsfPKfPKli.uses_vcc, 1
	.set _ZL9rope_normILb1ELb0EffEvPKT1_PT2_iiiiiiiiiiPKifff14rope_corr_dimsfPKfPKli.uses_flat_scratch, 0
	.set _ZL9rope_normILb1ELb0EffEvPKT1_PT2_iiiiiiiiiiPKifff14rope_corr_dimsfPKfPKli.has_dyn_sized_stack, 0
	.set _ZL9rope_normILb1ELb0EffEvPKT1_PT2_iiiiiiiiiiPKifff14rope_corr_dimsfPKfPKli.has_recursion, 0
	.set _ZL9rope_normILb1ELb0EffEvPKT1_PT2_iiiiiiiiiiPKifff14rope_corr_dimsfPKfPKli.has_indirect_call, 0
	.section	.AMDGPU.csdata,"",@progbits
; Kernel info:
; codeLenInByte = 4592
; TotalNumSgprs: 18
; NumVgprs: 26
; ScratchSize: 0
; MemoryBound: 0
; FloatMode: 240
; IeeeMode: 1
; LDSByteSize: 0 bytes/workgroup (compile time only)
; SGPRBlocks: 0
; VGPRBlocks: 1
; NumSGPRsForWavesPerEU: 18
; NumVGPRsForWavesPerEU: 26
; NamedBarCnt: 0
; Occupancy: 16
; WaveLimiterHint : 0
; COMPUTE_PGM_RSRC2:SCRATCH_EN: 0
; COMPUTE_PGM_RSRC2:USER_SGPR: 2
; COMPUTE_PGM_RSRC2:TRAP_HANDLER: 0
; COMPUTE_PGM_RSRC2:TGID_X_EN: 1
; COMPUTE_PGM_RSRC2:TGID_Y_EN: 1
; COMPUTE_PGM_RSRC2:TGID_Z_EN: 0
; COMPUTE_PGM_RSRC2:TIDIG_COMP_CNT: 1
	.section	.text._ZL9rope_normILb1ELb1EffEvPKT1_PT2_iiiiiiiiiiPKifff14rope_corr_dimsfPKfPKli,"axG",@progbits,_ZL9rope_normILb1ELb1EffEvPKT1_PT2_iiiiiiiiiiPKifff14rope_corr_dimsfPKfPKli,comdat
	.globl	_ZL9rope_normILb1ELb1EffEvPKT1_PT2_iiiiiiiiiiPKifff14rope_corr_dimsfPKfPKli ; -- Begin function _ZL9rope_normILb1ELb1EffEvPKT1_PT2_iiiiiiiiiiPKifff14rope_corr_dimsfPKfPKli
	.p2align	8
	.type	_ZL9rope_normILb1ELb1EffEvPKT1_PT2_iiiiiiiiiiPKifff14rope_corr_dimsfPKfPKli,@function
_ZL9rope_normILb1ELb1EffEvPKT1_PT2_iiiiiiiiiiPKifff14rope_corr_dimsfPKfPKli: ; @_ZL9rope_normILb1ELb1EffEvPKT1_PT2_iiiiiiiiiiPKifff14rope_corr_dimsfPKfPKli
; %bb.0:
	s_clause 0x1
	s_load_u16 s3, s[0:1], 0x7e
	s_load_b256 s[4:11], s[0:1], 0x10
	s_bfe_u32 s2, ttmp6, 0x40010
	s_bfe_u32 s13, ttmp6, 0x40004
	s_add_co_i32 s2, s2, 1
	v_bfe_u32 v1, v0, 10, 10
	s_mul_i32 s12, ttmp7, s2
	s_getreg_b32 s2, hwreg(HW_REG_IB_STS2, 6, 4)
	s_add_co_i32 s13, s13, s12
	s_cmp_eq_u32 s2, 0
	s_cselect_b32 s12, ttmp7, s13
	s_wait_kmcnt 0x0
	s_mul_i32 s12, s12, s3
	s_mov_b32 s3, exec_lo
	v_add_lshl_u32 v5, s12, v1, 1
	s_delay_alu instid0(VALU_DEP_1)
	v_cmpx_gt_i32_e64 s4, v5
	s_cbranch_execz .LBB15_19
; %bb.1:
	s_add_nc_u64 s[12:13], s[0:1], 0x70
	s_bfe_u32 s4, ttmp6, 0x4000c
	s_load_b32 s3, s[12:13], 0xc
	s_add_co_i32 s4, s4, 1
	s_wait_xcnt 0x0
	s_and_b32 s12, ttmp6, 15
	s_mul_i32 s4, ttmp9, s4
	v_and_b32_e32 v0, 0x3ff, v0
	s_add_co_i32 s12, s12, s4
	s_wait_kmcnt 0x0
	s_and_b32 s3, s3, 0xffff
	s_cmp_eq_u32 s2, 0
	s_mul_i32 s2, s6, s5
	s_cselect_b32 s4, ttmp9, s12
	s_abs_i32 s6, s2
	v_mad_u32 v2, s4, s3, v0
	s_cvt_f32_u32 s12, s6
	s_sub_co_i32 s4, 0, s6
	s_delay_alu instid0(SALU_CYCLE_2) | instskip(NEXT) | instid1(VALU_DEP_1)
	v_rcp_iflag_f32_e32 v1, s12
	v_sub_nc_u32_e32 v0, 0, v2
	s_delay_alu instid0(TRANS32_DEP_1) | instskip(NEXT) | instid1(VALU_DEP_2)
	v_readfirstlane_b32 s3, v1
	v_max_i32_e32 v0, v2, v0
	s_mul_f32 s3, s3, 0x4f7ffffe
	s_delay_alu instid0(SALU_CYCLE_3) | instskip(NEXT) | instid1(SALU_CYCLE_3)
	s_cvt_u32_f32 s3, s3
	s_mul_i32 s4, s4, s3
	s_delay_alu instid0(SALU_CYCLE_1) | instskip(NEXT) | instid1(SALU_CYCLE_1)
	s_mul_hi_u32 s4, s3, s4
	s_add_co_i32 s3, s3, s4
	s_load_b32 s4, s[0:1], 0x68
	v_mul_hi_u32 v1, v0, s3
	s_cvt_f32_u32 s3, s5
	s_delay_alu instid0(VALU_DEP_1) | instskip(NEXT) | instid1(VALU_DEP_1)
	v_mul_lo_u32 v3, v1, s6
	v_dual_sub_nc_u32 v0, v0, v3 :: v_dual_add_nc_u32 v3, 1, v1
	s_delay_alu instid0(VALU_DEP_1) | instskip(NEXT) | instid1(VALU_DEP_2)
	v_cmp_le_u32_e32 vcc_lo, s6, v0
	v_dual_cndmask_b32 v1, v1, v3, vcc_lo :: v_dual_bitop2_b32 v3, s2, v2 bitop3:0x14
	v_subrev_nc_u32_e32 v4, s6, v0
	s_delay_alu instid0(VALU_DEP_1) | instskip(NEXT) | instid1(VALU_DEP_1)
	v_dual_cndmask_b32 v0, v0, v4, vcc_lo :: v_dual_add_nc_u32 v4, 1, v1
	v_cmp_le_u32_e32 vcc_lo, s6, v0
	s_delay_alu instid0(VALU_DEP_2) | instskip(SKIP_1) | instid1(VALU_DEP_1)
	v_dual_cndmask_b32 v0, v1, v4 :: v_dual_ashrrev_i32 v3, 31, v3
	v_rcp_iflag_f32_e32 v1, s3
	v_xor_b32_e32 v0, v0, v3
	s_delay_alu instid0(TRANS32_DEP_1) | instskip(NEXT) | instid1(VALU_DEP_2)
	v_readfirstlane_b32 s3, v1
	v_sub_nc_u32_e32 v0, v0, v3
	s_delay_alu instid0(VALU_DEP_1) | instskip(SKIP_2) | instid1(SALU_CYCLE_2)
	v_mul_lo_u32 v1, s2, v0
	s_mul_f32 s2, s3, 0x4f7ffffe
	s_sub_co_i32 s3, 0, s5
	s_cvt_u32_f32 s2, s2
	s_delay_alu instid0(SALU_CYCLE_3) | instskip(NEXT) | instid1(VALU_DEP_1)
	s_mul_i32 s3, s3, s2
	v_sub_nc_u32_e32 v1, v2, v1
	s_mul_hi_u32 s3, s2, s3
	s_delay_alu instid0(SALU_CYCLE_1)
	s_add_co_i32 s2, s2, s3
	s_wait_kmcnt 0x0
	s_cmp_eq_u32 s4, 0
	v_mul_hi_u32 v2, v1, s2
	s_clause 0x1
	s_load_b64 s[2:3], s[0:1], 0x30
	s_load_b128 s[12:15], s[0:1], 0x58
	s_delay_alu instid0(VALU_DEP_1) | instskip(NEXT) | instid1(VALU_DEP_1)
	v_mul_lo_u32 v3, v2, s5
	v_dual_add_nc_u32 v4, 1, v2 :: v_dual_sub_nc_u32 v3, v1, v3
	s_delay_alu instid0(VALU_DEP_1) | instskip(SKIP_1) | instid1(VALU_DEP_2)
	v_subrev_nc_u32_e32 v6, s5, v3
	v_cmp_le_u32_e32 vcc_lo, s5, v3
	v_dual_cndmask_b32 v2, v2, v4 :: v_dual_cndmask_b32 v3, v3, v6
	s_delay_alu instid0(VALU_DEP_1) | instskip(NEXT) | instid1(VALU_DEP_2)
	v_add_nc_u32_e32 v4, 1, v2
	v_cmp_le_u32_e32 vcc_lo, s5, v3
	s_delay_alu instid0(VALU_DEP_2)
	v_cndmask_b32_e32 v8, v2, v4, vcc_lo
	s_cbranch_scc1 .LBB15_3
; %bb.2:
	v_mov_b32_e32 v9, 0
	s_wait_kmcnt 0x0
	s_delay_alu instid0(VALU_DEP_1)
	v_lshl_add_u64 v[2:3], v[8:9], 3, s[14:15]
	global_load_b32 v2, v[2:3], off
	s_wait_loadcnt 0x0
	v_mul_lo_u32 v3, s4, v2
	s_branch .LBB15_4
.LBB15_3:
	s_wait_kmcnt 0x0
	v_mul_lo_u32 v2, v0, s2
	s_delay_alu instid0(VALU_DEP_1)
	v_mad_u32 v3, v8, s11, v2
.LBB15_4:
	v_mad_u32 v0, v0, s9, v5
	v_mul_lo_u32 v2, v8, s5
	s_mov_b32 s2, exec_lo
	s_delay_alu instid0(VALU_DEP_2) | instskip(NEXT) | instid1(VALU_DEP_2)
	v_mad_u32 v0, v8, s8, v0
	v_sub_nc_u32_e32 v1, v1, v2
	s_delay_alu instid0(VALU_DEP_1) | instskip(SKIP_1) | instid1(VALU_DEP_3)
	v_mul_lo_u32 v4, v1, s10
	s_load_b128 s[8:11], s[0:1], 0x0
	v_mad_u32 v2, v1, s7, v0
	s_delay_alu instid0(VALU_DEP_2) | instskip(NEXT) | instid1(VALU_DEP_1)
	v_add3_u32 v0, v4, v5, v3
	v_dual_ashrrev_i32 v1, 31, v0 :: v_dual_ashrrev_i32 v3, 31, v2
	v_cmpx_le_i32_e64 s3, v5
	s_xor_b32 s2, exec_lo, s2
	s_cbranch_execz .LBB15_6
; %bb.5:
	s_wait_kmcnt 0x0
	v_lshl_add_u64 v[2:3], v[2:3], 2, s[8:9]
	v_lshl_add_u64 v[0:1], v[0:1], 2, s[10:11]
                                        ; implicit-def: $vgpr8
                                        ; implicit-def: $vgpr5
	global_load_b64 v[2:3], v[2:3], off
	s_wait_loadcnt 0x0
	global_store_b64 v[0:1], v[2:3], off
                                        ; implicit-def: $vgpr2
                                        ; implicit-def: $vgpr0
.LBB15_6:
	s_wait_xcnt 0x0
	s_and_not1_saveexec_b32 s2, s2
	s_cbranch_execz .LBB15_19
; %bb.7:
	s_clause 0x1
	s_load_b64 s[14:15], s[0:1], 0x50
	s_load_b64 s[2:3], s[0:1], 0x38
	v_cvt_f32_i32_e32 v4, v5
	s_mov_b32 s4, 0x3e76c4e1
	s_delay_alu instid0(VALU_DEP_1)
	v_mul_f32_e32 v4, 0.5, v4
	s_wait_kmcnt 0x0
	s_cmp_neq_f32 s15, 1.0
	global_load_b32 v8, v8, s[2:3] scale_offset
	s_cselect_b32 vcc_lo, -1, 0
	v_cndmask_b32_e32 v12, 1.0, v4, vcc_lo
	s_delay_alu instid0(VALU_DEP_1) | instskip(SKIP_1) | instid1(VALU_DEP_1)
	v_cmp_neq_f32_e32 vcc_lo, 0, v12
	v_cndmask_b32_e64 v9, 1.0, s15, vcc_lo
	v_frexp_mant_f32_e64 v4, |v9|
	v_cmp_lt_f32_e64 s6, |v9|, 1.0
	s_delay_alu instid0(VALU_DEP_2) | instskip(SKIP_1) | instid1(VALU_DEP_1)
	v_cmp_gt_f32_e32 vcc_lo, 0x3f2aaaab, v4
	v_cndmask_b32_e64 v6, 1.0, 2.0, vcc_lo
	v_mul_f32_e32 v4, v4, v6
	v_cmp_neq_f32_e64 s5, v12, |v12|
	s_delay_alu instid0(VALU_DEP_2) | instskip(SKIP_1) | instid1(VALU_DEP_1)
	v_dual_add_f32 v6, 1.0, v4 :: v_dual_add_f32 v7, -1.0, v4
	s_xor_b32 s5, s5, s6
	v_rcp_f32_e32 v13, v6
	v_nop
	s_delay_alu instid0(TRANS32_DEP_1) | instskip(NEXT) | instid1(VALU_DEP_1)
	v_dual_mul_f32 v16, v7, v13 :: v_dual_add_f32 v11, -1.0, v6
	v_dual_mul_f32 v10, v6, v16 :: v_dual_sub_f32 v4, v4, v11
	s_delay_alu instid0(VALU_DEP_1) | instskip(NEXT) | instid1(VALU_DEP_1)
	v_fma_f32 v14, v16, v6, -v10
	v_fmac_f32_e32 v14, v16, v4
	s_delay_alu instid0(VALU_DEP_1) | instskip(NEXT) | instid1(VALU_DEP_1)
	v_add_f32_e32 v6, v10, v14
	v_dual_sub_f32 v11, v7, v6 :: v_dual_mov_b32 v15, v6
	s_delay_alu instid0(VALU_DEP_1) | instskip(NEXT) | instid1(VALU_DEP_1)
	v_pk_add_f32 v[6:7], v[6:7], v[10:11] neg_lo:[0,1] neg_hi:[0,1]
	v_pk_add_f32 v[6:7], v[6:7], v[14:15] neg_lo:[0,1] neg_hi:[0,1]
	s_delay_alu instid0(VALU_DEP_1) | instskip(NEXT) | instid1(VALU_DEP_1)
	v_add_f32_e32 v4, v6, v7
	v_add_f32_e32 v4, v11, v4
	s_delay_alu instid0(VALU_DEP_1) | instskip(NEXT) | instid1(VALU_DEP_1)
	v_mul_f32_e32 v6, v13, v4
	v_add_f32_e32 v4, v16, v6
	s_delay_alu instid0(VALU_DEP_1) | instskip(NEXT) | instid1(VALU_DEP_1)
	v_sub_f32_e32 v7, v4, v16
	v_dual_mul_f32 v13, v4, v4 :: v_dual_sub_f32 v20, v6, v7
	s_delay_alu instid0(VALU_DEP_1) | instskip(NEXT) | instid1(VALU_DEP_2)
	v_fma_f32 v7, v4, v4, -v13
	v_add_f32_e32 v6, v20, v20
	s_delay_alu instid0(VALU_DEP_1) | instskip(NEXT) | instid1(VALU_DEP_1)
	v_fmac_f32_e32 v7, v4, v6
	v_add_f32_e32 v6, v13, v7
	s_delay_alu instid0(VALU_DEP_1) | instskip(SKIP_1) | instid1(VALU_DEP_2)
	v_dual_fmaak_f32 v10, s4, v6, 0x3e91f4c4 :: v_dual_sub_f32 v13, v6, v13
	v_cmp_eq_f32_e64 s4, 0, v9
	v_fmaak_f32 v14, v6, v10, 0x3ecccdef
	s_delay_alu instid0(VALU_DEP_3) | instskip(SKIP_1) | instid1(VALU_DEP_3)
	v_sub_f32_e32 v18, v7, v13
	v_cvt_f64_f32_e64 v[10:11], |v9|
	v_dual_ashrrev_i32 v13, 1, v5 :: v_dual_mul_f32 v15, v6, v14
	global_load_b32 v24, v13, s[12:13] scale_offset
	v_fma_f32 v7, v6, v14, -v15
	s_delay_alu instid0(VALU_DEP_1) | instskip(NEXT) | instid1(VALU_DEP_1)
	v_fmac_f32_e32 v7, v18, v14
	v_add_f32_e32 v14, v15, v7
	s_delay_alu instid0(VALU_DEP_1) | instskip(NEXT) | instid1(VALU_DEP_1)
	v_sub_f32_e32 v5, v14, v15
	v_sub_f32_e32 v5, v7, v5
	v_frexp_exp_i32_f64_e32 v19, v[10:11]
	s_delay_alu instid0(VALU_DEP_2) | instskip(SKIP_1) | instid1(VALU_DEP_1)
	v_add_f32_e32 v5, 0x31739010, v5
	v_add_f32_e32 v15, 0x3f2aaaaa, v14
	;; [unrolled: 1-line block ×3, first 2 shown]
	s_delay_alu instid0(VALU_DEP_1) | instskip(NEXT) | instid1(VALU_DEP_1)
	v_sub_f32_e32 v7, v14, v7
	v_pk_mul_f32 v[10:11], v[4:5], v[6:7]
	v_pk_add_f32 v[16:17], v[4:5], v[6:7]
	s_delay_alu instid0(VALU_DEP_1) | instskip(NEXT) | instid1(VALU_DEP_1)
	v_dual_fma_f32 v14, v6, v4, -v10 :: v_dual_mov_b32 v11, v17
	v_fmac_f32_e32 v14, v6, v20
	v_subrev_co_ci_u32_e64 v5, null, 0, v19, vcc_lo
	s_delay_alu instid0(VALU_DEP_2) | instskip(NEXT) | instid1(VALU_DEP_2)
	v_fmac_f32_e32 v14, v18, v4
	v_cvt_f32_i32_e32 v5, v5
	s_delay_alu instid0(VALU_DEP_2) | instskip(NEXT) | instid1(VALU_DEP_1)
	v_pk_add_f32 v[6:7], v[10:11], v[14:15]
	v_mov_b32_e32 v16, v7
	s_delay_alu instid0(VALU_DEP_2) | instskip(NEXT) | instid1(VALU_DEP_2)
	v_dual_sub_f32 v11, v15, v7 :: v_dual_sub_f32 v15, v6, v10
	v_pk_mul_f32 v[18:19], v[6:7], v[16:17]
	s_delay_alu instid0(VALU_DEP_2) | instskip(NEXT) | instid1(VALU_DEP_3)
	v_dual_add_f32 v11, v17, v11 :: v_dual_mul_f32 v16, 0x3f317218, v5
	v_sub_f32_e32 v14, v14, v15
	s_delay_alu instid0(VALU_DEP_3) | instskip(NEXT) | instid1(VALU_DEP_1)
	v_fma_f32 v10, v6, v7, -v18
	v_fmac_f32_e32 v10, v6, v11
	s_delay_alu instid0(VALU_DEP_4) | instskip(NEXT) | instid1(VALU_DEP_2)
	v_fma_f32 v6, 0x3f317218, v5, -v16
	v_fmac_f32_e32 v10, v14, v7
	s_delay_alu instid0(VALU_DEP_2) | instskip(SKIP_1) | instid1(VALU_DEP_1)
	v_fmamk_f32 v6, v5, 0xb102e308, v6
	v_ldexp_f32 v7, v4, 1
	v_dual_add_f32 v17, v18, v10 :: v_dual_mov_b32 v19, v7
	s_delay_alu instid0(VALU_DEP_1) | instskip(SKIP_2) | instid1(VALU_DEP_3)
	v_pk_add_f32 v[4:5], v[16:17], v[6:7]
	v_dual_mov_b32 v14, v17 :: v_dual_mov_b32 v11, v17
	v_ldexp_f32 v7, v20, 1
	v_mov_b32_e32 v15, v5
	s_delay_alu instid0(VALU_DEP_1) | instskip(NEXT) | instid1(VALU_DEP_1)
	v_pk_add_f32 v[14:15], v[14:15], v[18:19] neg_lo:[0,1] neg_hi:[0,1]
	v_pk_add_f32 v[10:11], v[10:11], v[14:15] neg_lo:[0,1] neg_hi:[0,1]
	s_delay_alu instid0(VALU_DEP_1) | instskip(NEXT) | instid1(VALU_DEP_1)
	v_add_f32_e32 v7, v7, v10
	v_dual_add_f32 v17, v7, v11 :: v_dual_mov_b32 v7, v4
	s_delay_alu instid0(VALU_DEP_1) | instskip(SKIP_1) | instid1(VALU_DEP_2)
	v_pk_add_f32 v[10:11], v[4:5], v[16:17]
	v_pk_add_f32 v[14:15], v[4:5], v[16:17] neg_lo:[0,1] neg_hi:[0,1]
	v_dual_mov_b32 v22, v5 :: v_dual_mov_b32 v15, v11
	s_delay_alu instid0(VALU_DEP_1) | instskip(NEXT) | instid1(VALU_DEP_1)
	v_pk_add_f32 v[18:19], v[6:7], v[14:15]
	v_dual_mov_b32 v18, v11 :: v_dual_mov_b32 v16, v19
	v_pk_add_f32 v[6:7], v[6:7], v[14:15] neg_lo:[0,1] neg_hi:[0,1]
	s_delay_alu instid0(VALU_DEP_2) | instskip(SKIP_1) | instid1(VALU_DEP_2)
	v_pk_add_f32 v[20:21], v[16:17], v[4:5] neg_lo:[0,1] neg_hi:[0,1]
	v_dual_mov_b32 v5, v4 :: v_dual_mov_b32 v4, v17
	v_dual_mov_b32 v17, v20 :: v_dual_mov_b32 v23, v20
	s_delay_alu instid0(VALU_DEP_1) | instskip(NEXT) | instid1(VALU_DEP_2)
	v_pk_add_f32 v[10:11], v[10:11], v[16:17] neg_lo:[0,1] neg_hi:[0,1]
	v_pk_add_f32 v[14:15], v[18:19], v[22:23] neg_lo:[0,1] neg_hi:[0,1]
	v_mov_b32_e32 v10, v6
	s_delay_alu instid0(VALU_DEP_2) | instskip(NEXT) | instid1(VALU_DEP_1)
	v_pk_add_f32 v[4:5], v[4:5], v[14:15] neg_lo:[0,1] neg_hi:[0,1]
	v_pk_add_f32 v[10:11], v[10:11], v[4:5]
	s_delay_alu instid0(VALU_DEP_1) | instskip(NEXT) | instid1(VALU_DEP_1)
	v_mov_b32_e32 v14, v11
	v_pk_add_f32 v[14:15], v[10:11], v[14:15]
	s_delay_alu instid0(VALU_DEP_1) | instskip(NEXT) | instid1(VALU_DEP_1)
	v_pk_add_f32 v[16:17], v[16:17], v[14:15]
	v_dual_mov_b32 v7, v19 :: v_dual_mov_b32 v11, v16
	s_delay_alu instid0(VALU_DEP_1) | instskip(NEXT) | instid1(VALU_DEP_1)
	v_pk_add_f32 v[18:19], v[10:11], v[6:7] neg_lo:[0,1] neg_hi:[0,1]
	v_sub_f32_e32 v7, v10, v18
	s_delay_alu instid0(VALU_DEP_1) | instskip(SKIP_1) | instid1(VALU_DEP_1)
	v_sub_f32_e32 v6, v6, v7
	v_mov_b32_e32 v5, v14
	v_pk_add_f32 v[4:5], v[4:5], v[18:19] neg_lo:[0,1] neg_hi:[0,1]
	s_delay_alu instid0(VALU_DEP_1) | instskip(NEXT) | instid1(VALU_DEP_1)
	v_add_f32_e32 v4, v4, v6
	v_add_f32_e32 v4, v4, v5
	s_delay_alu instid0(VALU_DEP_1) | instskip(NEXT) | instid1(VALU_DEP_1)
	v_add_f32_e32 v5, v16, v4
	v_dual_sub_f32 v6, v5, v16 :: v_dual_mul_f32 v7, v12, v5
	s_delay_alu instid0(VALU_DEP_1) | instskip(NEXT) | instid1(VALU_DEP_2)
	v_sub_f32_e32 v4, v4, v6
	v_fma_f32 v5, v12, v5, -v7
	v_cmp_class_f32_e64 vcc_lo, v7, 0x204
	s_delay_alu instid0(VALU_DEP_2) | instskip(NEXT) | instid1(VALU_DEP_1)
	v_fmac_f32_e32 v5, v12, v4
	v_add_f32_e32 v4, v7, v5
	s_delay_alu instid0(VALU_DEP_1) | instskip(NEXT) | instid1(VALU_DEP_1)
	v_cndmask_b32_e32 v6, v4, v7, vcc_lo
	v_cmp_eq_f32_e32 vcc_lo, 0x42b17218, v6
	v_cndmask_b32_e64 v10, 0, 0x37000000, vcc_lo
	s_delay_alu instid0(VALU_DEP_1) | instskip(NEXT) | instid1(VALU_DEP_1)
	v_sub_f32_e32 v11, v6, v10
	v_mul_f32_e32 v14, 0x3fb8aa3b, v11
	s_delay_alu instid0(VALU_DEP_1) | instskip(SKIP_1) | instid1(VALU_DEP_1)
	v_fma_f32 v15, 0x3fb8aa3b, v11, -v14
	v_rndne_f32_e32 v16, v14
	v_dual_fmamk_f32 v15, v11, 0x32a5705f, v15 :: v_dual_sub_f32 v14, v14, v16
	v_sub_f32_e32 v4, v4, v7
	v_cmp_neq_f32_e64 vcc_lo, 0x7f800000, |v6|
	v_trunc_f32_e32 v6, v12
	s_delay_alu instid0(VALU_DEP_3) | instskip(NEXT) | instid1(VALU_DEP_1)
	v_dual_add_f32 v14, v14, v15 :: v_dual_sub_f32 v4, v5, v4
	v_exp_f32_e32 v7, v14
	v_nop
	v_cvt_i32_f32_e32 v14, v16
	s_delay_alu instid0(VALU_DEP_3)
	v_cndmask_b32_e32 v4, 0, v4, vcc_lo
	v_cmp_ngt_f32_e32 vcc_lo, 0xc2ce8ed0, v11
	s_delay_alu instid0(TRANS32_DEP_1) | instid1(VALU_DEP_3)
	v_ldexp_f32 v5, v7, v14
	s_delay_alu instid0(VALU_DEP_1) | instskip(NEXT) | instid1(VALU_DEP_1)
	v_dual_mul_f32 v7, 0.5, v12 :: v_dual_cndmask_b32 v5, 0, v5, vcc_lo
	v_trunc_f32_e32 v14, v7
	v_cmp_nlt_f32_e32 vcc_lo, 0x42b17218, v11
	s_wait_xcnt 0x1
	s_delay_alu instid0(VALU_DEP_2) | instskip(SKIP_2) | instid1(VALU_DEP_2)
	v_cmp_neq_f32_e64 s2, v14, v7
	v_cndmask_b32_e32 v5, 0x7f800000, v5, vcc_lo
	v_cmp_eq_f32_e32 vcc_lo, v6, v12
	v_cmp_class_f32_e64 s3, v5, 0x204
	s_and_b32 s2, vcc_lo, s2
	s_delay_alu instid0(SALU_CYCLE_1) | instskip(SKIP_2) | instid1(VALU_DEP_3)
	v_dual_cndmask_b32 v6, 1.0, v9, s2 :: v_dual_add_f32 v4, v10, v4
	v_cndmask_b32_e64 v10, 0, v9, s2
	v_cmp_class_f32_e64 s2, v9, 0x204
	v_fma_f32 v4, v5, v4, v5
	s_delay_alu instid0(VALU_DEP_1) | instskip(SKIP_2) | instid1(VALU_DEP_3)
	v_cndmask_b32_e64 v4, v4, v5, s3
	v_cndmask_b32_e64 v5, 0x7f800000, 0, s5
	v_cmp_gt_f32_e64 s3, 0, v12
	v_bfi_b32 v4, 0x7fffffff, v4, v6
	s_xor_b32 s3, s3, s4
	s_delay_alu instid0(SALU_CYCLE_1) | instskip(NEXT) | instid1(VALU_DEP_2)
	v_cndmask_b32_e64 v6, 0x7f800000, 0, s3
	v_cndmask_b32_e32 v7, 0x7fc00000, v4, vcc_lo
	v_cmp_neq_f32_e64 vcc_lo, |v9|, 1.0
	s_delay_alu instid0(VALU_DEP_3) | instskip(SKIP_4) | instid1(VALU_DEP_2)
	v_bfi_b32 v6, 0x7fffffff, v6, v10
	v_cndmask_b32_e32 v5, 1.0, v5, vcc_lo
	v_cmp_gt_f32_e32 vcc_lo, 0, v9
	v_cndmask_b32_e32 v4, v4, v7, vcc_lo
	v_cmp_class_f32_e64 vcc_lo, v12, 0x204
	v_cndmask_b32_e32 v4, v4, v5, vcc_lo
	s_or_b32 vcc_lo, s4, s2
	s_wait_loadcnt 0x1
	v_cvt_f32_i32_e32 v5, v8
	s_load_b128 s[4:7], s[0:1], 0x40
	v_cndmask_b32_e32 v4, v4, v6, vcc_lo
	v_cmp_o_f32_e32 vcc_lo, v9, v9
	s_delay_alu instid0(VALU_DEP_2) | instskip(NEXT) | instid1(VALU_DEP_1)
	v_cndmask_b32_e32 v4, 0x7fc00000, v4, vcc_lo
	v_mul_f32_e32 v4, v4, v5
	s_wait_loadcnt 0x0
	s_delay_alu instid0(VALU_DEP_1) | instskip(SKIP_3) | instid1(VALU_DEP_2)
	v_div_scale_f32 v5, null, v24, v24, v4
	v_div_scale_f32 v8, vcc_lo, v4, v24, v4
	s_wait_kmcnt 0x0
	s_cmp_eq_f32 s5, 0
	v_rcp_f32_e32 v6, v5
	v_nop
	s_delay_alu instid0(TRANS32_DEP_1) | instskip(NEXT) | instid1(VALU_DEP_1)
	v_fma_f32 v7, -v5, v6, 1.0
	v_fmac_f32_e32 v6, v7, v6
	s_delay_alu instid0(VALU_DEP_1) | instskip(NEXT) | instid1(VALU_DEP_1)
	v_mul_f32_e32 v7, v8, v6
	v_fma_f32 v9, -v5, v7, v8
	s_delay_alu instid0(VALU_DEP_1) | instskip(NEXT) | instid1(VALU_DEP_1)
	v_fmac_f32_e32 v7, v9, v6
	v_fma_f32 v5, -v5, v7, v8
	s_delay_alu instid0(VALU_DEP_1) | instskip(NEXT) | instid1(VALU_DEP_1)
	v_div_fmas_f32 v5, v5, v6, v7
	v_div_fixup_f32 v4, v5, v24, v4
	s_delay_alu instid0(VALU_DEP_1)
	v_mul_f32_e32 v5, s4, v4
	s_cbranch_scc1 .LBB15_9
; %bb.8:
	v_cvt_f32_i32_e32 v6, v13
	s_sub_f32 s0, s14, s7
	v_div_scale_f32 v8, null, s4, s4, 1.0
	s_delay_alu instid0(SALU_CYCLE_2) | instskip(SKIP_4) | instid1(VALU_DEP_3)
	s_max_num_f32 s1, s0, 0x3a83126f
	v_subrev_f32_e32 v6, s7, v6
	v_rcp_f32_e32 v10, v8
	v_nop
	v_xor_b32_e32 v8, 0x80000000, v8
	v_div_scale_f32 v7, null, s1, s1, v6
	s_delay_alu instid0(TRANS32_DEP_1) | instid1(VALU_DEP_2)
	v_fma_f32 v12, v8, v10, 1.0
	s_delay_alu instid0(VALU_DEP_2) | instskip(SKIP_1) | instid1(TRANS32_DEP_1)
	v_rcp_f32_e32 v9, v7
	v_nop
	v_fma_f32 v11, -v7, v9, 1.0
	s_delay_alu instid0(VALU_DEP_1) | instskip(SKIP_2) | instid1(VALU_DEP_2)
	v_fmac_f32_e32 v9, v11, v9
	v_div_scale_f32 v13, vcc_lo, v6, s1, v6
	v_div_scale_f32 v11, s0, 1.0, s4, 1.0
	v_dual_fmac_f32 v10, v12, v10 :: v_dual_mul_f32 v12, v13, v9
	s_delay_alu instid0(VALU_DEP_1) | instskip(NEXT) | instid1(VALU_DEP_1)
	v_mul_f32_e32 v14, v11, v10
	v_dual_fma_f32 v15, -v7, v12, v13 :: v_dual_fma_f32 v16, v8, v14, v11
	s_delay_alu instid0(VALU_DEP_1) | instskip(NEXT) | instid1(VALU_DEP_1)
	v_dual_fmac_f32 v12, v15, v9 :: v_dual_fmac_f32 v14, v16, v10
	v_dual_fma_f32 v7, -v7, v12, v13 :: v_dual_fmac_f32 v11, v8, v14
	s_delay_alu instid0(VALU_DEP_1) | instskip(SKIP_1) | instid1(VALU_DEP_2)
	v_div_fmas_f32 v7, v7, v9, v12
	s_mov_b32 vcc_lo, s0
	v_div_fmas_f32 v8, v11, v10, v14
	s_delay_alu instid0(VALU_DEP_2) | instskip(NEXT) | instid1(VALU_DEP_2)
	v_div_fixup_f32 v6, v7, s1, v6 clamp
	v_div_fixup_f32 v8, v8, s4, 1.0
	s_delay_alu instid0(VALU_DEP_2) | instskip(NEXT) | instid1(VALU_DEP_2)
	v_sub_f32_e32 v10, 1.0, v6
	v_readfirstlane_b32 s0, v8
	s_delay_alu instid0(VALU_DEP_2) | instskip(SKIP_2) | instid1(SALU_CYCLE_1)
	v_mul_f32_e32 v6, s5, v10
	s_cmp_lt_f32 s0, 0x800000
	s_cselect_b32 s0, 0x4f800000, 1.0
	v_mul_f32_e32 v8, s0, v8
	s_cselect_b32 s0, 0x41b17218, 0
	s_delay_alu instid0(VALU_DEP_1) | instskip(SKIP_1) | instid1(TRANS32_DEP_1)
	v_log_f32_e32 v8, v8
	v_nop
	v_mul_f32_e32 v9, 0x3f317217, v8
	v_and_b32_e32 v7, 0x7fffffff, v8
	s_delay_alu instid0(VALU_DEP_2) | instskip(NEXT) | instid1(VALU_DEP_2)
	v_xor_b32_e32 v9, 0x80000000, v9
	v_cmp_gt_f32_e32 vcc_lo, 0x7f800000, v7
	v_fma_f32 v7, -s5, v10, 1.0
	s_delay_alu instid0(VALU_DEP_3) | instskip(NEXT) | instid1(VALU_DEP_2)
	v_fmac_f32_e32 v9, 0x3f317217, v8
	v_pk_mul_f32 v[4:5], v[6:7], v[4:5]
	s_delay_alu instid0(VALU_DEP_2) | instskip(NEXT) | instid1(VALU_DEP_2)
	v_fmamk_f32 v9, v8, 0x3377d1cf, v9
	v_add_f32_e32 v5, v4, v5
	s_delay_alu instid0(VALU_DEP_2) | instskip(NEXT) | instid1(VALU_DEP_1)
	v_fmac_f32_e32 v9, 0x3f317217, v8
	v_dual_cndmask_b32 v8, v8, v9 :: v_dual_mov_b32 v9, 1.0
	s_delay_alu instid0(VALU_DEP_1) | instskip(NEXT) | instid1(VALU_DEP_1)
	v_subrev_f32_e32 v8, s0, v8
	v_fmamk_f32 v6, v8, 0x3dcccccd, v9
	s_delay_alu instid0(VALU_DEP_1)
	v_mul_f32_e32 v6, s6, v6
	s_branch .LBB15_10
.LBB15_9:
	v_mov_b32_e32 v6, s6
.LBB15_10:
	s_delay_alu instid0(VALU_DEP_2) | instskip(SKIP_1) | instid1(VALU_DEP_2)
	v_and_b32_e32 v4, 0x7fffffff, v5
	v_cmp_ngt_f32_e64 s2, 0x48000000, |v5|
                                        ; implicit-def: $vgpr8
                                        ; implicit-def: $vgpr7
	v_lshrrev_b32_e32 v9, 23, v4
	s_and_saveexec_b32 s0, s2
	s_delay_alu instid0(SALU_CYCLE_1)
	s_xor_b32 s3, exec_lo, s0
	s_cbranch_execz .LBB15_12
; %bb.11:
	s_mov_b32 s0, 0x7fffff
	v_mov_b32_e32 v11, 0
	v_and_or_b32 v10, v4, s0, 0x800000
	s_mov_b64 s[0:1], 0xfe5163ab
	v_add_nc_u32_e32 v7, 0xffffff88, v9
	s_delay_alu instid0(VALU_DEP_2) | instskip(NEXT) | instid1(VALU_DEP_2)
	v_mul_u64_e32 v[12:13], s[0:1], v[10:11]
	v_cmp_lt_u32_e32 vcc_lo, 63, v7
	v_cndmask_b32_e64 v8, 0, 0xffffffc0, vcc_lo
	s_delay_alu instid0(VALU_DEP_3) | instskip(SKIP_2) | instid1(VALU_DEP_3)
	v_dual_mov_b32 v14, v13 :: v_dual_mov_b32 v15, v11
	v_dual_mov_b32 v17, v11 :: v_dual_mov_b32 v19, v11
	v_dual_mov_b32 v21, v11 :: v_dual_mov_b32 v23, v11
	v_mad_nc_u64_u32 v[14:15], 0x3c439041, v10, v[14:15]
	v_dual_add_nc_u32 v7, v8, v7 :: v_dual_mov_b32 v25, v11
	s_delay_alu instid0(VALU_DEP_1) | instskip(NEXT) | instid1(VALU_DEP_3)
	v_cmp_lt_u32_e64 s0, 31, v7
	v_mov_b32_e32 v16, v15
	s_delay_alu instid0(VALU_DEP_2) | instskip(NEXT) | instid1(VALU_DEP_2)
	v_cndmask_b32_e64 v8, 0, 0xffffffe0, s0
	v_mad_nc_u64_u32 v[16:17], 0xdb629599, v10, v[16:17]
	s_delay_alu instid0(VALU_DEP_2) | instskip(NEXT) | instid1(VALU_DEP_1)
	v_add_nc_u32_e32 v7, v8, v7
	v_cmp_lt_u32_e64 s1, 31, v7
	s_delay_alu instid0(VALU_DEP_3) | instskip(NEXT) | instid1(VALU_DEP_2)
	v_mov_b32_e32 v18, v17
	v_cndmask_b32_e64 v8, 0, 0xffffffe0, s1
	v_cndmask_b32_e32 v12, v16, v12, vcc_lo
	s_delay_alu instid0(VALU_DEP_3) | instskip(NEXT) | instid1(VALU_DEP_1)
	v_mad_nc_u64_u32 v[18:19], 0xf534ddc0, v10, v[18:19]
	v_dual_cndmask_b32 v8, v18, v14 :: v_dual_add_nc_u32 v7, v8, v7
	s_delay_alu instid0(VALU_DEP_2) | instskip(NEXT) | instid1(VALU_DEP_1)
	v_mov_b32_e32 v20, v19
	v_mad_nc_u64_u32 v[20:21], 0xfc2757d1, v10, v[20:21]
	s_delay_alu instid0(VALU_DEP_1) | instskip(NEXT) | instid1(VALU_DEP_1)
	v_dual_mov_b32 v22, v21 :: v_dual_cndmask_b32 v15, v20, v16
	v_mad_nc_u64_u32 v[22:23], 0x4e441529, v10, v[22:23]
	s_delay_alu instid0(VALU_DEP_1) | instskip(NEXT) | instid1(VALU_DEP_1)
	v_dual_mov_b32 v24, v23 :: v_dual_cndmask_b32 v13, v22, v18
	v_mad_nc_u64_u32 v[10:11], 0xa2f9836e, v10, v[24:25]
	s_delay_alu instid0(VALU_DEP_1) | instskip(SKIP_1) | instid1(VALU_DEP_2)
	v_dual_cndmask_b32 v10, v10, v20 :: v_dual_cndmask_b32 v11, v11, v22
	v_cmp_eq_u32_e32 vcc_lo, 0, v7
	v_dual_cndmask_b32 v14, v10, v13, s0 :: v_dual_cndmask_b32 v10, v11, v10, s0
	v_dual_cndmask_b32 v11, v13, v15, s0 :: v_dual_cndmask_b32 v15, v15, v8, s0
	v_dual_sub_nc_u32 v13, 32, v7 :: v_dual_cndmask_b32 v8, v8, v12, s0
	s_delay_alu instid0(VALU_DEP_3) | instskip(NEXT) | instid1(VALU_DEP_2)
	v_cndmask_b32_e64 v10, v10, v14, s1
	v_dual_cndmask_b32 v14, v14, v11, s1 :: v_dual_cndmask_b32 v8, v15, v8, s1
	s_delay_alu instid0(VALU_DEP_1) | instskip(NEXT) | instid1(VALU_DEP_1)
	v_alignbit_b32 v17, v10, v14, v13
	v_dual_cndmask_b32 v11, v11, v15, s1 :: v_dual_cndmask_b32 v7, v17, v10, vcc_lo
	s_delay_alu instid0(VALU_DEP_1) | instskip(NEXT) | instid1(VALU_DEP_4)
	v_alignbit_b32 v16, v14, v11, v13
	v_alignbit_b32 v13, v11, v8, v13
	s_delay_alu instid0(VALU_DEP_3) | instskip(NEXT) | instid1(VALU_DEP_2)
	v_bfe_u32 v12, v7, 29, 1
	v_dual_cndmask_b32 v10, v16, v14 :: v_dual_cndmask_b32 v11, v13, v11
	s_delay_alu instid0(VALU_DEP_2) | instskip(NEXT) | instid1(VALU_DEP_2)
	v_sub_nc_u32_e32 v15, 0, v12
	v_alignbit_b32 v14, v7, v10, 30
	s_delay_alu instid0(VALU_DEP_3) | instskip(SKIP_1) | instid1(VALU_DEP_3)
	v_alignbit_b32 v10, v10, v11, 30
	v_alignbit_b32 v8, v11, v8, 30
	v_xor_b32_e32 v14, v14, v15
	s_delay_alu instid0(VALU_DEP_2) | instskip(NEXT) | instid1(VALU_DEP_2)
	v_xor_b32_e32 v8, v8, v15
	v_clz_i32_u32_e32 v13, v14
	s_delay_alu instid0(VALU_DEP_1) | instskip(NEXT) | instid1(VALU_DEP_1)
	v_min_u32_e32 v13, 32, v13
	v_dual_lshlrev_b32 v16, 23, v13 :: v_dual_bitop2_b32 v10, v10, v15 bitop3:0x14
	v_sub_nc_u32_e32 v11, 31, v13
	s_delay_alu instid0(VALU_DEP_1) | instskip(SKIP_2) | instid1(VALU_DEP_1)
	v_alignbit_b32 v14, v14, v10, v11
	v_lshrrev_b32_e32 v15, 29, v7
	v_alignbit_b32 v8, v10, v8, v11
	v_alignbit_b32 v11, v14, v8, 9
	s_delay_alu instid0(VALU_DEP_3) | instskip(NEXT) | instid1(VALU_DEP_2)
	v_dual_lshrrev_b32 v14, 9, v14 :: v_dual_lshlrev_b32 v10, 31, v15
	v_clz_i32_u32_e32 v17, v11
	s_delay_alu instid0(VALU_DEP_2) | instskip(SKIP_1) | instid1(VALU_DEP_2)
	v_or_b32_e32 v15, 0.5, v10
	v_or_b32_e32 v10, 0x33000000, v10
	v_sub_nc_u32_e32 v15, v15, v16
	s_delay_alu instid0(VALU_DEP_4) | instskip(NEXT) | instid1(VALU_DEP_1)
	v_min_u32_e32 v16, 32, v17
	v_add_lshl_u32 v13, v16, v13, 23
	s_delay_alu instid0(VALU_DEP_1) | instskip(NEXT) | instid1(VALU_DEP_4)
	v_sub_nc_u32_e32 v10, v10, v13
	v_or_b32_e32 v14, v14, v15
	v_not_b32_e32 v15, v16
	s_delay_alu instid0(VALU_DEP_1) | instskip(NEXT) | instid1(VALU_DEP_1)
	v_alignbit_b32 v8, v11, v8, v15
	v_dual_mul_f32 v17, 0x3fc90fda, v14 :: v_dual_lshrrev_b32 v8, 9, v8
	s_delay_alu instid0(VALU_DEP_1) | instskip(NEXT) | instid1(VALU_DEP_2)
	v_or_b32_e32 v8, v10, v8
	v_fma_f32 v11, 0x3fc90fda, v14, -v17
	s_delay_alu instid0(VALU_DEP_1) | instskip(NEXT) | instid1(VALU_DEP_1)
	v_fmamk_f32 v11, v14, 0x33a22168, v11
	v_dual_fmac_f32 v11, 0x3fc90fda, v8 :: v_dual_lshrrev_b32 v8, 30, v7
	s_delay_alu instid0(VALU_DEP_1)
	v_dual_add_f32 v7, v17, v11 :: v_dual_add_nc_u32 v8, v12, v8
	s_or_saveexec_b32 s0, s3
	v_mul_f32_e64 v12, 0x3f22f983, |v5|
	s_xor_b32 exec_lo, exec_lo, s0
	s_branch .LBB15_13
.LBB15_12:
	s_or_saveexec_b32 s0, s3
	v_mul_f32_e64 v12, 0x3f22f983, |v5|
	s_xor_b32 exec_lo, exec_lo, s0
.LBB15_13:
	s_delay_alu instid0(VALU_DEP_1) | instskip(NEXT) | instid1(VALU_DEP_1)
	v_rndne_f32_e32 v8, v12
	v_fma_f32 v7, 0xbfc90fda, v8, |v5|
	s_delay_alu instid0(VALU_DEP_1) | instskip(NEXT) | instid1(VALU_DEP_1)
	v_fmamk_f32 v7, v8, 0xb3a22168, v7
	v_fmamk_f32 v7, v8, 0xa7c234c4, v7
	v_cvt_i32_f32_e32 v8, v8
; %bb.14:
	s_or_b32 exec_lo, exec_lo, s0
                                        ; implicit-def: $vgpr11
                                        ; implicit-def: $vgpr10
	s_and_saveexec_b32 s0, s2
	s_delay_alu instid0(SALU_CYCLE_1)
	s_xor_b32 s2, exec_lo, s0
	s_cbranch_execz .LBB15_16
; %bb.15:
	s_mov_b32 s0, 0x7fffff
	v_mov_b32_e32 v11, 0
	v_and_or_b32 v10, v4, s0, 0x800000
	s_mov_b64 s[0:1], 0xfe5163ab
	v_add_nc_u32_e32 v9, 0xffffff88, v9
	s_delay_alu instid0(VALU_DEP_2) | instskip(NEXT) | instid1(VALU_DEP_2)
	v_mul_u64_e32 v[12:13], s[0:1], v[10:11]
	v_cmp_lt_u32_e32 vcc_lo, 63, v9
	s_delay_alu instid0(VALU_DEP_2) | instskip(SKIP_2) | instid1(VALU_DEP_3)
	v_dual_mov_b32 v14, v13 :: v_dual_mov_b32 v15, v11
	v_dual_mov_b32 v17, v11 :: v_dual_mov_b32 v19, v11
	;; [unrolled: 1-line block ×3, first 2 shown]
	v_mad_nc_u64_u32 v[14:15], 0x3c439041, v10, v[14:15]
	v_cndmask_b32_e64 v13, 0, 0xffffffc0, vcc_lo
	s_delay_alu instid0(VALU_DEP_1) | instskip(NEXT) | instid1(VALU_DEP_3)
	v_dual_mov_b32 v25, v11 :: v_dual_add_nc_u32 v9, v13, v9
	v_mov_b32_e32 v16, v15
	s_delay_alu instid0(VALU_DEP_2) | instskip(NEXT) | instid1(VALU_DEP_2)
	v_cmp_lt_u32_e64 s0, 31, v9
	v_mad_nc_u64_u32 v[16:17], 0xdb629599, v10, v[16:17]
	s_delay_alu instid0(VALU_DEP_2) | instskip(NEXT) | instid1(VALU_DEP_1)
	v_cndmask_b32_e64 v13, 0, 0xffffffe0, s0
	v_add_nc_u32_e32 v9, v13, v9
	s_delay_alu instid0(VALU_DEP_3) | instskip(NEXT) | instid1(VALU_DEP_2)
	v_mov_b32_e32 v18, v17
	v_cmp_lt_u32_e64 s1, 31, v9
	v_cndmask_b32_e32 v12, v16, v12, vcc_lo
	s_delay_alu instid0(VALU_DEP_3) | instskip(NEXT) | instid1(VALU_DEP_3)
	v_mad_nc_u64_u32 v[18:19], 0xf534ddc0, v10, v[18:19]
	v_cndmask_b32_e64 v13, 0, 0xffffffe0, s1
	s_delay_alu instid0(VALU_DEP_1) | instskip(NEXT) | instid1(VALU_DEP_3)
	v_dual_add_nc_u32 v9, v13, v9 :: v_dual_cndmask_b32 v13, v18, v14, vcc_lo
	v_mov_b32_e32 v20, v19
	s_delay_alu instid0(VALU_DEP_1) | instskip(NEXT) | instid1(VALU_DEP_1)
	v_mad_nc_u64_u32 v[20:21], 0xfc2757d1, v10, v[20:21]
	v_dual_mov_b32 v22, v21 :: v_dual_cndmask_b32 v17, v20, v16
	s_delay_alu instid0(VALU_DEP_1) | instskip(NEXT) | instid1(VALU_DEP_1)
	v_mad_nc_u64_u32 v[22:23], 0x4e441529, v10, v[22:23]
	v_dual_mov_b32 v24, v23 :: v_dual_cndmask_b32 v15, v22, v18
	s_delay_alu instid0(VALU_DEP_1) | instskip(NEXT) | instid1(VALU_DEP_1)
	v_mad_nc_u64_u32 v[10:11], 0xa2f9836e, v10, v[24:25]
	v_dual_cndmask_b32 v10, v10, v20 :: v_dual_cndmask_b32 v11, v11, v22
	v_cmp_eq_u32_e32 vcc_lo, 0, v9
	s_delay_alu instid0(VALU_DEP_2) | instskip(SKIP_2) | instid1(VALU_DEP_3)
	v_dual_cndmask_b32 v14, v10, v15, s0 :: v_dual_cndmask_b32 v10, v11, v10, s0
	v_cndmask_b32_e64 v11, v15, v17, s0
	v_sub_nc_u32_e32 v15, 32, v9
	v_dual_cndmask_b32 v17, v17, v13, s0 :: v_dual_cndmask_b32 v10, v10, v14, s1
	s_delay_alu instid0(VALU_DEP_3) | instskip(NEXT) | instid1(VALU_DEP_1)
	v_cndmask_b32_e64 v14, v14, v11, s1
	v_alignbit_b32 v18, v10, v14, v15
	s_delay_alu instid0(VALU_DEP_1) | instskip(NEXT) | instid1(VALU_DEP_1)
	v_dual_cndmask_b32 v11, v11, v17, s1 :: v_dual_cndmask_b32 v9, v18, v10, vcc_lo
	v_alignbit_b32 v16, v14, v11, v15
	v_cndmask_b32_e64 v10, v13, v12, s0
	s_delay_alu instid0(VALU_DEP_3) | instskip(NEXT) | instid1(VALU_DEP_3)
	v_bfe_u32 v13, v9, 29, 1
	v_cndmask_b32_e32 v12, v16, v14, vcc_lo
	s_delay_alu instid0(VALU_DEP_2) | instskip(NEXT) | instid1(VALU_DEP_2)
	v_dual_cndmask_b32 v10, v17, v10, s1 :: v_dual_sub_nc_u32 v16, 0, v13
	v_alignbit_b32 v14, v9, v12, 30
	s_delay_alu instid0(VALU_DEP_2) | instskip(NEXT) | instid1(VALU_DEP_1)
	v_alignbit_b32 v15, v11, v10, v15
	v_dual_cndmask_b32 v11, v15, v11, vcc_lo :: v_dual_bitop2_b32 v14, v14, v16 bitop3:0x14
	s_delay_alu instid0(VALU_DEP_1) | instskip(NEXT) | instid1(VALU_DEP_2)
	v_clz_i32_u32_e32 v15, v14
	v_alignbit_b32 v12, v12, v11, 30
	v_alignbit_b32 v10, v11, v10, 30
	s_delay_alu instid0(VALU_DEP_3) | instskip(NEXT) | instid1(VALU_DEP_3)
	v_min_u32_e32 v15, 32, v15
	v_xor_b32_e32 v11, v12, v16
	s_delay_alu instid0(VALU_DEP_3) | instskip(NEXT) | instid1(VALU_DEP_3)
	v_dual_lshrrev_b32 v16, 29, v9 :: v_dual_bitop2_b32 v10, v10, v16 bitop3:0x14
	v_dual_lshrrev_b32 v9, 30, v9 :: v_dual_sub_nc_u32 v12, 31, v15
	v_lshlrev_b32_e32 v17, 23, v15
	s_delay_alu instid0(VALU_DEP_2) | instskip(NEXT) | instid1(VALU_DEP_4)
	v_alignbit_b32 v14, v14, v11, v12
	v_alignbit_b32 v10, v11, v10, v12
	v_lshlrev_b32_e32 v11, 31, v16
	s_delay_alu instid0(VALU_DEP_2) | instskip(NEXT) | instid1(VALU_DEP_2)
	v_alignbit_b32 v12, v14, v10, 9
	v_dual_lshrrev_b32 v14, 9, v14 :: v_dual_bitop2_b32 v16, 0.5, v11 bitop3:0x54
	v_or_b32_e32 v11, 0x33000000, v11
	s_delay_alu instid0(VALU_DEP_3) | instskip(NEXT) | instid1(VALU_DEP_3)
	v_clz_i32_u32_e32 v18, v12
	v_sub_nc_u32_e32 v16, v16, v17
	s_delay_alu instid0(VALU_DEP_2) | instskip(NEXT) | instid1(VALU_DEP_1)
	v_min_u32_e32 v17, 32, v18
	v_add_lshl_u32 v15, v17, v15, 23
	s_delay_alu instid0(VALU_DEP_1) | instskip(SKIP_1) | instid1(VALU_DEP_1)
	v_dual_sub_nc_u32 v11, v11, v15 :: v_dual_bitop2_b32 v14, v14, v16 bitop3:0x54
	v_not_b32_e32 v16, v17
	v_alignbit_b32 v10, v12, v10, v16
	s_delay_alu instid0(VALU_DEP_1) | instskip(NEXT) | instid1(VALU_DEP_4)
	v_lshrrev_b32_e32 v10, 9, v10
	v_mul_f32_e32 v18, 0x3fc90fda, v14
	s_delay_alu instid0(VALU_DEP_2) | instskip(NEXT) | instid1(VALU_DEP_2)
	v_or_b32_e32 v10, v11, v10
	v_fma_f32 v12, 0x3fc90fda, v14, -v18
	s_delay_alu instid0(VALU_DEP_1) | instskip(NEXT) | instid1(VALU_DEP_1)
	v_dual_fmamk_f32 v12, v14, 0x33a22168, v12 :: v_dual_add_nc_u32 v11, v13, v9
	v_fmac_f32_e32 v12, 0x3fc90fda, v10
	s_delay_alu instid0(VALU_DEP_1)
	v_add_f32_e32 v10, v18, v12
                                        ; implicit-def: $vgpr12
	s_and_not1_saveexec_b32 s0, s2
	s_cbranch_execnz .LBB15_17
	s_branch .LBB15_18
.LBB15_16:
	s_and_not1_saveexec_b32 s0, s2
.LBB15_17:
	v_rndne_f32_e32 v9, v12
	s_delay_alu instid0(VALU_DEP_1) | instskip(SKIP_1) | instid1(VALU_DEP_2)
	v_fma_f32 v10, 0xbfc90fda, v9, |v5|
	v_cvt_i32_f32_e32 v11, v9
	v_fmamk_f32 v10, v9, 0xb3a22168, v10
	s_delay_alu instid0(VALU_DEP_1)
	v_fmamk_f32 v10, v9, 0xa7c234c4, v10
.LBB15_18:
	s_or_b32 exec_lo, exec_lo, s0
	v_lshl_add_u64 v[2:3], v[2:3], 2, s[8:9]
	s_delay_alu instid0(VALU_DEP_2)
	v_dual_mul_f32 v9, v7, v7 :: v_dual_mul_f32 v12, v10, v10
	s_mov_b32 s0, 0xb94c1982
	s_mov_b32 s1, 0x37d75334
	global_load_b64 v[2:3], v[2:3], off
	v_xor_b32_e32 v4, v4, v5
	v_fmaak_f32 v15, s0, v12, 0x3c0881c4
	v_lshl_add_u64 v[0:1], v[0:1], 2, s[10:11]
	s_delay_alu instid0(VALU_DEP_2) | instskip(NEXT) | instid1(VALU_DEP_1)
	v_fmaak_f32 v15, v12, v15, 0xbe2aaa9d
	v_dual_fmaak_f32 v14, s1, v9, 0xbab64f3b :: v_dual_mul_f32 v15, v12, v15
	s_delay_alu instid0(VALU_DEP_1) | instskip(NEXT) | instid1(VALU_DEP_1)
	v_dual_fmaak_f32 v13, s0, v9, 0x3c0881c4 :: v_dual_fmac_f32 v10, v10, v15
	v_fmaak_f32 v13, v9, v13, 0xbe2aaa9d
	s_delay_alu instid0(VALU_DEP_1) | instskip(NEXT) | instid1(VALU_DEP_4)
	v_dual_fmaak_f32 v16, s1, v12, 0xbab64f3b :: v_dual_mul_f32 v13, v9, v13
	v_fmaak_f32 v14, v9, v14, 0x3d2aabf7
	s_delay_alu instid0(VALU_DEP_2) | instskip(NEXT) | instid1(VALU_DEP_2)
	v_dual_fmaak_f32 v16, v12, v16, 0x3d2aabf7 :: v_dual_fmac_f32 v7, v7, v13
	v_fmaak_f32 v14, v9, v14, 0xbf000004
	s_delay_alu instid0(VALU_DEP_1) | instskip(SKIP_3) | instid1(VALU_DEP_3)
	v_fma_f32 v9, v9, v14, 1.0
	v_and_b32_e32 v13, 1, v8
	v_dual_lshlrev_b32 v11, 30, v11 :: v_dual_bitop2_b32 v14, 1, v11 bitop3:0x40
	v_lshlrev_b32_e32 v8, 30, v8
	v_cmp_eq_u32_e32 vcc_lo, 0, v13
	v_cndmask_b32_e64 v7, -v7, v9, vcc_lo
	s_delay_alu instid0(VALU_DEP_4) | instskip(SKIP_1) | instid1(VALU_DEP_3)
	v_cmp_eq_u32_e32 vcc_lo, 0, v14
	v_fmaak_f32 v16, v12, v16, 0xbf000004
	v_bitop3_b32 v7, v8, v7, 0x80000000 bitop3:0x6c
	s_delay_alu instid0(VALU_DEP_2) | instskip(NEXT) | instid1(VALU_DEP_1)
	v_fma_f32 v12, v12, v16, 1.0
	v_cndmask_b32_e32 v9, v12, v10, vcc_lo
	v_and_b32_e32 v10, 0x80000000, v11
	v_cmp_class_f32_e64 vcc_lo, v5, 0x1f8
	s_delay_alu instid0(VALU_DEP_2) | instskip(SKIP_1) | instid1(VALU_DEP_2)
	v_xor3_b32 v4, v4, v10, v9
	v_cndmask_b32_e32 v7, 0x7fc00000, v7, vcc_lo
	v_cndmask_b32_e32 v4, 0x7fc00000, v4, vcc_lo
	s_delay_alu instid0(VALU_DEP_1) | instskip(NEXT) | instid1(VALU_DEP_1)
	v_dual_mul_f32 v5, v6, v4 :: v_dual_mul_f32 v4, v6, v7
	v_dual_mov_b32 v6, v5 :: v_dual_mov_b32 v7, v4
	s_wait_loadcnt 0x0
	v_dual_mul_f32 v8, v4, v3 :: v_dual_mul_f32 v10, v5, v3
	s_delay_alu instid0(VALU_DEP_1) | instskip(SKIP_1) | instid1(VALU_DEP_2)
	v_pk_fma_f32 v[6:7], v[6:7], v[2:3], v[8:9] op_sel_hi:[1,1,0]
	s_wait_xcnt 0x0
	v_pk_fma_f32 v[2:3], v[4:5], v[2:3], v[10:11] op_sel_hi:[1,1,0] neg_lo:[0,0,1] neg_hi:[0,0,1]
	s_delay_alu instid0(VALU_DEP_2)
	v_mov_b32_e32 v3, v6
	global_store_b64 v[0:1], v[2:3], off
.LBB15_19:
	s_endpgm
	.section	.rodata,"a",@progbits
	.p2align	6, 0x0
	.amdhsa_kernel _ZL9rope_normILb1ELb1EffEvPKT1_PT2_iiiiiiiiiiPKifff14rope_corr_dimsfPKfPKli
		.amdhsa_group_segment_fixed_size 0
		.amdhsa_private_segment_fixed_size 0
		.amdhsa_kernarg_size 368
		.amdhsa_user_sgpr_count 2
		.amdhsa_user_sgpr_dispatch_ptr 0
		.amdhsa_user_sgpr_queue_ptr 0
		.amdhsa_user_sgpr_kernarg_segment_ptr 1
		.amdhsa_user_sgpr_dispatch_id 0
		.amdhsa_user_sgpr_kernarg_preload_length 0
		.amdhsa_user_sgpr_kernarg_preload_offset 0
		.amdhsa_user_sgpr_private_segment_size 0
		.amdhsa_wavefront_size32 1
		.amdhsa_uses_dynamic_stack 0
		.amdhsa_enable_private_segment 0
		.amdhsa_system_sgpr_workgroup_id_x 1
		.amdhsa_system_sgpr_workgroup_id_y 1
		.amdhsa_system_sgpr_workgroup_id_z 0
		.amdhsa_system_sgpr_workgroup_info 0
		.amdhsa_system_vgpr_workitem_id 1
		.amdhsa_next_free_vgpr 26
		.amdhsa_next_free_sgpr 16
		.amdhsa_named_barrier_count 0
		.amdhsa_reserve_vcc 1
		.amdhsa_float_round_mode_32 0
		.amdhsa_float_round_mode_16_64 0
		.amdhsa_float_denorm_mode_32 3
		.amdhsa_float_denorm_mode_16_64 3
		.amdhsa_fp16_overflow 0
		.amdhsa_memory_ordered 1
		.amdhsa_forward_progress 1
		.amdhsa_inst_pref_size 38
		.amdhsa_round_robin_scheduling 0
		.amdhsa_exception_fp_ieee_invalid_op 0
		.amdhsa_exception_fp_denorm_src 0
		.amdhsa_exception_fp_ieee_div_zero 0
		.amdhsa_exception_fp_ieee_overflow 0
		.amdhsa_exception_fp_ieee_underflow 0
		.amdhsa_exception_fp_ieee_inexact 0
		.amdhsa_exception_int_div_zero 0
	.end_amdhsa_kernel
	.section	.text._ZL9rope_normILb1ELb1EffEvPKT1_PT2_iiiiiiiiiiPKifff14rope_corr_dimsfPKfPKli,"axG",@progbits,_ZL9rope_normILb1ELb1EffEvPKT1_PT2_iiiiiiiiiiPKifff14rope_corr_dimsfPKfPKli,comdat
.Lfunc_end15:
	.size	_ZL9rope_normILb1ELb1EffEvPKT1_PT2_iiiiiiiiiiPKifff14rope_corr_dimsfPKfPKli, .Lfunc_end15-_ZL9rope_normILb1ELb1EffEvPKT1_PT2_iiiiiiiiiiPKifff14rope_corr_dimsfPKfPKli
                                        ; -- End function
	.set _ZL9rope_normILb1ELb1EffEvPKT1_PT2_iiiiiiiiiiPKifff14rope_corr_dimsfPKfPKli.num_vgpr, 26
	.set _ZL9rope_normILb1ELb1EffEvPKT1_PT2_iiiiiiiiiiPKifff14rope_corr_dimsfPKfPKli.num_agpr, 0
	.set _ZL9rope_normILb1ELb1EffEvPKT1_PT2_iiiiiiiiiiPKifff14rope_corr_dimsfPKfPKli.numbered_sgpr, 16
	.set _ZL9rope_normILb1ELb1EffEvPKT1_PT2_iiiiiiiiiiPKifff14rope_corr_dimsfPKfPKli.num_named_barrier, 0
	.set _ZL9rope_normILb1ELb1EffEvPKT1_PT2_iiiiiiiiiiPKifff14rope_corr_dimsfPKfPKli.private_seg_size, 0
	.set _ZL9rope_normILb1ELb1EffEvPKT1_PT2_iiiiiiiiiiPKifff14rope_corr_dimsfPKfPKli.uses_vcc, 1
	.set _ZL9rope_normILb1ELb1EffEvPKT1_PT2_iiiiiiiiiiPKifff14rope_corr_dimsfPKfPKli.uses_flat_scratch, 0
	.set _ZL9rope_normILb1ELb1EffEvPKT1_PT2_iiiiiiiiiiPKifff14rope_corr_dimsfPKfPKli.has_dyn_sized_stack, 0
	.set _ZL9rope_normILb1ELb1EffEvPKT1_PT2_iiiiiiiiiiPKifff14rope_corr_dimsfPKfPKli.has_recursion, 0
	.set _ZL9rope_normILb1ELb1EffEvPKT1_PT2_iiiiiiiiiiPKifff14rope_corr_dimsfPKfPKli.has_indirect_call, 0
	.section	.AMDGPU.csdata,"",@progbits
; Kernel info:
; codeLenInByte = 4740
; TotalNumSgprs: 18
; NumVgprs: 26
; ScratchSize: 0
; MemoryBound: 0
; FloatMode: 240
; IeeeMode: 1
; LDSByteSize: 0 bytes/workgroup (compile time only)
; SGPRBlocks: 0
; VGPRBlocks: 1
; NumSGPRsForWavesPerEU: 18
; NumVGPRsForWavesPerEU: 26
; NamedBarCnt: 0
; Occupancy: 16
; WaveLimiterHint : 0
; COMPUTE_PGM_RSRC2:SCRATCH_EN: 0
; COMPUTE_PGM_RSRC2:USER_SGPR: 2
; COMPUTE_PGM_RSRC2:TRAP_HANDLER: 0
; COMPUTE_PGM_RSRC2:TGID_X_EN: 1
; COMPUTE_PGM_RSRC2:TGID_Y_EN: 1
; COMPUTE_PGM_RSRC2:TGID_Z_EN: 0
; COMPUTE_PGM_RSRC2:TIDIG_COMP_CNT: 1
	.section	.text._ZL9rope_normILb1ELb0Ef6__halfEvPKT1_PT2_iiiiiiiiiiPKifff14rope_corr_dimsfPKfPKli,"axG",@progbits,_ZL9rope_normILb1ELb0Ef6__halfEvPKT1_PT2_iiiiiiiiiiPKifff14rope_corr_dimsfPKfPKli,comdat
	.globl	_ZL9rope_normILb1ELb0Ef6__halfEvPKT1_PT2_iiiiiiiiiiPKifff14rope_corr_dimsfPKfPKli ; -- Begin function _ZL9rope_normILb1ELb0Ef6__halfEvPKT1_PT2_iiiiiiiiiiPKifff14rope_corr_dimsfPKfPKli
	.p2align	8
	.type	_ZL9rope_normILb1ELb0Ef6__halfEvPKT1_PT2_iiiiiiiiiiPKifff14rope_corr_dimsfPKfPKli,@function
_ZL9rope_normILb1ELb0Ef6__halfEvPKT1_PT2_iiiiiiiiiiPKifff14rope_corr_dimsfPKfPKli: ; @_ZL9rope_normILb1ELb0Ef6__halfEvPKT1_PT2_iiiiiiiiiiPKifff14rope_corr_dimsfPKfPKli
; %bb.0:
	s_clause 0x1
	s_load_u16 s3, s[0:1], 0x7e
	s_load_b256 s[4:11], s[0:1], 0x10
	s_bfe_u32 s2, ttmp6, 0x40010
	s_bfe_u32 s13, ttmp6, 0x40004
	s_add_co_i32 s2, s2, 1
	v_bfe_u32 v1, v0, 10, 10
	s_mul_i32 s12, ttmp7, s2
	s_getreg_b32 s2, hwreg(HW_REG_IB_STS2, 6, 4)
	s_add_co_i32 s13, s13, s12
	s_cmp_eq_u32 s2, 0
	s_cselect_b32 s12, ttmp7, s13
	s_wait_kmcnt 0x0
	s_mul_i32 s12, s12, s3
	s_mov_b32 s3, exec_lo
	v_add_lshl_u32 v6, s12, v1, 1
	s_delay_alu instid0(VALU_DEP_1)
	v_cmpx_gt_i32_e64 s4, v6
	s_cbranch_execz .LBB16_20
; %bb.1:
	s_add_nc_u64 s[12:13], s[0:1], 0x70
	s_bfe_u32 s4, ttmp6, 0x4000c
	s_load_b32 s3, s[12:13], 0xc
	s_add_co_i32 s4, s4, 1
	s_wait_xcnt 0x0
	s_and_b32 s12, ttmp6, 15
	s_mul_i32 s4, ttmp9, s4
	v_and_b32_e32 v0, 0x3ff, v0
	s_add_co_i32 s12, s12, s4
	s_wait_kmcnt 0x0
	s_and_b32 s3, s3, 0xffff
	s_cmp_eq_u32 s2, 0
	s_mul_i32 s2, s6, s5
	s_cselect_b32 s4, ttmp9, s12
	s_abs_i32 s6, s2
	v_mad_u32 v2, s4, s3, v0
	s_cvt_f32_u32 s12, s6
	s_sub_co_i32 s4, 0, s6
	s_delay_alu instid0(SALU_CYCLE_2) | instskip(NEXT) | instid1(VALU_DEP_1)
	v_rcp_iflag_f32_e32 v1, s12
	v_sub_nc_u32_e32 v0, 0, v2
	s_delay_alu instid0(TRANS32_DEP_1) | instskip(NEXT) | instid1(VALU_DEP_2)
	v_readfirstlane_b32 s3, v1
	v_max_i32_e32 v0, v2, v0
	s_mul_f32 s3, s3, 0x4f7ffffe
	s_delay_alu instid0(SALU_CYCLE_3) | instskip(NEXT) | instid1(SALU_CYCLE_3)
	s_cvt_u32_f32 s3, s3
	s_mul_i32 s4, s4, s3
	s_delay_alu instid0(SALU_CYCLE_1) | instskip(NEXT) | instid1(SALU_CYCLE_1)
	s_mul_hi_u32 s4, s3, s4
	s_add_co_i32 s3, s3, s4
	s_load_b32 s4, s[0:1], 0x68
	v_mul_hi_u32 v1, v0, s3
	s_cvt_f32_u32 s3, s5
	s_delay_alu instid0(VALU_DEP_1) | instskip(NEXT) | instid1(VALU_DEP_1)
	v_mul_lo_u32 v3, v1, s6
	v_dual_sub_nc_u32 v0, v0, v3 :: v_dual_add_nc_u32 v3, 1, v1
	s_delay_alu instid0(VALU_DEP_1) | instskip(NEXT) | instid1(VALU_DEP_2)
	v_cmp_le_u32_e32 vcc_lo, s6, v0
	v_dual_cndmask_b32 v1, v1, v3, vcc_lo :: v_dual_bitop2_b32 v3, s2, v2 bitop3:0x14
	v_subrev_nc_u32_e32 v4, s6, v0
	s_delay_alu instid0(VALU_DEP_1) | instskip(NEXT) | instid1(VALU_DEP_1)
	v_dual_cndmask_b32 v0, v0, v4, vcc_lo :: v_dual_add_nc_u32 v4, 1, v1
	v_cmp_le_u32_e32 vcc_lo, s6, v0
	s_delay_alu instid0(VALU_DEP_2) | instskip(SKIP_1) | instid1(VALU_DEP_1)
	v_dual_cndmask_b32 v0, v1, v4 :: v_dual_ashrrev_i32 v3, 31, v3
	v_rcp_iflag_f32_e32 v1, s3
	v_xor_b32_e32 v0, v0, v3
	s_delay_alu instid0(TRANS32_DEP_1) | instskip(NEXT) | instid1(VALU_DEP_2)
	v_readfirstlane_b32 s3, v1
	v_sub_nc_u32_e32 v0, v0, v3
	s_delay_alu instid0(VALU_DEP_1) | instskip(SKIP_2) | instid1(SALU_CYCLE_2)
	v_mul_lo_u32 v1, s2, v0
	s_mul_f32 s2, s3, 0x4f7ffffe
	s_sub_co_i32 s3, 0, s5
	s_cvt_u32_f32 s2, s2
	s_delay_alu instid0(SALU_CYCLE_3) | instskip(NEXT) | instid1(VALU_DEP_1)
	s_mul_i32 s3, s3, s2
	v_sub_nc_u32_e32 v1, v2, v1
	s_mul_hi_u32 s3, s2, s3
	s_delay_alu instid0(SALU_CYCLE_1)
	s_add_co_i32 s2, s2, s3
	s_delay_alu instid0(VALU_DEP_1) | instid1(SALU_CYCLE_1)
	v_mul_hi_u32 v2, v1, s2
	s_load_b64 s[2:3], s[0:1], 0x30
	s_wait_kmcnt 0x0
	s_cmp_eq_u32 s4, 0
	s_delay_alu instid0(VALU_DEP_1) | instskip(NEXT) | instid1(VALU_DEP_1)
	v_mul_lo_u32 v3, v2, s5
	v_sub_nc_u32_e32 v3, v1, v3
	s_delay_alu instid0(VALU_DEP_1) | instskip(SKIP_1) | instid1(VALU_DEP_2)
	v_subrev_nc_u32_e32 v5, s5, v3
	v_cmp_le_u32_e32 vcc_lo, s5, v3
	v_dual_cndmask_b32 v3, v3, v5 :: v_dual_add_nc_u32 v4, 1, v2
	s_delay_alu instid0(VALU_DEP_1) | instskip(NEXT) | instid1(VALU_DEP_2)
	v_cndmask_b32_e32 v2, v2, v4, vcc_lo
	v_cmp_le_u32_e32 vcc_lo, s5, v3
	s_delay_alu instid0(VALU_DEP_2) | instskip(NEXT) | instid1(VALU_DEP_1)
	v_add_nc_u32_e32 v4, 1, v2
	v_cndmask_b32_e32 v2, v2, v4, vcc_lo
	s_cbranch_scc1 .LBB16_3
; %bb.2:
	s_load_b64 s[12:13], s[0:1], 0x60
	v_mov_b32_e32 v3, 0
	s_wait_kmcnt 0x0
	s_delay_alu instid0(VALU_DEP_1)
	v_lshl_add_u64 v[4:5], v[2:3], 3, s[12:13]
	global_load_b32 v3, v[4:5], off
	s_wait_loadcnt 0x0
	v_mul_lo_u32 v7, s4, v3
	s_branch .LBB16_4
.LBB16_3:
	v_mul_lo_u32 v3, v0, s2
	s_delay_alu instid0(VALU_DEP_1)
	v_mad_u32 v7, v2, s11, v3
.LBB16_4:
	v_mad_u32 v0, v0, s9, v6
	v_mul_lo_u32 v3, v2, s5
	s_load_b128 s[12:15], s[0:1], 0x0
	s_mov_b32 s2, exec_lo
                                        ; implicit-def: $vgpr5
	s_delay_alu instid0(VALU_DEP_2) | instskip(NEXT) | instid1(VALU_DEP_2)
	v_mad_u32 v0, v2, s8, v0
	v_sub_nc_u32_e32 v8, v1, v3
	s_delay_alu instid0(VALU_DEP_1) | instskip(NEXT) | instid1(VALU_DEP_1)
	v_mad_u32 v0, v8, s7, v0
	v_ashrrev_i32_e32 v1, 31, v0
	v_cmpx_le_i32_e64 s3, v6
	s_xor_b32 s2, exec_lo, s2
	s_cbranch_execz .LBB16_6
; %bb.5:
	s_wait_kmcnt 0x0
	v_lshl_add_u64 v[0:1], v[0:1], 2, s[12:13]
                                        ; implicit-def: $vgpr2
	global_load_b64 v[4:5], v[0:1], off
                                        ; implicit-def: $vgpr0
.LBB16_6:
	s_wait_xcnt 0x0
	s_and_not1_saveexec_b32 s5, s2
	s_cbranch_execz .LBB16_19
; %bb.7:
	s_load_b64 s[6:7], s[0:1], 0x50
	v_cvt_f32_i32_e32 v3, v6
	s_mov_b32 s4, 0x3e76c4e1
	s_clause 0x1
	s_load_b64 s[2:3], s[0:1], 0x38
	s_load_b128 s[16:19], s[0:1], 0x40
	v_mul_f32_e32 v3, 0.5, v3
	s_wait_kmcnt 0x0
	s_cmp_neq_f32 s7, 1.0
	global_load_b32 v26, v2, s[2:3] scale_offset
	s_cselect_b32 vcc_lo, -1, 0
	s_wait_loadcnt 0x1
	v_cndmask_b32_e32 v4, 1.0, v3, vcc_lo
	s_delay_alu instid0(VALU_DEP_1) | instskip(SKIP_1) | instid1(VALU_DEP_1)
	v_cmp_neq_f32_e32 vcc_lo, 0, v4
	v_cndmask_b32_e64 v3, 1.0, s7, vcc_lo
	v_frexp_mant_f32_e64 v5, |v3|
	v_cmp_lt_f32_e64 s8, |v3|, 1.0
	v_cmp_class_f32_e64 s0, v3, 0x204
	s_delay_alu instid0(VALU_DEP_3) | instskip(SKIP_1) | instid1(VALU_DEP_1)
	v_cmp_gt_f32_e32 vcc_lo, 0x3f2aaaab, v5
	v_cndmask_b32_e64 v9, 1.0, 2.0, vcc_lo
	v_mul_f32_e32 v5, v5, v9
	s_delay_alu instid0(VALU_DEP_1) | instskip(SKIP_1) | instid1(VALU_DEP_2)
	v_add_f32_e32 v9, 1.0, v5
	v_cmp_neq_f32_e64 s7, v4, |v4|
	v_rcp_f32_e32 v16, v9
	v_add_f32_e32 v10, -1.0, v9
	v_add_f32_e32 v11, -1.0, v5
	s_xor_b32 s7, s7, s8
	s_delay_alu instid0(TRANS32_DEP_1) | instid1(VALU_DEP_1)
	v_dual_sub_f32 v5, v5, v10 :: v_dual_mul_f32 v17, v11, v16
	s_delay_alu instid0(VALU_DEP_1) | instskip(NEXT) | instid1(VALU_DEP_1)
	v_mul_f32_e32 v12, v9, v17
	v_fma_f32 v14, v17, v9, -v12
	s_delay_alu instid0(VALU_DEP_1) | instskip(NEXT) | instid1(VALU_DEP_1)
	v_fmac_f32_e32 v14, v17, v5
	v_add_f32_e32 v10, v12, v14
	s_delay_alu instid0(VALU_DEP_1) | instskip(NEXT) | instid1(VALU_DEP_1)
	v_dual_sub_f32 v13, v11, v10 :: v_dual_mov_b32 v15, v10
	v_pk_add_f32 v[10:11], v[10:11], v[12:13] neg_lo:[0,1] neg_hi:[0,1]
	s_delay_alu instid0(VALU_DEP_1) | instskip(SKIP_1) | instid1(VALU_DEP_2)
	v_pk_add_f32 v[10:11], v[10:11], v[14:15] neg_lo:[0,1] neg_hi:[0,1]
	v_cvt_f64_f32_e64 v[14:15], |v3|
	v_add_f32_e32 v5, v10, v11
	s_delay_alu instid0(VALU_DEP_1) | instskip(NEXT) | instid1(VALU_DEP_1)
	v_add_f32_e32 v5, v13, v5
	v_mul_f32_e32 v5, v16, v5
	s_delay_alu instid0(VALU_DEP_1) | instskip(NEXT) | instid1(VALU_DEP_1)
	v_add_f32_e32 v10, v17, v5
	v_dual_sub_f32 v9, v10, v17 :: v_dual_mul_f32 v11, v10, v10
	s_delay_alu instid0(VALU_DEP_1) | instskip(SKIP_1) | instid1(VALU_DEP_2)
	v_dual_sub_f32 v5, v5, v9 :: v_dual_fma_f32 v9, v10, v10, -v11
	v_frexp_exp_i32_f64_e32 v20, v[14:15]
	v_add_f32_e32 v12, v5, v5
	s_delay_alu instid0(VALU_DEP_1) | instskip(NEXT) | instid1(VALU_DEP_1)
	v_fmac_f32_e32 v9, v10, v12
	v_add_f32_e32 v12, v11, v9
	s_delay_alu instid0(VALU_DEP_1) | instskip(NEXT) | instid1(VALU_DEP_1)
	v_sub_f32_e32 v11, v12, v11
	v_sub_f32_e32 v9, v9, v11
	v_fmaak_f32 v13, s4, v12, 0x3e91f4c4
	v_cmp_eq_f32_e64 s4, 0, v3
	s_delay_alu instid0(VALU_DEP_2) | instskip(NEXT) | instid1(VALU_DEP_1)
	v_fmaak_f32 v13, v12, v13, 0x3ecccdef
	v_mul_f32_e32 v16, v12, v13
	s_delay_alu instid0(VALU_DEP_1) | instskip(NEXT) | instid1(VALU_DEP_1)
	v_fma_f32 v11, v12, v13, -v16
	v_fmac_f32_e32 v11, v9, v13
	s_wait_xcnt 0x0
	s_delay_alu instid0(VALU_DEP_1) | instskip(NEXT) | instid1(VALU_DEP_1)
	v_add_f32_e32 v2, v16, v11
	v_sub_f32_e32 v13, v2, v16
	v_add_f32_e32 v17, 0x3f2aaaaa, v2
	s_delay_alu instid0(VALU_DEP_2) | instskip(NEXT) | instid1(VALU_DEP_2)
	v_sub_f32_e32 v11, v11, v13
	v_add_f32_e32 v13, 0xbf2aaaaa, v17
	s_delay_alu instid0(VALU_DEP_2) | instskip(NEXT) | instid1(VALU_DEP_2)
	v_add_f32_e32 v11, 0x31739010, v11
	v_sub_f32_e32 v13, v2, v13
	s_delay_alu instid0(VALU_DEP_1) | instskip(SKIP_1) | instid1(VALU_DEP_2)
	v_pk_mul_f32 v[14:15], v[10:11], v[12:13]
	v_pk_add_f32 v[18:19], v[10:11], v[12:13]
	v_fma_f32 v16, v12, v10, -v14
	s_delay_alu instid0(VALU_DEP_1) | instskip(NEXT) | instid1(VALU_DEP_1)
	v_dual_fmac_f32 v16, v12, v5 :: v_dual_mov_b32 v15, v19
	v_fmac_f32_e32 v16, v9, v10
	v_subrev_co_ci_u32_e64 v9, null, 0, v20, vcc_lo
	s_delay_alu instid0(VALU_DEP_2) | instskip(NEXT) | instid1(VALU_DEP_1)
	v_pk_add_f32 v[12:13], v[14:15], v[16:17]
	v_mov_b32_e32 v2, v13
	v_sub_f32_e32 v11, v17, v13
	s_delay_alu instid0(VALU_DEP_2) | instskip(SKIP_1) | instid1(VALU_DEP_3)
	v_pk_mul_f32 v[20:21], v[12:13], v[2:3]
	v_cvt_f32_i32_e32 v2, v9
	v_dual_sub_f32 v9, v12, v14 :: v_dual_add_f32 v11, v19, v11
	s_delay_alu instid0(VALU_DEP_3) | instskip(NEXT) | instid1(VALU_DEP_2)
	v_fma_f32 v14, v12, v13, -v20
	v_dual_mul_f32 v18, 0x3f317218, v2 :: v_dual_sub_f32 v9, v16, v9
	s_delay_alu instid0(VALU_DEP_2) | instskip(NEXT) | instid1(VALU_DEP_2)
	v_fmac_f32_e32 v14, v12, v11
	v_fma_f32 v11, 0x3f317218, v2, -v18
	s_delay_alu instid0(VALU_DEP_2) | instskip(NEXT) | instid1(VALU_DEP_2)
	v_fmac_f32_e32 v14, v9, v13
	v_fmamk_f32 v12, v2, 0xb102e308, v11
	v_ldexp_f32 v13, v10, 1
	v_ldexp_f32 v2, v5, 1
	s_delay_alu instid0(VALU_DEP_2) | instskip(NEXT) | instid1(VALU_DEP_1)
	v_dual_add_f32 v19, v20, v14 :: v_dual_mov_b32 v21, v13
	v_pk_add_f32 v[10:11], v[18:19], v[12:13]
	v_dual_mov_b32 v16, v19 :: v_dual_mov_b32 v15, v19
	s_delay_alu instid0(VALU_DEP_2) | instskip(SKIP_1) | instid1(VALU_DEP_2)
	v_dual_mov_b32 v17, v11 :: v_dual_mov_b32 v13, v10
	v_mov_b32_e32 v24, v11
	v_pk_add_f32 v[16:17], v[16:17], v[20:21] neg_lo:[0,1] neg_hi:[0,1]
	s_delay_alu instid0(VALU_DEP_1) | instskip(NEXT) | instid1(VALU_DEP_1)
	v_pk_add_f32 v[14:15], v[14:15], v[16:17] neg_lo:[0,1] neg_hi:[0,1]
	v_add_f32_e32 v2, v2, v14
	s_delay_alu instid0(VALU_DEP_1) | instskip(NEXT) | instid1(VALU_DEP_1)
	v_add_f32_e32 v19, v2, v15
	v_pk_add_f32 v[14:15], v[10:11], v[18:19]
	v_pk_add_f32 v[16:17], v[10:11], v[18:19] neg_lo:[0,1] neg_hi:[0,1]
	s_delay_alu instid0(VALU_DEP_2) | instskip(NEXT) | instid1(VALU_DEP_1)
	v_mov_b32_e32 v17, v15
	v_pk_add_f32 v[20:21], v[12:13], v[16:17]
	v_pk_add_f32 v[12:13], v[12:13], v[16:17] neg_lo:[0,1] neg_hi:[0,1]
	s_delay_alu instid0(VALU_DEP_2) | instskip(NEXT) | instid1(VALU_DEP_1)
	v_dual_mov_b32 v2, v21 :: v_dual_mov_b32 v13, v21
	v_pk_add_f32 v[22:23], v[2:3], v[10:11] neg_lo:[0,1] neg_hi:[0,1]
	v_dual_mov_b32 v20, v15 :: v_dual_mov_b32 v11, v10
	s_delay_alu instid0(VALU_DEP_2) | instskip(SKIP_1) | instid1(VALU_DEP_2)
	v_dual_mov_b32 v10, v19 :: v_dual_mov_b32 v25, v22
	v_mov_b32_e32 v5, v22
	v_pk_add_f32 v[16:17], v[20:21], v[24:25] neg_lo:[0,1] neg_hi:[0,1]
	s_delay_alu instid0(VALU_DEP_2) | instskip(SKIP_1) | instid1(VALU_DEP_3)
	v_pk_add_f32 v[14:15], v[14:15], v[4:5] neg_lo:[0,1] neg_hi:[0,1]
	v_mov_b32_e32 v14, v12
	v_pk_add_f32 v[10:11], v[10:11], v[16:17] neg_lo:[0,1] neg_hi:[0,1]
	s_delay_alu instid0(VALU_DEP_1) | instskip(NEXT) | instid1(VALU_DEP_1)
	v_pk_add_f32 v[14:15], v[14:15], v[10:11]
	v_mov_b32_e32 v16, v15
	s_delay_alu instid0(VALU_DEP_1) | instskip(NEXT) | instid1(VALU_DEP_1)
	v_pk_add_f32 v[16:17], v[14:15], v[16:17]
	v_pk_add_f32 v[18:19], v[2:3], v[16:17]
	s_delay_alu instid0(VALU_DEP_1) | instskip(NEXT) | instid1(VALU_DEP_1)
	v_dual_mov_b32 v11, v16 :: v_dual_mov_b32 v15, v18
	v_pk_add_f32 v[20:21], v[14:15], v[12:13] neg_lo:[0,1] neg_hi:[0,1]
	s_delay_alu instid0(VALU_DEP_1) | instskip(NEXT) | instid1(VALU_DEP_2)
	v_sub_f32_e32 v2, v14, v20
	v_pk_add_f32 v[10:11], v[10:11], v[20:21] neg_lo:[0,1] neg_hi:[0,1]
	s_delay_alu instid0(VALU_DEP_2) | instskip(NEXT) | instid1(VALU_DEP_1)
	v_sub_f32_e32 v2, v12, v2
	v_add_f32_e32 v2, v10, v2
	s_delay_alu instid0(VALU_DEP_1) | instskip(NEXT) | instid1(VALU_DEP_1)
	v_add_f32_e32 v2, v2, v11
	v_add_f32_e32 v5, v18, v2
	s_delay_alu instid0(VALU_DEP_1) | instskip(NEXT) | instid1(VALU_DEP_1)
	v_dual_sub_f32 v9, v5, v18 :: v_dual_mul_f32 v10, v4, v5
	v_fma_f32 v5, v4, v5, -v10
	s_delay_alu instid0(VALU_DEP_2) | instskip(SKIP_1) | instid1(VALU_DEP_2)
	v_sub_f32_e32 v2, v2, v9
	v_cmp_class_f32_e64 vcc_lo, v10, 0x204
	v_fmac_f32_e32 v5, v4, v2
	s_delay_alu instid0(VALU_DEP_1) | instskip(NEXT) | instid1(VALU_DEP_1)
	v_add_f32_e32 v2, v10, v5
	v_cndmask_b32_e32 v9, v2, v10, vcc_lo
	s_delay_alu instid0(VALU_DEP_1) | instskip(SKIP_1) | instid1(VALU_DEP_1)
	v_cmp_eq_f32_e32 vcc_lo, 0x42b17218, v9
	v_cndmask_b32_e64 v11, 0, 0x37000000, vcc_lo
	v_sub_f32_e32 v12, v9, v11
	s_delay_alu instid0(VALU_DEP_1) | instskip(NEXT) | instid1(VALU_DEP_1)
	v_mul_f32_e32 v13, 0x3fb8aa3b, v12
	v_fma_f32 v14, 0x3fb8aa3b, v12, -v13
	v_rndne_f32_e32 v15, v13
	s_delay_alu instid0(VALU_DEP_1) | instskip(NEXT) | instid1(VALU_DEP_1)
	v_dual_fmamk_f32 v14, v12, 0x32a5705f, v14 :: v_dual_sub_f32 v13, v13, v15
	v_add_f32_e32 v13, v13, v14
	v_sub_f32_e32 v2, v2, v10
	v_cmp_neq_f32_e64 vcc_lo, 0x7f800000, |v9|
	v_trunc_f32_e32 v9, v4
	s_delay_alu instid0(VALU_DEP_4)
	v_exp_f32_e32 v10, v13
	v_nop
	v_cvt_i32_f32_e32 v13, v15
	v_sub_f32_e32 v2, v5, v2
	s_delay_alu instid0(TRANS32_DEP_1) | instid1(VALU_DEP_2)
	v_ldexp_f32 v5, v10, v13
	s_delay_alu instid0(VALU_DEP_2) | instskip(SKIP_1) | instid1(VALU_DEP_2)
	v_dual_mul_f32 v10, 0.5, v4 :: v_dual_cndmask_b32 v2, 0, v2, vcc_lo
	v_cmp_ngt_f32_e32 vcc_lo, 0xc2ce8ed0, v12
	v_trunc_f32_e32 v13, v10
	s_delay_alu instid0(VALU_DEP_4) | instskip(SKIP_2) | instid1(VALU_DEP_4)
	v_cndmask_b32_e32 v5, 0, v5, vcc_lo
	v_cmp_nlt_f32_e32 vcc_lo, 0x42b17218, v12
	v_add_f32_e32 v2, v11, v2
	v_cmp_neq_f32_e64 s2, v13, v10
	s_delay_alu instid0(VALU_DEP_4) | instskip(SKIP_1) | instid1(VALU_DEP_2)
	v_cndmask_b32_e32 v5, 0x7f800000, v5, vcc_lo
	v_cmp_eq_f32_e32 vcc_lo, v9, v4
	v_cmp_class_f32_e64 s3, v5, 0x204
	s_and_b32 s2, vcc_lo, s2
	s_delay_alu instid0(SALU_CYCLE_1) | instskip(NEXT) | instid1(VALU_DEP_1)
	v_dual_fma_f32 v2, v5, v2, v5 :: v_dual_cndmask_b32 v9, 1.0, v3, s2
	v_cndmask_b32_e64 v2, v2, v5, s3
	v_cndmask_b32_e64 v5, 0x7f800000, 0, s7
	v_cmp_gt_f32_e64 s3, 0, v4
	s_delay_alu instid0(VALU_DEP_3) | instskip(SKIP_1) | instid1(SALU_CYCLE_1)
	v_bfi_b32 v2, 0x7fffffff, v2, v9
	s_xor_b32 s3, s3, s4
	v_cndmask_b32_e64 v9, 0x7f800000, 0, s3
	s_delay_alu instid0(VALU_DEP_2) | instskip(SKIP_3) | instid1(VALU_DEP_3)
	v_cndmask_b32_e32 v10, 0x7fc00000, v2, vcc_lo
	v_cmp_neq_f32_e64 vcc_lo, |v3|, 1.0
	v_cndmask_b32_e32 v5, 1.0, v5, vcc_lo
	v_cmp_gt_f32_e32 vcc_lo, 0, v3
	v_dual_cndmask_b32 v11, 0, v3, s2 :: v_dual_cndmask_b32 v2, v2, v10, vcc_lo
	v_cmp_class_f32_e64 vcc_lo, v4, 0x204
	s_delay_alu instid0(VALU_DEP_2)
	v_bfi_b32 v9, 0x7fffffff, v9, v11
	s_wait_loadcnt 0x0
	v_cvt_f32_i32_e32 v4, v26
	v_cndmask_b32_e32 v2, v2, v5, vcc_lo
	s_or_b32 vcc_lo, s4, s0
	s_cmp_eq_f32 s17, 0
	s_delay_alu instid0(VALU_DEP_1) | instskip(SKIP_1) | instid1(VALU_DEP_2)
	v_cndmask_b32_e32 v2, v2, v9, vcc_lo
	v_cmp_o_f32_e32 vcc_lo, v3, v3
	v_cndmask_b32_e32 v2, 0x7fc00000, v2, vcc_lo
	s_delay_alu instid0(VALU_DEP_1) | instskip(NEXT) | instid1(VALU_DEP_1)
	v_mul_f32_e32 v2, v2, v4
	v_mul_f32_e32 v3, s16, v2
	s_cbranch_scc1 .LBB16_9
; %bb.8:
	v_div_scale_f32 v9, null, s16, s16, 1.0
	s_sub_f32 s0, s6, s19
	v_rcp_f32_e32 v11, v9
	v_nop
	v_xor_b32_e32 v9, 0x80000000, v9
	s_max_num_f32 s1, s0, 0x3a83126f
	s_delay_alu instid0(TRANS32_DEP_1) | instid1(VALU_DEP_1)
	v_fma_f32 v13, v9, v11, 1.0
	s_delay_alu instid0(VALU_DEP_1) | instskip(NEXT) | instid1(VALU_DEP_1)
	v_dual_fmac_f32 v11, v13, v11 :: v_dual_ashrrev_i32 v4, 1, v6
	v_cvt_f32_i32_e32 v4, v4
	s_delay_alu instid0(VALU_DEP_1) | instskip(NEXT) | instid1(VALU_DEP_1)
	v_subrev_f32_e32 v4, s19, v4
	v_div_scale_f32 v5, null, s1, s1, v4
	s_delay_alu instid0(VALU_DEP_1) | instskip(SKIP_1) | instid1(TRANS32_DEP_1)
	v_rcp_f32_e32 v10, v5
	v_nop
	v_fma_f32 v12, -v5, v10, 1.0
	s_delay_alu instid0(VALU_DEP_1) | instskip(SKIP_2) | instid1(VALU_DEP_1)
	v_fmac_f32_e32 v10, v12, v10
	v_div_scale_f32 v14, vcc_lo, v4, s1, v4
	v_div_scale_f32 v12, s0, 1.0, s16, 1.0
	v_dual_mul_f32 v13, v14, v10 :: v_dual_mul_f32 v15, v12, v11
	s_delay_alu instid0(VALU_DEP_1) | instskip(NEXT) | instid1(VALU_DEP_1)
	v_fma_f32 v16, -v5, v13, v14
	v_dual_fma_f32 v17, v9, v15, v12 :: v_dual_fmac_f32 v13, v16, v10
	s_delay_alu instid0(VALU_DEP_1) | instskip(NEXT) | instid1(VALU_DEP_2)
	v_fmac_f32_e32 v15, v17, v11
	v_fma_f32 v5, -v5, v13, v14
	s_delay_alu instid0(VALU_DEP_1) | instskip(SKIP_1) | instid1(VALU_DEP_1)
	v_div_fmas_f32 v5, v5, v10, v13
	s_mov_b32 vcc_lo, s0
	v_div_fixup_f32 v4, v5, s1, v4 clamp
	v_fmac_f32_e32 v12, v9, v15
	s_delay_alu instid0(VALU_DEP_1) | instskip(NEXT) | instid1(VALU_DEP_3)
	v_div_fmas_f32 v9, v12, v11, v15
	v_sub_f32_e32 v11, 1.0, v4
	s_delay_alu instid0(VALU_DEP_2) | instskip(NEXT) | instid1(VALU_DEP_2)
	v_div_fixup_f32 v9, v9, s16, 1.0
	v_mul_f32_e32 v4, s17, v11
	s_delay_alu instid0(VALU_DEP_2) | instskip(SKIP_2) | instid1(SALU_CYCLE_1)
	v_readfirstlane_b32 s0, v9
	s_cmp_lt_f32 s0, 0x800000
	s_cselect_b32 s0, 0x4f800000, 1.0
	v_mul_f32_e32 v9, s0, v9
	s_cselect_b32 s0, 0x41b17218, 0
	s_delay_alu instid0(VALU_DEP_1) | instskip(SKIP_1) | instid1(TRANS32_DEP_1)
	v_log_f32_e32 v9, v9
	v_nop
	v_mul_f32_e32 v10, 0x3f317217, v9
	v_and_b32_e32 v5, 0x7fffffff, v9
	s_delay_alu instid0(VALU_DEP_2) | instskip(NEXT) | instid1(VALU_DEP_2)
	v_xor_b32_e32 v10, 0x80000000, v10
	v_cmp_gt_f32_e32 vcc_lo, 0x7f800000, v5
	v_fma_f32 v5, -s17, v11, 1.0
	s_delay_alu instid0(VALU_DEP_1) | instskip(NEXT) | instid1(VALU_DEP_1)
	v_pk_mul_f32 v[2:3], v[4:5], v[2:3]
	v_dual_fmac_f32 v10, 0x3f317217, v9 :: v_dual_add_f32 v3, v2, v3
	s_delay_alu instid0(VALU_DEP_1) | instskip(NEXT) | instid1(VALU_DEP_1)
	v_fmamk_f32 v10, v9, 0x3377d1cf, v10
	v_fmac_f32_e32 v10, 0x3f317217, v9
	s_delay_alu instid0(VALU_DEP_1) | instskip(NEXT) | instid1(VALU_DEP_1)
	v_dual_cndmask_b32 v9, v9, v10 :: v_dual_mov_b32 v10, 1.0
	v_subrev_f32_e32 v9, s0, v9
	s_delay_alu instid0(VALU_DEP_1) | instskip(NEXT) | instid1(VALU_DEP_1)
	v_fmamk_f32 v4, v9, 0x3dcccccd, v10
	v_mul_f32_e32 v4, s18, v4
	s_branch .LBB16_10
.LBB16_9:
	v_mov_b32_e32 v4, s18
.LBB16_10:
	s_delay_alu instid0(VALU_DEP_2) | instskip(SKIP_1) | instid1(VALU_DEP_2)
	v_and_b32_e32 v2, 0x7fffffff, v3
	v_cmp_ngt_f32_e64 s2, 0x48000000, |v3|
                                        ; implicit-def: $vgpr9
                                        ; implicit-def: $vgpr5
	v_lshrrev_b32_e32 v10, 23, v2
	s_and_saveexec_b32 s0, s2
	s_delay_alu instid0(SALU_CYCLE_1)
	s_xor_b32 s3, exec_lo, s0
	s_cbranch_execz .LBB16_12
; %bb.11:
	s_mov_b32 s0, 0x7fffff
	v_mov_b32_e32 v13, 0
	v_and_or_b32 v12, v2, s0, 0x800000
	s_mov_b64 s[0:1], 0xfe5163ab
	v_add_nc_u32_e32 v5, 0xffffff88, v10
	s_delay_alu instid0(VALU_DEP_2) | instskip(NEXT) | instid1(VALU_DEP_2)
	v_mul_u64_e32 v[14:15], s[0:1], v[12:13]
	v_cmp_lt_u32_e32 vcc_lo, 63, v5
	v_cndmask_b32_e64 v9, 0, 0xffffffc0, vcc_lo
	s_delay_alu instid0(VALU_DEP_3) | instskip(SKIP_2) | instid1(VALU_DEP_3)
	v_dual_mov_b32 v16, v15 :: v_dual_mov_b32 v17, v13
	v_dual_mov_b32 v19, v13 :: v_dual_mov_b32 v21, v13
	;; [unrolled: 1-line block ×3, first 2 shown]
	v_mad_nc_u64_u32 v[16:17], 0x3c439041, v12, v[16:17]
	s_delay_alu instid0(VALU_DEP_1) | instskip(NEXT) | instid1(VALU_DEP_1)
	v_mov_b32_e32 v18, v17
	v_mad_nc_u64_u32 v[18:19], 0xdb629599, v12, v[18:19]
	s_delay_alu instid0(VALU_DEP_1) | instskip(NEXT) | instid1(VALU_DEP_1)
	v_dual_mov_b32 v20, v19 :: v_dual_cndmask_b32 v14, v18, v14, vcc_lo
	v_mad_nc_u64_u32 v[20:21], 0xf534ddc0, v12, v[20:21]
	s_delay_alu instid0(VALU_DEP_1) | instskip(NEXT) | instid1(VALU_DEP_1)
	v_mov_b32_e32 v22, v21
	v_mad_nc_u64_u32 v[22:23], 0xfc2757d1, v12, v[22:23]
	s_delay_alu instid0(VALU_DEP_1) | instskip(NEXT) | instid1(VALU_DEP_1)
	v_dual_mov_b32 v24, v23 :: v_dual_cndmask_b32 v15, v22, v18
	v_mad_nc_u64_u32 v[24:25], 0x4e441529, v12, v[24:25]
	v_add_nc_u32_e32 v5, v9, v5
	s_delay_alu instid0(VALU_DEP_2) | instskip(NEXT) | instid1(VALU_DEP_3)
	v_dual_mov_b32 v27, v13 :: v_dual_mov_b32 v26, v25
	v_cndmask_b32_e32 v11, v24, v20, vcc_lo
	s_delay_alu instid0(VALU_DEP_3) | instskip(NEXT) | instid1(VALU_DEP_3)
	v_cmp_lt_u32_e64 s0, 31, v5
	v_mad_nc_u64_u32 v[12:13], 0xa2f9836e, v12, v[26:27]
	s_delay_alu instid0(VALU_DEP_2) | instskip(NEXT) | instid1(VALU_DEP_1)
	v_cndmask_b32_e64 v9, 0, 0xffffffe0, s0
	v_dual_cndmask_b32 v12, v12, v22 :: v_dual_add_nc_u32 v5, v9, v5
	s_delay_alu instid0(VALU_DEP_1) | instskip(NEXT) | instid1(VALU_DEP_4)
	v_cmp_lt_u32_e64 s1, 31, v5
	v_cndmask_b32_e32 v13, v13, v24, vcc_lo
	s_delay_alu instid0(VALU_DEP_2) | instskip(NEXT) | instid1(VALU_DEP_1)
	v_cndmask_b32_e64 v9, 0, 0xffffffe0, s1
	v_dual_add_nc_u32 v5, v9, v5 :: v_dual_cndmask_b32 v9, v20, v16, vcc_lo
	s_delay_alu instid0(VALU_DEP_3) | instskip(NEXT) | instid1(VALU_DEP_2)
	v_dual_cndmask_b32 v16, v12, v11, s0 :: v_dual_cndmask_b32 v12, v13, v12, s0
	v_dual_cndmask_b32 v11, v11, v15, s0 :: v_dual_sub_nc_u32 v13, 32, v5
	s_delay_alu instid0(VALU_DEP_3) | instskip(SKIP_1) | instid1(VALU_DEP_4)
	v_cndmask_b32_e64 v15, v15, v9, s0
	v_cmp_eq_u32_e32 vcc_lo, 0, v5
	v_cndmask_b32_e64 v12, v12, v16, s1
	s_delay_alu instid0(VALU_DEP_4) | instskip(NEXT) | instid1(VALU_DEP_1)
	v_cndmask_b32_e64 v16, v16, v11, s1
	v_alignbit_b32 v17, v12, v16, v13
	s_delay_alu instid0(VALU_DEP_1) | instskip(NEXT) | instid1(VALU_DEP_1)
	v_dual_cndmask_b32 v11, v11, v15, s1 :: v_dual_cndmask_b32 v5, v17, v12, vcc_lo
	v_alignbit_b32 v18, v16, v11, v13
	v_cndmask_b32_e64 v9, v9, v14, s0
	s_delay_alu instid0(VALU_DEP_3) | instskip(NEXT) | instid1(VALU_DEP_2)
	v_bfe_u32 v14, v5, 29, 1
	v_dual_cndmask_b32 v12, v18, v16, vcc_lo :: v_dual_cndmask_b32 v9, v15, v9, s1
	s_delay_alu instid0(VALU_DEP_2) | instskip(NEXT) | instid1(VALU_DEP_2)
	v_sub_nc_u32_e32 v16, 0, v14
	v_alignbit_b32 v15, v5, v12, 30
	s_delay_alu instid0(VALU_DEP_3) | instskip(NEXT) | instid1(VALU_DEP_1)
	v_alignbit_b32 v13, v11, v9, v13
	v_dual_cndmask_b32 v11, v13, v11, vcc_lo :: v_dual_bitop2_b32 v15, v15, v16 bitop3:0x14
	s_delay_alu instid0(VALU_DEP_1) | instskip(NEXT) | instid1(VALU_DEP_2)
	v_clz_i32_u32_e32 v13, v15
	v_alignbit_b32 v12, v12, v11, 30
	v_alignbit_b32 v9, v11, v9, 30
	s_delay_alu instid0(VALU_DEP_3) | instskip(NEXT) | instid1(VALU_DEP_3)
	v_min_u32_e32 v13, 32, v13
	v_xor_b32_e32 v11, v12, v16
	s_delay_alu instid0(VALU_DEP_3) | instskip(NEXT) | instid1(VALU_DEP_3)
	v_dual_lshrrev_b32 v16, 29, v5 :: v_dual_bitop2_b32 v9, v9, v16 bitop3:0x14
	v_dual_sub_nc_u32 v12, 31, v13 :: v_dual_lshlrev_b32 v17, 23, v13
	s_delay_alu instid0(VALU_DEP_1) | instskip(NEXT) | instid1(VALU_DEP_3)
	v_alignbit_b32 v15, v15, v11, v12
	v_alignbit_b32 v9, v11, v9, v12
	s_delay_alu instid0(VALU_DEP_4) | instskip(NEXT) | instid1(VALU_DEP_2)
	v_lshlrev_b32_e32 v11, 31, v16
	v_alignbit_b32 v12, v15, v9, 9
	s_delay_alu instid0(VALU_DEP_2) | instskip(SKIP_2) | instid1(VALU_DEP_4)
	v_or_b32_e32 v16, 0.5, v11
	v_lshrrev_b32_e32 v15, 9, v15
	v_or_b32_e32 v11, 0x33000000, v11
	v_clz_i32_u32_e32 v18, v12
	s_delay_alu instid0(VALU_DEP_4) | instskip(NEXT) | instid1(VALU_DEP_2)
	v_sub_nc_u32_e32 v16, v16, v17
	v_min_u32_e32 v17, 32, v18
	s_delay_alu instid0(VALU_DEP_2) | instskip(NEXT) | instid1(VALU_DEP_2)
	v_or_b32_e32 v15, v15, v16
	v_not_b32_e32 v16, v17
	v_add_lshl_u32 v13, v17, v13, 23
	s_delay_alu instid0(VALU_DEP_2) | instskip(NEXT) | instid1(VALU_DEP_2)
	v_alignbit_b32 v9, v12, v9, v16
	v_sub_nc_u32_e32 v11, v11, v13
	s_delay_alu instid0(VALU_DEP_2) | instskip(NEXT) | instid1(VALU_DEP_1)
	v_dual_mul_f32 v18, 0x3fc90fda, v15 :: v_dual_lshrrev_b32 v9, 9, v9
	v_or_b32_e32 v9, v11, v9
	s_delay_alu instid0(VALU_DEP_2) | instskip(NEXT) | instid1(VALU_DEP_1)
	v_fma_f32 v12, 0x3fc90fda, v15, -v18
	v_fmamk_f32 v12, v15, 0x33a22168, v12
	s_delay_alu instid0(VALU_DEP_1) | instskip(NEXT) | instid1(VALU_DEP_1)
	v_fmac_f32_e32 v12, 0x3fc90fda, v9
	v_dual_lshrrev_b32 v9, 30, v5 :: v_dual_add_f32 v5, v18, v12
	s_delay_alu instid0(VALU_DEP_1)
	v_add_nc_u32_e32 v9, v14, v9
	s_or_saveexec_b32 s0, s3
	v_mul_f32_e64 v13, 0x3f22f983, |v3|
	s_xor_b32 exec_lo, exec_lo, s0
	s_branch .LBB16_13
.LBB16_12:
	s_or_saveexec_b32 s0, s3
	v_mul_f32_e64 v13, 0x3f22f983, |v3|
	s_xor_b32 exec_lo, exec_lo, s0
.LBB16_13:
	s_delay_alu instid0(VALU_DEP_1) | instskip(NEXT) | instid1(VALU_DEP_1)
	v_rndne_f32_e32 v9, v13
	v_fma_f32 v5, 0xbfc90fda, v9, |v3|
	s_delay_alu instid0(VALU_DEP_1) | instskip(NEXT) | instid1(VALU_DEP_1)
	v_fmamk_f32 v5, v9, 0xb3a22168, v5
	v_fmamk_f32 v5, v9, 0xa7c234c4, v5
	v_cvt_i32_f32_e32 v9, v9
; %bb.14:
	s_or_b32 exec_lo, exec_lo, s0
                                        ; implicit-def: $vgpr12
                                        ; implicit-def: $vgpr11
	s_and_saveexec_b32 s0, s2
	s_delay_alu instid0(SALU_CYCLE_1)
	s_xor_b32 s2, exec_lo, s0
	s_cbranch_execz .LBB16_16
; %bb.15:
	s_mov_b32 s0, 0x7fffff
	v_mov_b32_e32 v13, 0
	v_and_or_b32 v12, v2, s0, 0x800000
	s_mov_b64 s[0:1], 0xfe5163ab
	s_delay_alu instid0(VALU_DEP_1) | instid1(SALU_CYCLE_1)
	v_mul_u64_e32 v[14:15], s[0:1], v[12:13]
	s_delay_alu instid0(VALU_DEP_1) | instskip(SKIP_2) | instid1(VALU_DEP_3)
	v_dual_mov_b32 v16, v15 :: v_dual_mov_b32 v17, v13
	v_dual_mov_b32 v19, v13 :: v_dual_mov_b32 v21, v13
	;; [unrolled: 1-line block ×3, first 2 shown]
	v_mad_nc_u64_u32 v[16:17], 0x3c439041, v12, v[16:17]
	v_add_nc_u32_e32 v15, 0xffffff88, v10
	s_delay_alu instid0(VALU_DEP_1) | instskip(NEXT) | instid1(VALU_DEP_3)
	v_cmp_lt_u32_e32 vcc_lo, 63, v15
	v_mov_b32_e32 v18, v17
	v_cndmask_b32_e64 v17, 0, 0xffffffc0, vcc_lo
	s_delay_alu instid0(VALU_DEP_2) | instskip(NEXT) | instid1(VALU_DEP_1)
	v_mad_nc_u64_u32 v[18:19], 0xdb629599, v12, v[18:19]
	v_dual_mov_b32 v20, v19 :: v_dual_cndmask_b32 v14, v18, v14, vcc_lo
	s_delay_alu instid0(VALU_DEP_1) | instskip(NEXT) | instid1(VALU_DEP_1)
	v_mad_nc_u64_u32 v[20:21], 0xf534ddc0, v12, v[20:21]
	v_mov_b32_e32 v22, v21
	s_delay_alu instid0(VALU_DEP_1) | instskip(NEXT) | instid1(VALU_DEP_1)
	v_mad_nc_u64_u32 v[22:23], 0xfc2757d1, v12, v[22:23]
	v_mov_b32_e32 v24, v23
	s_delay_alu instid0(VALU_DEP_1) | instskip(NEXT) | instid1(VALU_DEP_1)
	v_mad_nc_u64_u32 v[10:11], 0x4e441529, v12, v[24:25]
	v_dual_mov_b32 v24, v11 :: v_dual_add_nc_u32 v15, v17, v15
	s_delay_alu instid0(VALU_DEP_1) | instskip(NEXT) | instid1(VALU_DEP_3)
	v_cmp_lt_u32_e64 s0, 31, v15
	v_cndmask_b32_e32 v17, v10, v20, vcc_lo
	s_delay_alu instid0(VALU_DEP_3) | instskip(NEXT) | instid1(VALU_DEP_3)
	v_mad_nc_u64_u32 v[12:13], 0xa2f9836e, v12, v[24:25]
	v_cndmask_b32_e64 v11, 0, 0xffffffe0, s0
	s_delay_alu instid0(VALU_DEP_1) | instskip(NEXT) | instid1(VALU_DEP_1)
	v_add_nc_u32_e32 v11, v11, v15
	v_cmp_lt_u32_e64 s1, 31, v11
	s_delay_alu instid0(VALU_DEP_4) | instskip(NEXT) | instid1(VALU_DEP_2)
	v_cndmask_b32_e32 v10, v13, v10, vcc_lo
	v_cndmask_b32_e64 v15, 0, 0xffffffe0, s1
	s_delay_alu instid0(VALU_DEP_1) | instskip(SKIP_1) | instid1(VALU_DEP_2)
	v_dual_cndmask_b32 v12, v12, v22 :: v_dual_add_nc_u32 v11, v15, v11
	v_dual_cndmask_b32 v13, v22, v18, vcc_lo :: v_dual_cndmask_b32 v15, v20, v16, vcc_lo
	v_dual_cndmask_b32 v16, v12, v17, s0 :: v_dual_cndmask_b32 v10, v10, v12, s0
	s_delay_alu instid0(VALU_DEP_3) | instskip(NEXT) | instid1(VALU_DEP_3)
	v_cmp_eq_u32_e32 vcc_lo, 0, v11
	v_dual_cndmask_b32 v12, v17, v13, s0 :: v_dual_sub_nc_u32 v17, 32, v11
	s_delay_alu instid0(VALU_DEP_3) | instskip(NEXT) | instid1(VALU_DEP_2)
	v_dual_cndmask_b32 v13, v13, v15, s0 :: v_dual_cndmask_b32 v10, v10, v16, s1
	v_dual_cndmask_b32 v11, v15, v14, s0 :: v_dual_cndmask_b32 v16, v16, v12, s1
	s_delay_alu instid0(VALU_DEP_2) | instskip(NEXT) | instid1(VALU_DEP_2)
	v_cndmask_b32_e64 v12, v12, v13, s1
	v_alignbit_b32 v19, v10, v16, v17
	s_delay_alu instid0(VALU_DEP_2) | instskip(NEXT) | instid1(VALU_DEP_1)
	v_alignbit_b32 v18, v16, v12, v17
	v_dual_cndmask_b32 v10, v19, v10, vcc_lo :: v_dual_cndmask_b32 v14, v18, v16, vcc_lo
	s_delay_alu instid0(VALU_DEP_1) | instskip(NEXT) | instid1(VALU_DEP_1)
	v_bfe_u32 v15, v10, 29, 1
	v_sub_nc_u32_e32 v16, 0, v15
	v_cndmask_b32_e64 v11, v13, v11, s1
	s_delay_alu instid0(VALU_DEP_4) | instskip(NEXT) | instid1(VALU_DEP_1)
	v_alignbit_b32 v13, v10, v14, 30
	v_xor_b32_e32 v13, v13, v16
	s_delay_alu instid0(VALU_DEP_3) | instskip(NEXT) | instid1(VALU_DEP_1)
	v_alignbit_b32 v17, v12, v11, v17
	v_cndmask_b32_e32 v12, v17, v12, vcc_lo
	s_delay_alu instid0(VALU_DEP_3) | instskip(NEXT) | instid1(VALU_DEP_2)
	v_clz_i32_u32_e32 v17, v13
	v_alignbit_b32 v14, v14, v12, 30
	s_delay_alu instid0(VALU_DEP_2) | instskip(SKIP_1) | instid1(VALU_DEP_2)
	v_min_u32_e32 v17, 32, v17
	v_alignbit_b32 v11, v12, v11, 30
	v_dual_sub_nc_u32 v14, 31, v17 :: v_dual_bitop2_b32 v12, v14, v16 bitop3:0x14
	s_delay_alu instid0(VALU_DEP_2) | instskip(SKIP_1) | instid1(VALU_DEP_3)
	v_dual_lshrrev_b32 v16, 29, v10 :: v_dual_bitop2_b32 v11, v11, v16 bitop3:0x14
	v_dual_lshlrev_b32 v18, 23, v17 :: v_dual_lshrrev_b32 v10, 30, v10
	v_alignbit_b32 v13, v13, v12, v14
	s_delay_alu instid0(VALU_DEP_3) | instskip(NEXT) | instid1(VALU_DEP_4)
	v_alignbit_b32 v11, v12, v11, v14
	v_lshlrev_b32_e32 v12, 31, v16
	s_delay_alu instid0(VALU_DEP_2) | instskip(NEXT) | instid1(VALU_DEP_2)
	v_alignbit_b32 v14, v13, v11, 9
	v_dual_lshrrev_b32 v13, 9, v13 :: v_dual_bitop2_b32 v16, 0.5, v12 bitop3:0x54
	v_or_b32_e32 v12, 0x33000000, v12
	s_delay_alu instid0(VALU_DEP_3) | instskip(NEXT) | instid1(VALU_DEP_3)
	v_clz_i32_u32_e32 v19, v14
	v_sub_nc_u32_e32 v16, v16, v18
	s_delay_alu instid0(VALU_DEP_2) | instskip(NEXT) | instid1(VALU_DEP_1)
	v_min_u32_e32 v18, 32, v19
	v_add_lshl_u32 v17, v18, v17, 23
	s_delay_alu instid0(VALU_DEP_3) | instskip(SKIP_1) | instid1(VALU_DEP_3)
	v_or_b32_e32 v13, v13, v16
	v_not_b32_e32 v16, v18
	v_sub_nc_u32_e32 v12, v12, v17
	s_delay_alu instid0(VALU_DEP_3) | instskip(NEXT) | instid1(VALU_DEP_3)
	v_mul_f32_e32 v19, 0x3fc90fda, v13
	v_alignbit_b32 v11, v14, v11, v16
	s_delay_alu instid0(VALU_DEP_2) | instskip(NEXT) | instid1(VALU_DEP_2)
	v_fma_f32 v14, 0x3fc90fda, v13, -v19
	v_lshrrev_b32_e32 v11, 9, v11
	s_delay_alu instid0(VALU_DEP_2) | instskip(NEXT) | instid1(VALU_DEP_2)
	v_fmamk_f32 v13, v13, 0x33a22168, v14
	v_dual_add_nc_u32 v12, v15, v10 :: v_dual_bitop2_b32 v11, v12, v11 bitop3:0x54
	s_delay_alu instid0(VALU_DEP_1) | instskip(NEXT) | instid1(VALU_DEP_1)
	v_fmac_f32_e32 v13, 0x3fc90fda, v11
	v_add_f32_e32 v11, v19, v13
                                        ; implicit-def: $vgpr13
	s_and_not1_saveexec_b32 s0, s2
	s_cbranch_execnz .LBB16_17
	s_branch .LBB16_18
.LBB16_16:
	s_and_not1_saveexec_b32 s0, s2
.LBB16_17:
	v_rndne_f32_e32 v10, v13
	s_delay_alu instid0(VALU_DEP_1) | instskip(SKIP_1) | instid1(VALU_DEP_2)
	v_fma_f32 v11, 0xbfc90fda, v10, |v3|
	v_cvt_i32_f32_e32 v12, v10
	v_fmamk_f32 v11, v10, 0xb3a22168, v11
	s_delay_alu instid0(VALU_DEP_1)
	v_fmamk_f32 v11, v10, 0xa7c234c4, v11
.LBB16_18:
	s_or_b32 exec_lo, exec_lo, s0
	v_lshl_add_u64 v[0:1], v[0:1], 2, s[12:13]
	s_delay_alu instid0(VALU_DEP_2)
	v_dual_mul_f32 v10, v5, v5 :: v_dual_mul_f32 v13, v11, v11
	s_mov_b32 s0, 0xb94c1982
	s_mov_b32 s1, 0x37d75334
	global_load_b64 v[0:1], v[0:1], off
	v_xor_b32_e32 v2, v2, v3
	v_fmaak_f32 v16, s0, v13, 0x3c0881c4
	s_delay_alu instid0(VALU_DEP_1) | instskip(NEXT) | instid1(VALU_DEP_1)
	v_fmaak_f32 v16, v13, v16, 0xbe2aaa9d
	v_dual_fmaak_f32 v15, s1, v10, 0xbab64f3b :: v_dual_mul_f32 v16, v13, v16
	v_fmaak_f32 v14, s0, v10, 0x3c0881c4
	s_delay_alu instid0(VALU_DEP_2) | instskip(NEXT) | instid1(VALU_DEP_2)
	v_fmaak_f32 v15, v10, v15, 0x3d2aabf7
	v_dual_fmac_f32 v11, v11, v16 :: v_dual_fmaak_f32 v14, v10, v14, 0xbe2aaa9d
	v_fmaak_f32 v17, s1, v13, 0xbab64f3b
	s_delay_alu instid0(VALU_DEP_2) | instskip(NEXT) | instid1(VALU_DEP_1)
	v_dual_fmaak_f32 v15, v10, v15, 0xbf000004 :: v_dual_mul_f32 v14, v10, v14
	v_fma_f32 v10, v10, v15, 1.0
	v_dual_lshlrev_b32 v12, 30, v12 :: v_dual_bitop2_b32 v15, 1, v12 bitop3:0x40
	s_delay_alu instid0(VALU_DEP_3) | instskip(SKIP_1) | instid1(VALU_DEP_2)
	v_dual_fmac_f32 v5, v5, v14 :: v_dual_bitop2_b32 v14, 1, v9 bitop3:0x40
	v_lshlrev_b32_e32 v9, 30, v9
	v_cmp_eq_u32_e32 vcc_lo, 0, v14
	s_delay_alu instid0(VALU_DEP_3) | instskip(SKIP_2) | instid1(VALU_DEP_3)
	v_cndmask_b32_e64 v5, -v5, v10, vcc_lo
	v_cmp_eq_u32_e32 vcc_lo, 0, v15
	v_fmaak_f32 v17, v13, v17, 0x3d2aabf7
	v_bitop3_b32 v5, v9, v5, 0x80000000 bitop3:0x6c
	s_delay_alu instid0(VALU_DEP_2) | instskip(NEXT) | instid1(VALU_DEP_1)
	v_fmaak_f32 v17, v13, v17, 0xbf000004
	v_fma_f32 v13, v13, v17, 1.0
	s_delay_alu instid0(VALU_DEP_1) | instskip(SKIP_2) | instid1(VALU_DEP_2)
	v_cndmask_b32_e32 v10, v13, v11, vcc_lo
	v_and_b32_e32 v11, 0x80000000, v12
	v_cmp_class_f32_e64 vcc_lo, v3, 0x1f8
	v_xor3_b32 v2, v2, v11, v10
	v_cndmask_b32_e32 v3, 0x7fc00000, v5, vcc_lo
	s_delay_alu instid0(VALU_DEP_2) | instskip(NEXT) | instid1(VALU_DEP_1)
	v_cndmask_b32_e32 v2, 0x7fc00000, v2, vcc_lo
	v_dual_mul_f32 v2, v4, v2 :: v_dual_mul_f32 v4, v4, v3
	s_wait_loadcnt 0x0
	s_delay_alu instid0(VALU_DEP_1) | instskip(NEXT) | instid1(VALU_DEP_2)
	v_pk_mul_f32 v[2:3], v[0:1], v[2:3] op_sel:[1,0] op_sel_hi:[0,0]
	v_pk_mul_f32 v[10:11], v[4:5], v[0:1] op_sel_hi:[0,1]
	s_delay_alu instid0(VALU_DEP_2) | instskip(NEXT) | instid1(VALU_DEP_2)
	v_pk_fma_f32 v[4:5], v[4:5], v[0:1], v[2:3] op_sel_hi:[0,1,1]
	v_sub_f32_e32 v4, v10, v2
.LBB16_19:
	s_or_b32 exec_lo, exec_lo, s5
	v_mul_lo_u32 v0, v8, s10
	s_wait_loadcnt 0x0
	v_cvt_f16_f32_e32 v1, v5
	v_cvt_f16_f32_e32 v2, v4
	s_delay_alu instid0(VALU_DEP_1) | instskip(NEXT) | instid1(VALU_DEP_4)
	v_and_b32_e32 v2, 0xffff, v2
	v_add3_u32 v0, v0, v6, v7
	s_delay_alu instid0(VALU_DEP_1) | instskip(NEXT) | instid1(VALU_DEP_1)
	v_dual_lshlrev_b32 v3, 16, v1 :: v_dual_ashrrev_i32 v1, 31, v0
	v_or_b32_e32 v2, v3, v2
	s_wait_kmcnt 0x0
	s_delay_alu instid0(VALU_DEP_2)
	v_lshl_add_u64 v[0:1], v[0:1], 1, s[14:15]
	global_store_b32 v[0:1], v2, off
.LBB16_20:
	s_endpgm
	.section	.rodata,"a",@progbits
	.p2align	6, 0x0
	.amdhsa_kernel _ZL9rope_normILb1ELb0Ef6__halfEvPKT1_PT2_iiiiiiiiiiPKifff14rope_corr_dimsfPKfPKli
		.amdhsa_group_segment_fixed_size 0
		.amdhsa_private_segment_fixed_size 0
		.amdhsa_kernarg_size 368
		.amdhsa_user_sgpr_count 2
		.amdhsa_user_sgpr_dispatch_ptr 0
		.amdhsa_user_sgpr_queue_ptr 0
		.amdhsa_user_sgpr_kernarg_segment_ptr 1
		.amdhsa_user_sgpr_dispatch_id 0
		.amdhsa_user_sgpr_kernarg_preload_length 0
		.amdhsa_user_sgpr_kernarg_preload_offset 0
		.amdhsa_user_sgpr_private_segment_size 0
		.amdhsa_wavefront_size32 1
		.amdhsa_uses_dynamic_stack 0
		.amdhsa_enable_private_segment 0
		.amdhsa_system_sgpr_workgroup_id_x 1
		.amdhsa_system_sgpr_workgroup_id_y 1
		.amdhsa_system_sgpr_workgroup_id_z 0
		.amdhsa_system_sgpr_workgroup_info 0
		.amdhsa_system_vgpr_workitem_id 1
		.amdhsa_next_free_vgpr 28
		.amdhsa_next_free_sgpr 20
		.amdhsa_named_barrier_count 0
		.amdhsa_reserve_vcc 1
		.amdhsa_float_round_mode_32 0
		.amdhsa_float_round_mode_16_64 0
		.amdhsa_float_denorm_mode_32 3
		.amdhsa_float_denorm_mode_16_64 3
		.amdhsa_fp16_overflow 0
		.amdhsa_memory_ordered 1
		.amdhsa_forward_progress 1
		.amdhsa_inst_pref_size 37
		.amdhsa_round_robin_scheduling 0
		.amdhsa_exception_fp_ieee_invalid_op 0
		.amdhsa_exception_fp_denorm_src 0
		.amdhsa_exception_fp_ieee_div_zero 0
		.amdhsa_exception_fp_ieee_overflow 0
		.amdhsa_exception_fp_ieee_underflow 0
		.amdhsa_exception_fp_ieee_inexact 0
		.amdhsa_exception_int_div_zero 0
	.end_amdhsa_kernel
	.section	.text._ZL9rope_normILb1ELb0Ef6__halfEvPKT1_PT2_iiiiiiiiiiPKifff14rope_corr_dimsfPKfPKli,"axG",@progbits,_ZL9rope_normILb1ELb0Ef6__halfEvPKT1_PT2_iiiiiiiiiiPKifff14rope_corr_dimsfPKfPKli,comdat
.Lfunc_end16:
	.size	_ZL9rope_normILb1ELb0Ef6__halfEvPKT1_PT2_iiiiiiiiiiPKifff14rope_corr_dimsfPKfPKli, .Lfunc_end16-_ZL9rope_normILb1ELb0Ef6__halfEvPKT1_PT2_iiiiiiiiiiPKifff14rope_corr_dimsfPKfPKli
                                        ; -- End function
	.set _ZL9rope_normILb1ELb0Ef6__halfEvPKT1_PT2_iiiiiiiiiiPKifff14rope_corr_dimsfPKfPKli.num_vgpr, 28
	.set _ZL9rope_normILb1ELb0Ef6__halfEvPKT1_PT2_iiiiiiiiiiPKifff14rope_corr_dimsfPKfPKli.num_agpr, 0
	.set _ZL9rope_normILb1ELb0Ef6__halfEvPKT1_PT2_iiiiiiiiiiPKifff14rope_corr_dimsfPKfPKli.numbered_sgpr, 20
	.set _ZL9rope_normILb1ELb0Ef6__halfEvPKT1_PT2_iiiiiiiiiiPKifff14rope_corr_dimsfPKfPKli.num_named_barrier, 0
	.set _ZL9rope_normILb1ELb0Ef6__halfEvPKT1_PT2_iiiiiiiiiiPKifff14rope_corr_dimsfPKfPKli.private_seg_size, 0
	.set _ZL9rope_normILb1ELb0Ef6__halfEvPKT1_PT2_iiiiiiiiiiPKifff14rope_corr_dimsfPKfPKli.uses_vcc, 1
	.set _ZL9rope_normILb1ELb0Ef6__halfEvPKT1_PT2_iiiiiiiiiiPKifff14rope_corr_dimsfPKfPKli.uses_flat_scratch, 0
	.set _ZL9rope_normILb1ELb0Ef6__halfEvPKT1_PT2_iiiiiiiiiiPKifff14rope_corr_dimsfPKfPKli.has_dyn_sized_stack, 0
	.set _ZL9rope_normILb1ELb0Ef6__halfEvPKT1_PT2_iiiiiiiiiiPKifff14rope_corr_dimsfPKfPKli.has_recursion, 0
	.set _ZL9rope_normILb1ELb0Ef6__halfEvPKT1_PT2_iiiiiiiiiiPKifff14rope_corr_dimsfPKfPKli.has_indirect_call, 0
	.section	.AMDGPU.csdata,"",@progbits
; Kernel info:
; codeLenInByte = 4640
; TotalNumSgprs: 22
; NumVgprs: 28
; ScratchSize: 0
; MemoryBound: 0
; FloatMode: 240
; IeeeMode: 1
; LDSByteSize: 0 bytes/workgroup (compile time only)
; SGPRBlocks: 0
; VGPRBlocks: 1
; NumSGPRsForWavesPerEU: 22
; NumVGPRsForWavesPerEU: 28
; NamedBarCnt: 0
; Occupancy: 16
; WaveLimiterHint : 0
; COMPUTE_PGM_RSRC2:SCRATCH_EN: 0
; COMPUTE_PGM_RSRC2:USER_SGPR: 2
; COMPUTE_PGM_RSRC2:TRAP_HANDLER: 0
; COMPUTE_PGM_RSRC2:TGID_X_EN: 1
; COMPUTE_PGM_RSRC2:TGID_Y_EN: 1
; COMPUTE_PGM_RSRC2:TGID_Z_EN: 0
; COMPUTE_PGM_RSRC2:TIDIG_COMP_CNT: 1
	.section	.text._ZL9rope_normILb1ELb1Ef6__halfEvPKT1_PT2_iiiiiiiiiiPKifff14rope_corr_dimsfPKfPKli,"axG",@progbits,_ZL9rope_normILb1ELb1Ef6__halfEvPKT1_PT2_iiiiiiiiiiPKifff14rope_corr_dimsfPKfPKli,comdat
	.globl	_ZL9rope_normILb1ELb1Ef6__halfEvPKT1_PT2_iiiiiiiiiiPKifff14rope_corr_dimsfPKfPKli ; -- Begin function _ZL9rope_normILb1ELb1Ef6__halfEvPKT1_PT2_iiiiiiiiiiPKifff14rope_corr_dimsfPKfPKli
	.p2align	8
	.type	_ZL9rope_normILb1ELb1Ef6__halfEvPKT1_PT2_iiiiiiiiiiPKifff14rope_corr_dimsfPKfPKli,@function
_ZL9rope_normILb1ELb1Ef6__halfEvPKT1_PT2_iiiiiiiiiiPKifff14rope_corr_dimsfPKfPKli: ; @_ZL9rope_normILb1ELb1Ef6__halfEvPKT1_PT2_iiiiiiiiiiPKifff14rope_corr_dimsfPKfPKli
; %bb.0:
	s_clause 0x1
	s_load_u16 s3, s[0:1], 0x7e
	s_load_b256 s[4:11], s[0:1], 0x10
	s_bfe_u32 s2, ttmp6, 0x40010
	s_bfe_u32 s13, ttmp6, 0x40004
	s_add_co_i32 s2, s2, 1
	v_bfe_u32 v1, v0, 10, 10
	s_mul_i32 s12, ttmp7, s2
	s_getreg_b32 s2, hwreg(HW_REG_IB_STS2, 6, 4)
	s_add_co_i32 s13, s13, s12
	s_cmp_eq_u32 s2, 0
	s_cselect_b32 s12, ttmp7, s13
	s_wait_kmcnt 0x0
	s_mul_i32 s12, s12, s3
	s_mov_b32 s3, exec_lo
	v_add_lshl_u32 v10, s12, v1, 1
	s_delay_alu instid0(VALU_DEP_1)
	v_cmpx_gt_i32_e64 s4, v10
	s_cbranch_execz .LBB17_20
; %bb.1:
	s_add_nc_u64 s[12:13], s[0:1], 0x70
	s_bfe_u32 s4, ttmp6, 0x4000c
	s_load_b32 s3, s[12:13], 0xc
	s_add_co_i32 s4, s4, 1
	s_wait_xcnt 0x0
	s_and_b32 s12, ttmp6, 15
	s_mul_i32 s4, ttmp9, s4
	v_and_b32_e32 v0, 0x3ff, v0
	s_add_co_i32 s12, s12, s4
	s_wait_kmcnt 0x0
	s_and_b32 s3, s3, 0xffff
	s_cmp_eq_u32 s2, 0
	s_mul_i32 s2, s6, s5
	s_cselect_b32 s4, ttmp9, s12
	s_abs_i32 s6, s2
	v_mad_u32 v2, s4, s3, v0
	s_cvt_f32_u32 s12, s6
	s_sub_co_i32 s4, 0, s6
	s_delay_alu instid0(SALU_CYCLE_2) | instskip(NEXT) | instid1(VALU_DEP_1)
	v_rcp_iflag_f32_e32 v1, s12
	v_sub_nc_u32_e32 v0, 0, v2
	s_delay_alu instid0(TRANS32_DEP_1) | instskip(NEXT) | instid1(VALU_DEP_2)
	v_readfirstlane_b32 s3, v1
	v_max_i32_e32 v0, v2, v0
	s_mul_f32 s3, s3, 0x4f7ffffe
	s_delay_alu instid0(SALU_CYCLE_3) | instskip(NEXT) | instid1(SALU_CYCLE_3)
	s_cvt_u32_f32 s3, s3
	s_mul_i32 s4, s4, s3
	s_delay_alu instid0(SALU_CYCLE_1) | instskip(NEXT) | instid1(SALU_CYCLE_1)
	s_mul_hi_u32 s4, s3, s4
	s_add_co_i32 s3, s3, s4
	s_load_b32 s4, s[0:1], 0x68
	v_mul_hi_u32 v1, v0, s3
	s_cvt_f32_u32 s3, s5
	s_delay_alu instid0(VALU_DEP_1) | instskip(NEXT) | instid1(VALU_DEP_1)
	v_mul_lo_u32 v3, v1, s6
	v_dual_sub_nc_u32 v0, v0, v3 :: v_dual_add_nc_u32 v3, 1, v1
	s_delay_alu instid0(VALU_DEP_1) | instskip(NEXT) | instid1(VALU_DEP_2)
	v_cmp_le_u32_e32 vcc_lo, s6, v0
	v_dual_cndmask_b32 v1, v1, v3, vcc_lo :: v_dual_bitop2_b32 v3, s2, v2 bitop3:0x14
	v_subrev_nc_u32_e32 v4, s6, v0
	s_delay_alu instid0(VALU_DEP_1) | instskip(NEXT) | instid1(VALU_DEP_1)
	v_dual_cndmask_b32 v0, v0, v4, vcc_lo :: v_dual_add_nc_u32 v4, 1, v1
	v_cmp_le_u32_e32 vcc_lo, s6, v0
	s_delay_alu instid0(VALU_DEP_2) | instskip(SKIP_1) | instid1(VALU_DEP_1)
	v_dual_cndmask_b32 v0, v1, v4 :: v_dual_ashrrev_i32 v3, 31, v3
	v_rcp_iflag_f32_e32 v1, s3
	v_xor_b32_e32 v0, v0, v3
	s_delay_alu instid0(TRANS32_DEP_1) | instskip(NEXT) | instid1(VALU_DEP_2)
	v_readfirstlane_b32 s3, v1
	v_sub_nc_u32_e32 v0, v0, v3
	s_delay_alu instid0(VALU_DEP_1) | instskip(SKIP_2) | instid1(SALU_CYCLE_2)
	v_mul_lo_u32 v1, s2, v0
	s_mul_f32 s2, s3, 0x4f7ffffe
	s_sub_co_i32 s3, 0, s5
	s_cvt_u32_f32 s2, s2
	s_delay_alu instid0(SALU_CYCLE_3) | instskip(NEXT) | instid1(VALU_DEP_1)
	s_mul_i32 s3, s3, s2
	v_sub_nc_u32_e32 v1, v2, v1
	s_mul_hi_u32 s3, s2, s3
	s_delay_alu instid0(SALU_CYCLE_1)
	s_add_co_i32 s2, s2, s3
	s_wait_kmcnt 0x0
	s_cmp_eq_u32 s4, 0
	v_mul_hi_u32 v2, v1, s2
	s_clause 0x1
	s_load_b64 s[2:3], s[0:1], 0x30
	s_load_b128 s[16:19], s[0:1], 0x58
	s_delay_alu instid0(VALU_DEP_1) | instskip(NEXT) | instid1(VALU_DEP_1)
	v_mul_lo_u32 v3, v2, s5
	v_sub_nc_u32_e32 v3, v1, v3
	s_delay_alu instid0(VALU_DEP_1) | instskip(SKIP_1) | instid1(VALU_DEP_2)
	v_subrev_nc_u32_e32 v5, s5, v3
	v_cmp_le_u32_e32 vcc_lo, s5, v3
	v_dual_cndmask_b32 v3, v3, v5 :: v_dual_add_nc_u32 v4, 1, v2
	s_delay_alu instid0(VALU_DEP_1) | instskip(NEXT) | instid1(VALU_DEP_2)
	v_cndmask_b32_e32 v2, v2, v4, vcc_lo
	v_cmp_le_u32_e32 vcc_lo, s5, v3
	s_delay_alu instid0(VALU_DEP_2) | instskip(NEXT) | instid1(VALU_DEP_1)
	v_add_nc_u32_e32 v4, 1, v2
	v_cndmask_b32_e32 v6, v2, v4, vcc_lo
	s_cbranch_scc1 .LBB17_3
; %bb.2:
	v_mov_b32_e32 v7, 0
	s_wait_kmcnt 0x0
	s_delay_alu instid0(VALU_DEP_1)
	v_lshl_add_u64 v[2:3], v[6:7], 3, s[18:19]
	global_load_b32 v2, v[2:3], off
	s_wait_loadcnt 0x0
	v_mul_lo_u32 v7, s4, v2
	s_branch .LBB17_4
.LBB17_3:
	s_wait_kmcnt 0x0
	v_mul_lo_u32 v2, v0, s2
	s_delay_alu instid0(VALU_DEP_1)
	v_mad_u32 v7, v6, s11, v2
.LBB17_4:
	v_mad_u32 v0, v0, s9, v10
	v_mul_lo_u32 v2, v6, s5
	s_load_b128 s[12:15], s[0:1], 0x0
	s_mov_b32 s2, exec_lo
	s_delay_alu instid0(VALU_DEP_2) | instskip(NEXT) | instid1(VALU_DEP_2)
	v_mad_u32 v0, v6, s8, v0
	v_sub_nc_u32_e32 v11, v1, v2
                                        ; implicit-def: $vgpr3
	s_delay_alu instid0(VALU_DEP_1) | instskip(NEXT) | instid1(VALU_DEP_1)
	v_mad_u32 v0, v11, s7, v0
	v_ashrrev_i32_e32 v1, 31, v0
	v_cmpx_le_i32_e64 s3, v10
	s_xor_b32 s2, exec_lo, s2
	s_cbranch_execz .LBB17_6
; %bb.5:
	s_wait_kmcnt 0x0
	v_lshl_add_u64 v[0:1], v[0:1], 2, s[12:13]
                                        ; implicit-def: $vgpr6
	global_load_b64 v[2:3], v[0:1], off
                                        ; implicit-def: $vgpr0
.LBB17_6:
	s_wait_xcnt 0x0
	s_and_not1_saveexec_b32 s11, s2
	s_cbranch_execz .LBB17_19
; %bb.7:
	s_clause 0x1
	s_load_b64 s[8:9], s[0:1], 0x50
	s_load_b64 s[2:3], s[0:1], 0x38
	s_wait_loadcnt 0x0
	v_cvt_f32_i32_e32 v2, v10
	s_mov_b32 s4, 0x3e76c4e1
	s_delay_alu instid0(VALU_DEP_1)
	v_mul_f32_e32 v2, 0.5, v2
	s_wait_kmcnt 0x0
	s_cmp_neq_f32 s9, 1.0
	global_load_b32 v6, v6, s[2:3] scale_offset
	s_cselect_b32 vcc_lo, -1, 0
	v_cndmask_b32_e32 v13, 1.0, v2, vcc_lo
	s_delay_alu instid0(VALU_DEP_1) | instskip(SKIP_1) | instid1(VALU_DEP_1)
	v_cmp_neq_f32_e32 vcc_lo, 0, v13
	v_cndmask_b32_e64 v12, 1.0, s9, vcc_lo
	v_frexp_mant_f32_e64 v2, |v12|
	v_cmp_lt_f32_e64 s6, |v12|, 1.0
	s_delay_alu instid0(VALU_DEP_2) | instskip(SKIP_1) | instid1(VALU_DEP_1)
	v_cmp_gt_f32_e32 vcc_lo, 0x3f2aaaab, v2
	v_cndmask_b32_e64 v3, 1.0, 2.0, vcc_lo
	v_mul_f32_e32 v2, v2, v3
	v_cmp_neq_f32_e64 s5, v13, |v13|
	s_delay_alu instid0(VALU_DEP_2) | instskip(SKIP_1) | instid1(VALU_DEP_1)
	v_dual_add_f32 v5, 1.0, v2 :: v_dual_add_f32 v3, -1.0, v2
	s_xor_b32 s5, s5, s6
	v_rcp_f32_e32 v14, v5
	v_add_f32_e32 v8, -1.0, v5
	s_delay_alu instid0(TRANS32_DEP_1) | instid1(VALU_DEP_1)
	v_dual_sub_f32 v2, v2, v8 :: v_dual_mul_f32 v15, v3, v14
	s_delay_alu instid0(VALU_DEP_1) | instskip(NEXT) | instid1(VALU_DEP_1)
	v_mul_f32_e32 v4, v5, v15
	v_fma_f32 v8, v15, v5, -v4
	s_delay_alu instid0(VALU_DEP_1) | instskip(NEXT) | instid1(VALU_DEP_1)
	v_fmac_f32_e32 v8, v15, v2
	v_add_f32_e32 v2, v4, v8
	s_delay_alu instid0(VALU_DEP_1) | instskip(NEXT) | instid1(VALU_DEP_1)
	v_dual_sub_f32 v5, v3, v2 :: v_dual_mov_b32 v9, v2
	v_pk_add_f32 v[2:3], v[2:3], v[4:5] neg_lo:[0,1] neg_hi:[0,1]
	s_delay_alu instid0(VALU_DEP_1) | instskip(NEXT) | instid1(VALU_DEP_1)
	v_pk_add_f32 v[2:3], v[2:3], v[8:9] neg_lo:[0,1] neg_hi:[0,1]
	v_add_f32_e32 v2, v2, v3
	s_delay_alu instid0(VALU_DEP_1) | instskip(NEXT) | instid1(VALU_DEP_1)
	v_add_f32_e32 v2, v5, v2
	v_mul_f32_e32 v3, v14, v2
	s_delay_alu instid0(VALU_DEP_1) | instskip(NEXT) | instid1(VALU_DEP_1)
	v_add_f32_e32 v2, v15, v3
	v_dual_sub_f32 v4, v2, v15 :: v_dual_mul_f32 v5, v2, v2
	s_delay_alu instid0(VALU_DEP_1) | instskip(NEXT) | instid1(VALU_DEP_1)
	v_dual_sub_f32 v15, v3, v4 :: v_dual_fma_f32 v3, v2, v2, -v5
	v_add_f32_e32 v4, v15, v15
	s_delay_alu instid0(VALU_DEP_1) | instskip(NEXT) | instid1(VALU_DEP_1)
	v_fmac_f32_e32 v3, v2, v4
	v_add_f32_e32 v4, v5, v3
	s_delay_alu instid0(VALU_DEP_1) | instskip(SKIP_1) | instid1(VALU_DEP_2)
	v_dual_fmaak_f32 v8, s4, v4, 0x3e91f4c4 :: v_dual_sub_f32 v5, v4, v5
	v_cmp_eq_f32_e64 s4, 0, v12
	v_fmaak_f32 v14, v4, v8, 0x3ecccdef
	v_cvt_f64_f32_e64 v[8:9], |v12|
	s_delay_alu instid0(VALU_DEP_2) | instskip(NEXT) | instid1(VALU_DEP_1)
	v_dual_mul_f32 v16, v4, v14 :: v_dual_sub_f32 v20, v3, v5
	v_fma_f32 v3, v4, v14, -v16
	s_delay_alu instid0(VALU_DEP_1) | instskip(NEXT) | instid1(VALU_DEP_1)
	v_fmac_f32_e32 v3, v20, v14
	v_dual_add_f32 v5, v16, v3 :: v_dual_ashrrev_i32 v14, 1, v10
	global_load_b32 v26, v14, s[16:17] scale_offset
	v_dual_sub_f32 v16, v5, v16 :: v_dual_add_f32 v17, 0x3f2aaaaa, v5
	s_delay_alu instid0(VALU_DEP_1) | instskip(SKIP_1) | instid1(VALU_DEP_2)
	v_dual_sub_f32 v3, v3, v16 :: v_dual_add_f32 v16, 0xbf2aaaaa, v17
	v_frexp_exp_i32_f64_e32 v21, v[8:9]
	v_add_f32_e32 v3, 0x31739010, v3
	s_delay_alu instid0(VALU_DEP_3) | instskip(NEXT) | instid1(VALU_DEP_1)
	v_sub_f32_e32 v5, v5, v16
	v_pk_mul_f32 v[8:9], v[2:3], v[4:5]
	s_delay_alu instid0(VALU_DEP_1) | instskip(NEXT) | instid1(VALU_DEP_1)
	v_fma_f32 v16, v4, v2, -v8
	v_fmac_f32_e32 v16, v4, v15
	s_delay_alu instid0(VALU_DEP_1) | instskip(SKIP_1) | instid1(VALU_DEP_1)
	v_fmac_f32_e32 v16, v20, v2
	v_pk_add_f32 v[18:19], v[2:3], v[4:5]
	v_mov_b32_e32 v9, v19
	v_subrev_co_ci_u32_e64 v3, null, 0, v21, vcc_lo
	s_delay_alu instid0(VALU_DEP_2) | instskip(NEXT) | instid1(VALU_DEP_2)
	v_pk_add_f32 v[4:5], v[8:9], v[16:17]
	v_cvt_f32_i32_e32 v3, v3
	s_delay_alu instid0(VALU_DEP_2) | instskip(NEXT) | instid1(VALU_DEP_3)
	v_mov_b32_e32 v18, v5
	v_dual_sub_f32 v9, v17, v5 :: v_dual_sub_f32 v17, v4, v8
	s_delay_alu instid0(VALU_DEP_2) | instskip(NEXT) | instid1(VALU_DEP_4)
	v_pk_mul_f32 v[20:21], v[4:5], v[18:19]
	v_mul_f32_e32 v18, 0x3f317218, v3
	s_delay_alu instid0(VALU_DEP_3) | instskip(NEXT) | instid1(VALU_DEP_3)
	v_sub_f32_e32 v16, v16, v17
	v_fma_f32 v8, v4, v5, -v20
	v_add_f32_e32 v9, v19, v9
	s_delay_alu instid0(VALU_DEP_1) | instskip(SKIP_1) | instid1(VALU_DEP_2)
	v_fmac_f32_e32 v8, v4, v9
	v_fma_f32 v4, 0x3f317218, v3, -v18
	v_fmac_f32_e32 v8, v16, v5
	s_delay_alu instid0(VALU_DEP_2) | instskip(SKIP_1) | instid1(VALU_DEP_1)
	v_fmamk_f32 v4, v3, 0xb102e308, v4
	v_ldexp_f32 v5, v2, 1
	v_dual_add_f32 v19, v20, v8 :: v_dual_mov_b32 v21, v5
	s_delay_alu instid0(VALU_DEP_1) | instskip(SKIP_2) | instid1(VALU_DEP_3)
	v_pk_add_f32 v[2:3], v[18:19], v[4:5]
	v_mov_b32_e32 v16, v19
	v_ldexp_f32 v5, v15, 1
	v_dual_mov_b32 v9, v19 :: v_dual_mov_b32 v17, v3
	s_delay_alu instid0(VALU_DEP_1) | instskip(NEXT) | instid1(VALU_DEP_1)
	v_pk_add_f32 v[16:17], v[16:17], v[20:21] neg_lo:[0,1] neg_hi:[0,1]
	v_pk_add_f32 v[8:9], v[8:9], v[16:17] neg_lo:[0,1] neg_hi:[0,1]
	s_delay_alu instid0(VALU_DEP_1) | instskip(NEXT) | instid1(VALU_DEP_1)
	v_add_f32_e32 v5, v5, v8
	v_dual_add_f32 v19, v5, v9 :: v_dual_mov_b32 v5, v2
	s_delay_alu instid0(VALU_DEP_1) | instskip(SKIP_1) | instid1(VALU_DEP_2)
	v_pk_add_f32 v[8:9], v[2:3], v[18:19]
	v_pk_add_f32 v[16:17], v[2:3], v[18:19] neg_lo:[0,1] neg_hi:[0,1]
	v_dual_mov_b32 v24, v3 :: v_dual_mov_b32 v17, v9
	s_delay_alu instid0(VALU_DEP_1) | instskip(NEXT) | instid1(VALU_DEP_1)
	v_pk_add_f32 v[20:21], v[4:5], v[16:17]
	v_dual_mov_b32 v20, v9 :: v_dual_mov_b32 v18, v21
	v_pk_add_f32 v[4:5], v[4:5], v[16:17] neg_lo:[0,1] neg_hi:[0,1]
	s_delay_alu instid0(VALU_DEP_2) | instskip(SKIP_1) | instid1(VALU_DEP_2)
	v_pk_add_f32 v[22:23], v[18:19], v[2:3] neg_lo:[0,1] neg_hi:[0,1]
	v_dual_mov_b32 v3, v2 :: v_dual_mov_b32 v2, v19
	v_dual_mov_b32 v15, v22 :: v_dual_mov_b32 v25, v22
	s_delay_alu instid0(VALU_DEP_1) | instskip(NEXT) | instid1(VALU_DEP_2)
	v_pk_add_f32 v[8:9], v[8:9], v[14:15] neg_lo:[0,1] neg_hi:[0,1]
	v_pk_add_f32 v[16:17], v[20:21], v[24:25] neg_lo:[0,1] neg_hi:[0,1]
	v_mov_b32_e32 v8, v4
	s_delay_alu instid0(VALU_DEP_2) | instskip(NEXT) | instid1(VALU_DEP_1)
	v_pk_add_f32 v[2:3], v[2:3], v[16:17] neg_lo:[0,1] neg_hi:[0,1]
	v_pk_add_f32 v[8:9], v[8:9], v[2:3]
	s_delay_alu instid0(VALU_DEP_1) | instskip(NEXT) | instid1(VALU_DEP_1)
	v_mov_b32_e32 v16, v9
	v_pk_add_f32 v[16:17], v[8:9], v[16:17]
	s_delay_alu instid0(VALU_DEP_1) | instskip(NEXT) | instid1(VALU_DEP_1)
	v_pk_add_f32 v[18:19], v[18:19], v[16:17]
	v_dual_mov_b32 v5, v21 :: v_dual_mov_b32 v9, v18
	s_delay_alu instid0(VALU_DEP_1) | instskip(NEXT) | instid1(VALU_DEP_1)
	v_pk_add_f32 v[20:21], v[8:9], v[4:5] neg_lo:[0,1] neg_hi:[0,1]
	v_sub_f32_e32 v5, v8, v20
	s_delay_alu instid0(VALU_DEP_1) | instskip(SKIP_1) | instid1(VALU_DEP_1)
	v_sub_f32_e32 v4, v4, v5
	v_mov_b32_e32 v3, v16
	v_pk_add_f32 v[2:3], v[2:3], v[20:21] neg_lo:[0,1] neg_hi:[0,1]
	s_delay_alu instid0(VALU_DEP_1) | instskip(NEXT) | instid1(VALU_DEP_1)
	v_add_f32_e32 v2, v2, v4
	v_add_f32_e32 v2, v2, v3
	s_delay_alu instid0(VALU_DEP_1) | instskip(NEXT) | instid1(VALU_DEP_1)
	v_add_f32_e32 v3, v18, v2
	v_dual_sub_f32 v4, v3, v18 :: v_dual_mul_f32 v5, v13, v3
	s_delay_alu instid0(VALU_DEP_1) | instskip(SKIP_1) | instid1(VALU_DEP_2)
	v_dual_sub_f32 v2, v2, v4 :: v_dual_fma_f32 v3, v13, v3, -v5
	v_cmp_class_f32_e64 vcc_lo, v5, 0x204
	v_fmac_f32_e32 v3, v13, v2
	s_delay_alu instid0(VALU_DEP_1) | instskip(NEXT) | instid1(VALU_DEP_1)
	v_add_f32_e32 v2, v5, v3
	v_cndmask_b32_e32 v4, v2, v5, vcc_lo
	s_delay_alu instid0(VALU_DEP_1) | instskip(SKIP_2) | instid1(VALU_DEP_2)
	v_cmp_eq_f32_e32 vcc_lo, 0x42b17218, v4
	v_cndmask_b32_e64 v8, 0, 0x37000000, vcc_lo
	v_cmp_neq_f32_e64 vcc_lo, 0x7f800000, |v4|
	v_dual_sub_f32 v9, v4, v8 :: v_dual_sub_f32 v2, v2, v5
	v_trunc_f32_e32 v4, v13
	s_delay_alu instid0(VALU_DEP_2) | instskip(NEXT) | instid1(VALU_DEP_1)
	v_dual_mul_f32 v15, 0x3fb8aa3b, v9 :: v_dual_sub_f32 v2, v3, v2
	v_fma_f32 v16, 0x3fb8aa3b, v9, -v15
	v_rndne_f32_e32 v17, v15
	s_delay_alu instid0(VALU_DEP_3) | instskip(SKIP_1) | instid1(VALU_DEP_3)
	v_cndmask_b32_e32 v2, 0, v2, vcc_lo
	v_cmp_ngt_f32_e32 vcc_lo, 0xc2ce8ed0, v9
	v_dual_fmamk_f32 v16, v9, 0x32a5705f, v16 :: v_dual_sub_f32 v15, v15, v17
	s_delay_alu instid0(VALU_DEP_1) | instskip(NEXT) | instid1(VALU_DEP_1)
	v_add_f32_e32 v15, v15, v16
	v_exp_f32_e32 v5, v15
	v_nop
	v_cvt_i32_f32_e32 v15, v17
	s_delay_alu instid0(TRANS32_DEP_1) | instid1(VALU_DEP_1)
	v_ldexp_f32 v3, v5, v15
	s_delay_alu instid0(VALU_DEP_1) | instskip(NEXT) | instid1(VALU_DEP_1)
	v_dual_mul_f32 v5, 0.5, v13 :: v_dual_cndmask_b32 v3, 0, v3, vcc_lo
	v_trunc_f32_e32 v15, v5
	v_cmp_nlt_f32_e32 vcc_lo, 0x42b17218, v9
	s_wait_xcnt 0x1
	s_delay_alu instid0(VALU_DEP_2) | instskip(SKIP_2) | instid1(VALU_DEP_2)
	v_cmp_neq_f32_e64 s2, v15, v5
	v_cndmask_b32_e32 v3, 0x7f800000, v3, vcc_lo
	v_cmp_eq_f32_e32 vcc_lo, v4, v13
	v_cmp_class_f32_e64 s3, v3, 0x204
	s_and_b32 s2, vcc_lo, s2
	s_delay_alu instid0(SALU_CYCLE_1) | instskip(SKIP_2) | instid1(VALU_DEP_3)
	v_dual_cndmask_b32 v4, 1.0, v12, s2 :: v_dual_add_f32 v2, v8, v2
	v_cndmask_b32_e64 v8, 0, v12, s2
	v_cmp_class_f32_e64 s2, v12, 0x204
	v_fma_f32 v2, v3, v2, v3
	s_delay_alu instid0(VALU_DEP_1) | instskip(SKIP_2) | instid1(VALU_DEP_3)
	v_cndmask_b32_e64 v2, v2, v3, s3
	v_cndmask_b32_e64 v3, 0x7f800000, 0, s5
	v_cmp_gt_f32_e64 s3, 0, v13
	v_bfi_b32 v2, 0x7fffffff, v2, v4
	s_xor_b32 s3, s3, s4
	s_delay_alu instid0(SALU_CYCLE_1) | instskip(NEXT) | instid1(VALU_DEP_2)
	v_cndmask_b32_e64 v4, 0x7f800000, 0, s3
	v_cndmask_b32_e32 v5, 0x7fc00000, v2, vcc_lo
	v_cmp_neq_f32_e64 vcc_lo, |v12|, 1.0
	s_delay_alu instid0(VALU_DEP_3) | instskip(SKIP_4) | instid1(VALU_DEP_2)
	v_bfi_b32 v4, 0x7fffffff, v4, v8
	v_cndmask_b32_e32 v3, 1.0, v3, vcc_lo
	v_cmp_gt_f32_e32 vcc_lo, 0, v12
	v_cndmask_b32_e32 v2, v2, v5, vcc_lo
	v_cmp_class_f32_e64 vcc_lo, v13, 0x204
	v_cndmask_b32_e32 v2, v2, v3, vcc_lo
	s_or_b32 vcc_lo, s4, s2
	s_wait_loadcnt 0x1
	v_cvt_f32_i32_e32 v3, v6
	s_load_b128 s[4:7], s[0:1], 0x40
	v_cndmask_b32_e32 v2, v2, v4, vcc_lo
	v_cmp_o_f32_e32 vcc_lo, v12, v12
	s_delay_alu instid0(VALU_DEP_2) | instskip(NEXT) | instid1(VALU_DEP_1)
	v_cndmask_b32_e32 v2, 0x7fc00000, v2, vcc_lo
	v_mul_f32_e32 v2, v2, v3
	s_wait_loadcnt 0x0
	s_delay_alu instid0(VALU_DEP_1) | instskip(SKIP_3) | instid1(VALU_DEP_2)
	v_div_scale_f32 v3, null, v26, v26, v2
	v_div_scale_f32 v6, vcc_lo, v2, v26, v2
	s_wait_kmcnt 0x0
	s_cmp_eq_f32 s5, 0
	v_rcp_f32_e32 v4, v3
	v_nop
	s_delay_alu instid0(TRANS32_DEP_1) | instskip(NEXT) | instid1(VALU_DEP_1)
	v_fma_f32 v5, -v3, v4, 1.0
	v_fmac_f32_e32 v4, v5, v4
	s_delay_alu instid0(VALU_DEP_1) | instskip(NEXT) | instid1(VALU_DEP_1)
	v_mul_f32_e32 v5, v6, v4
	v_fma_f32 v8, -v3, v5, v6
	s_delay_alu instid0(VALU_DEP_1) | instskip(NEXT) | instid1(VALU_DEP_1)
	v_fmac_f32_e32 v5, v8, v4
	v_fma_f32 v3, -v3, v5, v6
	s_delay_alu instid0(VALU_DEP_1) | instskip(NEXT) | instid1(VALU_DEP_1)
	v_div_fmas_f32 v3, v3, v4, v5
	v_div_fixup_f32 v2, v3, v26, v2
	s_delay_alu instid0(VALU_DEP_1)
	v_mul_f32_e32 v3, s4, v2
	s_cbranch_scc1 .LBB17_9
; %bb.8:
	v_div_scale_f32 v6, null, s4, s4, 1.0
	v_cvt_f32_i32_e32 v4, v14
	s_sub_f32 s0, s8, s7
	s_delay_alu instid0(VALU_DEP_2)
	v_rcp_f32_e32 v9, v6
	v_nop
	v_xor_b32_e32 v6, 0x80000000, v6
	s_max_num_f32 s1, s0, 0x3a83126f
	s_delay_alu instid0(TRANS32_DEP_1) | instid1(VALU_DEP_1)
	v_fma_f32 v13, v6, v9, 1.0
	s_delay_alu instid0(VALU_DEP_1)
	v_dual_subrev_f32 v4, s7, v4 :: v_dual_fmac_f32 v9, v13, v9
	s_delay_alu instid0(VALU_DEP_1) | instid1(SALU_CYCLE_1)
	v_div_scale_f32 v5, null, s1, s1, v4
	v_div_scale_f32 v14, vcc_lo, v4, s1, v4
	s_delay_alu instid0(VALU_DEP_2) | instskip(SKIP_1) | instid1(TRANS32_DEP_1)
	v_rcp_f32_e32 v8, v5
	v_nop
	v_fma_f32 v12, -v5, v8, 1.0
	s_delay_alu instid0(VALU_DEP_1) | instskip(SKIP_1) | instid1(VALU_DEP_1)
	v_fmac_f32_e32 v8, v12, v8
	v_div_scale_f32 v12, s0, 1.0, s4, 1.0
	v_mul_f32_e32 v15, v12, v9
	s_delay_alu instid0(VALU_DEP_1) | instskip(NEXT) | instid1(VALU_DEP_1)
	v_fma_f32 v17, v6, v15, v12
	v_dual_mul_f32 v13, v14, v8 :: v_dual_fmac_f32 v15, v17, v9
	s_delay_alu instid0(VALU_DEP_1) | instskip(NEXT) | instid1(VALU_DEP_1)
	v_dual_fma_f32 v16, -v5, v13, v14 :: v_dual_fmac_f32 v12, v6, v15
	v_fmac_f32_e32 v13, v16, v8
	s_delay_alu instid0(VALU_DEP_1) | instskip(NEXT) | instid1(VALU_DEP_1)
	v_fma_f32 v5, -v5, v13, v14
	v_div_fmas_f32 v5, v5, v8, v13
	s_mov_b32 vcc_lo, s0
	v_div_fmas_f32 v6, v12, v9, v15
	s_delay_alu instid0(VALU_DEP_2) | instskip(NEXT) | instid1(VALU_DEP_2)
	v_div_fixup_f32 v4, v5, s1, v4 clamp
	v_div_fixup_f32 v6, v6, s4, 1.0
	s_delay_alu instid0(VALU_DEP_2) | instskip(NEXT) | instid1(VALU_DEP_2)
	v_sub_f32_e32 v9, 1.0, v4
	v_readfirstlane_b32 s0, v6
	s_cmp_lt_f32 s0, 0x800000
	s_cselect_b32 s0, 0x4f800000, 1.0
	s_delay_alu instid0(SALU_CYCLE_1) | instskip(SKIP_2) | instid1(VALU_DEP_2)
	v_mul_f32_e32 v6, s0, v6
	s_cselect_b32 s0, 0x41b17218, 0
	v_mul_f32_e32 v4, s5, v9
	v_log_f32_e32 v6, v6
	v_nop
	s_delay_alu instid0(TRANS32_DEP_1) | instskip(SKIP_1) | instid1(VALU_DEP_2)
	v_mul_f32_e32 v8, 0x3f317217, v6
	v_and_b32_e32 v5, 0x7fffffff, v6
	v_xor_b32_e32 v8, 0x80000000, v8
	s_delay_alu instid0(VALU_DEP_2) | instskip(SKIP_1) | instid1(VALU_DEP_1)
	v_cmp_gt_f32_e32 vcc_lo, 0x7f800000, v5
	v_fma_f32 v5, -s5, v9, 1.0
	v_pk_mul_f32 v[2:3], v[4:5], v[2:3]
	s_delay_alu instid0(VALU_DEP_1) | instskip(NEXT) | instid1(VALU_DEP_1)
	v_dual_fmac_f32 v8, 0x3f317217, v6 :: v_dual_add_f32 v3, v2, v3
	v_fmamk_f32 v8, v6, 0x3377d1cf, v8
	s_delay_alu instid0(VALU_DEP_1) | instskip(NEXT) | instid1(VALU_DEP_1)
	v_fmac_f32_e32 v8, 0x3f317217, v6
	v_dual_cndmask_b32 v6, v6, v8, vcc_lo :: v_dual_mov_b32 v8, 1.0
	s_delay_alu instid0(VALU_DEP_1) | instskip(NEXT) | instid1(VALU_DEP_1)
	v_subrev_f32_e32 v6, s0, v6
	v_fmamk_f32 v4, v6, 0x3dcccccd, v8
	s_delay_alu instid0(VALU_DEP_1)
	v_mul_f32_e32 v4, s6, v4
	s_branch .LBB17_10
.LBB17_9:
	v_mov_b32_e32 v4, s6
.LBB17_10:
	s_delay_alu instid0(VALU_DEP_2) | instskip(SKIP_1) | instid1(VALU_DEP_2)
	v_and_b32_e32 v2, 0x7fffffff, v3
	v_cmp_ngt_f32_e64 s2, 0x48000000, |v3|
                                        ; implicit-def: $vgpr6
                                        ; implicit-def: $vgpr5
	v_lshrrev_b32_e32 v8, 23, v2
	s_and_saveexec_b32 s0, s2
	s_delay_alu instid0(SALU_CYCLE_1)
	s_xor_b32 s3, exec_lo, s0
	s_cbranch_execz .LBB17_12
; %bb.11:
	s_mov_b32 s0, 0x7fffff
	v_mov_b32_e32 v13, 0
	v_and_or_b32 v12, v2, s0, 0x800000
	s_mov_b64 s[0:1], 0xfe5163ab
	v_add_nc_u32_e32 v5, 0xffffff88, v8
	s_delay_alu instid0(VALU_DEP_2) | instskip(NEXT) | instid1(VALU_DEP_2)
	v_mul_u64_e32 v[14:15], s[0:1], v[12:13]
	v_cmp_lt_u32_e32 vcc_lo, 63, v5
	v_cndmask_b32_e64 v6, 0, 0xffffffc0, vcc_lo
	s_delay_alu instid0(VALU_DEP_3) | instskip(SKIP_2) | instid1(VALU_DEP_3)
	v_dual_mov_b32 v16, v15 :: v_dual_mov_b32 v17, v13
	v_dual_mov_b32 v19, v13 :: v_dual_mov_b32 v21, v13
	;; [unrolled: 1-line block ×3, first 2 shown]
	v_mad_nc_u64_u32 v[16:17], 0x3c439041, v12, v[16:17]
	v_dual_add_nc_u32 v5, v6, v5 :: v_dual_mov_b32 v27, v13
	s_delay_alu instid0(VALU_DEP_1) | instskip(NEXT) | instid1(VALU_DEP_3)
	v_cmp_lt_u32_e64 s0, 31, v5
	v_mov_b32_e32 v18, v17
	s_delay_alu instid0(VALU_DEP_2) | instskip(NEXT) | instid1(VALU_DEP_2)
	v_cndmask_b32_e64 v6, 0, 0xffffffe0, s0
	v_mad_nc_u64_u32 v[18:19], 0xdb629599, v12, v[18:19]
	s_delay_alu instid0(VALU_DEP_2) | instskip(NEXT) | instid1(VALU_DEP_1)
	v_add_nc_u32_e32 v5, v6, v5
	v_cmp_lt_u32_e64 s1, 31, v5
	s_delay_alu instid0(VALU_DEP_3) | instskip(NEXT) | instid1(VALU_DEP_2)
	v_mov_b32_e32 v20, v19
	v_cndmask_b32_e64 v6, 0, 0xffffffe0, s1
	s_delay_alu instid0(VALU_DEP_2) | instskip(NEXT) | instid1(VALU_DEP_1)
	v_mad_nc_u64_u32 v[20:21], 0xf534ddc0, v12, v[20:21]
	v_dual_cndmask_b32 v6, v20, v16 :: v_dual_add_nc_u32 v5, v6, v5
	s_delay_alu instid0(VALU_DEP_2) | instskip(NEXT) | instid1(VALU_DEP_1)
	v_mov_b32_e32 v22, v21
	v_mad_nc_u64_u32 v[22:23], 0xfc2757d1, v12, v[22:23]
	s_delay_alu instid0(VALU_DEP_1) | instskip(NEXT) | instid1(VALU_DEP_1)
	v_dual_mov_b32 v24, v23 :: v_dual_cndmask_b32 v15, v22, v18
	v_mad_nc_u64_u32 v[24:25], 0x4e441529, v12, v[24:25]
	s_delay_alu instid0(VALU_DEP_1) | instskip(NEXT) | instid1(VALU_DEP_1)
	v_dual_mov_b32 v26, v25 :: v_dual_cndmask_b32 v9, v24, v20
	v_mad_nc_u64_u32 v[12:13], 0xa2f9836e, v12, v[26:27]
	s_delay_alu instid0(VALU_DEP_1) | instskip(NEXT) | instid1(VALU_DEP_1)
	v_dual_cndmask_b32 v12, v12, v22 :: v_dual_cndmask_b32 v13, v13, v24
	v_dual_cndmask_b32 v16, v12, v9, s0 :: v_dual_cndmask_b32 v12, v13, v12, s0
	v_dual_cndmask_b32 v9, v9, v15, s0 :: v_dual_sub_nc_u32 v13, 32, v5
	s_delay_alu instid0(VALU_DEP_2) | instskip(NEXT) | instid1(VALU_DEP_1)
	v_dual_cndmask_b32 v15, v15, v6, s0 :: v_dual_cndmask_b32 v12, v12, v16, s1
	v_dual_cndmask_b32 v16, v16, v9, s1 :: v_dual_cndmask_b32 v9, v9, v15, s1
	s_delay_alu instid0(VALU_DEP_1) | instskip(SKIP_2) | instid1(VALU_DEP_4)
	v_alignbit_b32 v17, v12, v16, v13
	v_cndmask_b32_e32 v14, v18, v14, vcc_lo
	v_cmp_eq_u32_e32 vcc_lo, 0, v5
	v_alignbit_b32 v18, v16, v9, v13
	s_delay_alu instid0(VALU_DEP_3) | instskip(NEXT) | instid1(VALU_DEP_2)
	v_dual_cndmask_b32 v5, v17, v12, vcc_lo :: v_dual_cndmask_b32 v6, v6, v14, s0
	v_cndmask_b32_e32 v12, v18, v16, vcc_lo
	s_delay_alu instid0(VALU_DEP_2) | instskip(NEXT) | instid1(VALU_DEP_1)
	v_bfe_u32 v14, v5, 29, 1
	v_sub_nc_u32_e32 v16, 0, v14
	s_delay_alu instid0(VALU_DEP_4) | instskip(NEXT) | instid1(VALU_DEP_4)
	v_cndmask_b32_e64 v6, v15, v6, s1
	v_alignbit_b32 v15, v5, v12, 30
	s_delay_alu instid0(VALU_DEP_2) | instskip(NEXT) | instid1(VALU_DEP_1)
	v_alignbit_b32 v13, v9, v6, v13
	v_dual_cndmask_b32 v9, v13, v9, vcc_lo :: v_dual_bitop2_b32 v15, v15, v16 bitop3:0x14
	s_delay_alu instid0(VALU_DEP_1) | instskip(NEXT) | instid1(VALU_DEP_2)
	v_clz_i32_u32_e32 v13, v15
	v_alignbit_b32 v12, v12, v9, 30
	s_delay_alu instid0(VALU_DEP_2) | instskip(SKIP_1) | instid1(VALU_DEP_2)
	v_min_u32_e32 v13, 32, v13
	v_alignbit_b32 v6, v9, v6, 30
	v_dual_sub_nc_u32 v12, 31, v13 :: v_dual_bitop2_b32 v9, v12, v16 bitop3:0x14
	s_delay_alu instid0(VALU_DEP_2) | instskip(SKIP_1) | instid1(VALU_DEP_3)
	v_dual_lshrrev_b32 v16, 29, v5 :: v_dual_bitop2_b32 v6, v6, v16 bitop3:0x14
	v_lshlrev_b32_e32 v17, 23, v13
	v_alignbit_b32 v15, v15, v9, v12
	s_delay_alu instid0(VALU_DEP_3) | instskip(NEXT) | instid1(VALU_DEP_4)
	v_alignbit_b32 v6, v9, v6, v12
	v_lshlrev_b32_e32 v9, 31, v16
	s_delay_alu instid0(VALU_DEP_2) | instskip(NEXT) | instid1(VALU_DEP_2)
	v_alignbit_b32 v12, v15, v6, 9
	v_dual_lshrrev_b32 v15, 9, v15 :: v_dual_bitop2_b32 v16, 0.5, v9 bitop3:0x54
	v_or_b32_e32 v9, 0x33000000, v9
	s_delay_alu instid0(VALU_DEP_3) | instskip(NEXT) | instid1(VALU_DEP_3)
	v_clz_i32_u32_e32 v18, v12
	v_sub_nc_u32_e32 v16, v16, v17
	s_delay_alu instid0(VALU_DEP_2) | instskip(NEXT) | instid1(VALU_DEP_1)
	v_min_u32_e32 v17, 32, v18
	v_add_lshl_u32 v13, v17, v13, 23
	s_delay_alu instid0(VALU_DEP_3) | instskip(SKIP_1) | instid1(VALU_DEP_2)
	v_or_b32_e32 v15, v15, v16
	v_not_b32_e32 v16, v17
	v_dual_mul_f32 v18, 0x3fc90fda, v15 :: v_dual_sub_nc_u32 v9, v9, v13
	s_delay_alu instid0(VALU_DEP_2) | instskip(NEXT) | instid1(VALU_DEP_2)
	v_alignbit_b32 v6, v12, v6, v16
	v_fma_f32 v12, 0x3fc90fda, v15, -v18
	s_delay_alu instid0(VALU_DEP_2) | instskip(NEXT) | instid1(VALU_DEP_2)
	v_lshrrev_b32_e32 v6, 9, v6
	v_fmamk_f32 v12, v15, 0x33a22168, v12
	s_delay_alu instid0(VALU_DEP_2) | instskip(NEXT) | instid1(VALU_DEP_1)
	v_or_b32_e32 v6, v9, v6
	v_fmac_f32_e32 v12, 0x3fc90fda, v6
	s_delay_alu instid0(VALU_DEP_1) | instskip(NEXT) | instid1(VALU_DEP_1)
	v_dual_add_f32 v5, v18, v12 :: v_dual_lshrrev_b32 v6, 30, v5
	v_add_nc_u32_e32 v6, v14, v6
	s_or_saveexec_b32 s0, s3
	v_mul_f32_e64 v13, 0x3f22f983, |v3|
	s_xor_b32 exec_lo, exec_lo, s0
	s_branch .LBB17_13
.LBB17_12:
	s_or_saveexec_b32 s0, s3
	v_mul_f32_e64 v13, 0x3f22f983, |v3|
	s_xor_b32 exec_lo, exec_lo, s0
.LBB17_13:
	s_delay_alu instid0(VALU_DEP_1) | instskip(NEXT) | instid1(VALU_DEP_1)
	v_rndne_f32_e32 v6, v13
	v_fma_f32 v5, 0xbfc90fda, v6, |v3|
	s_delay_alu instid0(VALU_DEP_1) | instskip(NEXT) | instid1(VALU_DEP_1)
	v_fmamk_f32 v5, v6, 0xb3a22168, v5
	v_fmamk_f32 v5, v6, 0xa7c234c4, v5
	v_cvt_i32_f32_e32 v6, v6
; %bb.14:
	s_or_b32 exec_lo, exec_lo, s0
                                        ; implicit-def: $vgpr12
                                        ; implicit-def: $vgpr9
	s_and_saveexec_b32 s0, s2
	s_delay_alu instid0(SALU_CYCLE_1)
	s_xor_b32 s2, exec_lo, s0
	s_cbranch_execz .LBB17_16
; %bb.15:
	s_mov_b32 s0, 0x7fffff
	v_mov_b32_e32 v13, 0
	v_and_or_b32 v12, v2, s0, 0x800000
	s_mov_b64 s[0:1], 0xfe5163ab
	s_delay_alu instid0(VALU_DEP_1) | instid1(SALU_CYCLE_1)
	v_mul_u64_e32 v[14:15], s[0:1], v[12:13]
	s_delay_alu instid0(VALU_DEP_1) | instskip(SKIP_2) | instid1(VALU_DEP_3)
	v_dual_mov_b32 v16, v15 :: v_dual_mov_b32 v17, v13
	v_dual_mov_b32 v19, v13 :: v_dual_mov_b32 v21, v13
	;; [unrolled: 1-line block ×3, first 2 shown]
	v_mad_nc_u64_u32 v[16:17], 0x3c439041, v12, v[16:17]
	v_add_nc_u32_e32 v15, 0xffffff88, v8
	s_delay_alu instid0(VALU_DEP_1) | instskip(NEXT) | instid1(VALU_DEP_3)
	v_cmp_lt_u32_e32 vcc_lo, 63, v15
	v_mov_b32_e32 v18, v17
	v_cndmask_b32_e64 v17, 0, 0xffffffc0, vcc_lo
	s_delay_alu instid0(VALU_DEP_2) | instskip(NEXT) | instid1(VALU_DEP_1)
	v_mad_nc_u64_u32 v[18:19], 0xdb629599, v12, v[18:19]
	v_dual_mov_b32 v20, v19 :: v_dual_cndmask_b32 v14, v18, v14, vcc_lo
	s_delay_alu instid0(VALU_DEP_1) | instskip(NEXT) | instid1(VALU_DEP_1)
	v_mad_nc_u64_u32 v[20:21], 0xf534ddc0, v12, v[20:21]
	v_mov_b32_e32 v22, v21
	s_delay_alu instid0(VALU_DEP_1) | instskip(NEXT) | instid1(VALU_DEP_1)
	v_mad_nc_u64_u32 v[22:23], 0xfc2757d1, v12, v[22:23]
	v_mov_b32_e32 v24, v23
	s_delay_alu instid0(VALU_DEP_1) | instskip(NEXT) | instid1(VALU_DEP_1)
	v_mad_nc_u64_u32 v[8:9], 0x4e441529, v12, v[24:25]
	v_dual_add_nc_u32 v15, v17, v15 :: v_dual_cndmask_b32 v17, v8, v20, vcc_lo
	s_delay_alu instid0(VALU_DEP_1) | instskip(NEXT) | instid1(VALU_DEP_3)
	v_cmp_lt_u32_e64 s0, 31, v15
	v_mov_b32_e32 v24, v9
	s_delay_alu instid0(VALU_DEP_2) | instskip(NEXT) | instid1(VALU_DEP_1)
	v_cndmask_b32_e64 v9, 0, 0xffffffe0, s0
	v_add_nc_u32_e32 v9, v9, v15
	s_delay_alu instid0(VALU_DEP_3) | instskip(NEXT) | instid1(VALU_DEP_2)
	v_mad_nc_u64_u32 v[12:13], 0xa2f9836e, v12, v[24:25]
	v_cmp_lt_u32_e64 s1, 31, v9
	s_delay_alu instid0(VALU_DEP_1) | instskip(NEXT) | instid1(VALU_DEP_3)
	v_cndmask_b32_e64 v15, 0, 0xffffffe0, s1
	v_dual_cndmask_b32 v12, v12, v22, vcc_lo :: v_dual_cndmask_b32 v8, v13, v8, vcc_lo
	s_delay_alu instid0(VALU_DEP_2) | instskip(SKIP_1) | instid1(VALU_DEP_3)
	v_dual_cndmask_b32 v13, v22, v18, vcc_lo :: v_dual_add_nc_u32 v9, v15, v9
	v_cndmask_b32_e32 v15, v20, v16, vcc_lo
	v_cndmask_b32_e64 v16, v12, v17, s0
	s_delay_alu instid0(VALU_DEP_3) | instskip(NEXT) | instid1(VALU_DEP_3)
	v_dual_cndmask_b32 v8, v8, v12, s0 :: v_dual_cndmask_b32 v12, v17, v13, s0
	v_dual_sub_nc_u32 v17, 32, v9 :: v_dual_cndmask_b32 v13, v13, v15, s0
	v_cmp_eq_u32_e32 vcc_lo, 0, v9
	s_delay_alu instid0(VALU_DEP_3) | instskip(NEXT) | instid1(VALU_DEP_4)
	v_cndmask_b32_e64 v8, v8, v16, s1
	v_dual_cndmask_b32 v16, v16, v12, s1 :: v_dual_cndmask_b32 v9, v15, v14, s0
	s_delay_alu instid0(VALU_DEP_1) | instskip(SKIP_1) | instid1(VALU_DEP_2)
	v_alignbit_b32 v19, v8, v16, v17
	v_cndmask_b32_e64 v12, v12, v13, s1
	v_dual_cndmask_b32 v9, v13, v9, s1 :: v_dual_cndmask_b32 v8, v19, v8, vcc_lo
	s_delay_alu instid0(VALU_DEP_2) | instskip(NEXT) | instid1(VALU_DEP_2)
	v_alignbit_b32 v18, v16, v12, v17
	v_alignbit_b32 v17, v12, v9, v17
	s_delay_alu instid0(VALU_DEP_3) | instskip(NEXT) | instid1(VALU_DEP_3)
	v_bfe_u32 v15, v8, 29, 1
	v_cndmask_b32_e32 v14, v18, v16, vcc_lo
	s_delay_alu instid0(VALU_DEP_2) | instskip(NEXT) | instid1(VALU_DEP_2)
	v_dual_cndmask_b32 v12, v17, v12, vcc_lo :: v_dual_sub_nc_u32 v16, 0, v15
	v_alignbit_b32 v13, v8, v14, 30
	s_delay_alu instid0(VALU_DEP_2) | instskip(SKIP_1) | instid1(VALU_DEP_3)
	v_alignbit_b32 v14, v14, v12, 30
	v_alignbit_b32 v9, v12, v9, 30
	v_xor_b32_e32 v13, v13, v16
	s_delay_alu instid0(VALU_DEP_2) | instskip(NEXT) | instid1(VALU_DEP_2)
	v_xor_b32_e32 v9, v9, v16
	v_clz_i32_u32_e32 v17, v13
	s_delay_alu instid0(VALU_DEP_1) | instskip(NEXT) | instid1(VALU_DEP_1)
	v_min_u32_e32 v17, 32, v17
	v_dual_lshlrev_b32 v18, 23, v17 :: v_dual_bitop2_b32 v12, v14, v16 bitop3:0x14
	v_sub_nc_u32_e32 v14, 31, v17
	s_delay_alu instid0(VALU_DEP_1) | instskip(SKIP_3) | instid1(VALU_DEP_2)
	v_alignbit_b32 v13, v13, v12, v14
	v_lshrrev_b32_e32 v16, 29, v8
	v_alignbit_b32 v9, v12, v9, v14
	v_lshrrev_b32_e32 v8, 30, v8
	v_alignbit_b32 v14, v13, v9, 9
	s_delay_alu instid0(VALU_DEP_4) | instskip(NEXT) | instid1(VALU_DEP_2)
	v_dual_lshrrev_b32 v13, 9, v13 :: v_dual_lshlrev_b32 v12, 31, v16
	v_clz_i32_u32_e32 v19, v14
	s_delay_alu instid0(VALU_DEP_2) | instskip(SKIP_1) | instid1(VALU_DEP_2)
	v_or_b32_e32 v16, 0.5, v12
	v_or_b32_e32 v12, 0x33000000, v12
	v_sub_nc_u32_e32 v16, v16, v18
	s_delay_alu instid0(VALU_DEP_4) | instskip(NEXT) | instid1(VALU_DEP_2)
	v_min_u32_e32 v18, 32, v19
	v_or_b32_e32 v13, v13, v16
	s_delay_alu instid0(VALU_DEP_2) | instskip(SKIP_1) | instid1(VALU_DEP_2)
	v_not_b32_e32 v16, v18
	v_add_lshl_u32 v17, v18, v17, 23
	v_alignbit_b32 v9, v14, v9, v16
	s_delay_alu instid0(VALU_DEP_2) | instskip(NEXT) | instid1(VALU_DEP_2)
	v_sub_nc_u32_e32 v12, v12, v17
	v_lshrrev_b32_e32 v9, 9, v9
	v_mul_f32_e32 v19, 0x3fc90fda, v13
	s_delay_alu instid0(VALU_DEP_2) | instskip(NEXT) | instid1(VALU_DEP_2)
	v_dual_add_nc_u32 v12, v15, v8 :: v_dual_bitop2_b32 v9, v12, v9 bitop3:0x54
	v_fma_f32 v14, 0x3fc90fda, v13, -v19
	s_delay_alu instid0(VALU_DEP_1) | instskip(NEXT) | instid1(VALU_DEP_1)
	v_fmamk_f32 v13, v13, 0x33a22168, v14
	v_fmac_f32_e32 v13, 0x3fc90fda, v9
	s_delay_alu instid0(VALU_DEP_1)
	v_add_f32_e32 v9, v19, v13
                                        ; implicit-def: $vgpr13
	s_and_not1_saveexec_b32 s0, s2
	s_cbranch_execnz .LBB17_17
	s_branch .LBB17_18
.LBB17_16:
	s_and_not1_saveexec_b32 s0, s2
.LBB17_17:
	v_rndne_f32_e32 v8, v13
	s_delay_alu instid0(VALU_DEP_1) | instskip(SKIP_1) | instid1(VALU_DEP_2)
	v_fma_f32 v9, 0xbfc90fda, v8, |v3|
	v_cvt_i32_f32_e32 v12, v8
	v_fmamk_f32 v9, v8, 0xb3a22168, v9
	s_delay_alu instid0(VALU_DEP_1)
	v_fmamk_f32 v9, v8, 0xa7c234c4, v9
.LBB17_18:
	s_or_b32 exec_lo, exec_lo, s0
	v_lshl_add_u64 v[0:1], v[0:1], 2, s[12:13]
	v_mul_f32_e32 v8, v5, v5
	s_mov_b32 s0, 0xb94c1982
	v_mul_f32_e32 v13, v9, v9
	s_mov_b32 s1, 0x37d75334
	global_load_b64 v[0:1], v[0:1], off
	v_fmaak_f32 v14, s0, v8, 0x3c0881c4
	v_xor_b32_e32 v2, v2, v3
	v_fmaak_f32 v16, s0, v13, 0x3c0881c4
	s_delay_alu instid0(VALU_DEP_1) | instskip(NEXT) | instid1(VALU_DEP_1)
	v_fmaak_f32 v16, v13, v16, 0xbe2aaa9d
	v_mul_f32_e32 v16, v13, v16
	s_delay_alu instid0(VALU_DEP_1) | instskip(NEXT) | instid1(VALU_DEP_1)
	v_dual_fmaak_f32 v14, v8, v14, 0xbe2aaa9d :: v_dual_fmac_f32 v9, v9, v16
	v_dual_fmaak_f32 v17, s1, v13, 0xbab64f3b :: v_dual_mul_f32 v14, v8, v14
	s_delay_alu instid0(VALU_DEP_1) | instskip(NEXT) | instid1(VALU_DEP_2)
	v_fmaak_f32 v17, v13, v17, 0x3d2aabf7
	v_fmac_f32_e32 v5, v5, v14
	v_fmaak_f32 v15, s1, v8, 0xbab64f3b
	v_dual_lshlrev_b32 v6, 30, v6 :: v_dual_bitop2_b32 v14, 1, v6 bitop3:0x40
	s_delay_alu instid0(VALU_DEP_4) | instskip(NEXT) | instid1(VALU_DEP_3)
	v_fmaak_f32 v17, v13, v17, 0xbf000004
	v_fmaak_f32 v15, v8, v15, 0x3d2aabf7
	s_delay_alu instid0(VALU_DEP_3) | instskip(NEXT) | instid1(VALU_DEP_3)
	v_cmp_eq_u32_e32 vcc_lo, 0, v14
	v_fma_f32 v13, v13, v17, 1.0
	s_delay_alu instid0(VALU_DEP_3) | instskip(NEXT) | instid1(VALU_DEP_1)
	v_fmaak_f32 v15, v8, v15, 0xbf000004
	v_fma_f32 v8, v8, v15, 1.0
	v_dual_lshlrev_b32 v12, 30, v12 :: v_dual_bitop2_b32 v15, 1, v12 bitop3:0x40
	s_delay_alu instid0(VALU_DEP_2) | instskip(NEXT) | instid1(VALU_DEP_2)
	v_cndmask_b32_e64 v5, -v5, v8, vcc_lo
	v_cmp_eq_u32_e32 vcc_lo, 0, v15
	s_delay_alu instid0(VALU_DEP_2) | instskip(SKIP_3) | instid1(VALU_DEP_2)
	v_bitop3_b32 v5, v6, v5, 0x80000000 bitop3:0x6c
	v_cndmask_b32_e32 v8, v13, v9, vcc_lo
	v_and_b32_e32 v9, 0x80000000, v12
	v_cmp_class_f32_e64 vcc_lo, v3, 0x1f8
	v_xor3_b32 v2, v2, v9, v8
	v_cndmask_b32_e32 v3, 0x7fc00000, v5, vcc_lo
	s_delay_alu instid0(VALU_DEP_2) | instskip(NEXT) | instid1(VALU_DEP_1)
	v_cndmask_b32_e32 v2, 0x7fc00000, v2, vcc_lo
	v_dual_mul_f32 v2, v4, v2 :: v_dual_mul_f32 v4, v4, v3
	s_wait_loadcnt 0x0
	s_delay_alu instid0(VALU_DEP_1) | instskip(NEXT) | instid1(VALU_DEP_2)
	v_pk_mul_f32 v[8:9], v[0:1], v[2:3] op_sel:[1,0] op_sel_hi:[0,0]
	v_pk_mul_f32 v[12:13], v[4:5], v[0:1] op_sel_hi:[0,1]
	s_delay_alu instid0(VALU_DEP_2) | instskip(NEXT) | instid1(VALU_DEP_2)
	v_pk_fma_f32 v[2:3], v[4:5], v[0:1], v[8:9] op_sel_hi:[0,1,1]
	v_sub_f32_e32 v2, v12, v8
.LBB17_19:
	s_or_b32 exec_lo, exec_lo, s11
	v_mul_lo_u32 v0, v11, s10
	s_wait_loadcnt 0x0
	v_cvt_f16_f32_e32 v1, v3
	v_cvt_f16_f32_e32 v2, v2
	s_delay_alu instid0(VALU_DEP_1) | instskip(NEXT) | instid1(VALU_DEP_4)
	v_and_b32_e32 v2, 0xffff, v2
	v_add3_u32 v0, v0, v10, v7
	s_delay_alu instid0(VALU_DEP_1) | instskip(NEXT) | instid1(VALU_DEP_1)
	v_dual_lshlrev_b32 v3, 16, v1 :: v_dual_ashrrev_i32 v1, 31, v0
	v_or_b32_e32 v2, v3, v2
	s_wait_kmcnt 0x0
	s_delay_alu instid0(VALU_DEP_2)
	v_lshl_add_u64 v[0:1], v[0:1], 1, s[14:15]
	global_store_b32 v[0:1], v2, off
.LBB17_20:
	s_endpgm
	.section	.rodata,"a",@progbits
	.p2align	6, 0x0
	.amdhsa_kernel _ZL9rope_normILb1ELb1Ef6__halfEvPKT1_PT2_iiiiiiiiiiPKifff14rope_corr_dimsfPKfPKli
		.amdhsa_group_segment_fixed_size 0
		.amdhsa_private_segment_fixed_size 0
		.amdhsa_kernarg_size 368
		.amdhsa_user_sgpr_count 2
		.amdhsa_user_sgpr_dispatch_ptr 0
		.amdhsa_user_sgpr_queue_ptr 0
		.amdhsa_user_sgpr_kernarg_segment_ptr 1
		.amdhsa_user_sgpr_dispatch_id 0
		.amdhsa_user_sgpr_kernarg_preload_length 0
		.amdhsa_user_sgpr_kernarg_preload_offset 0
		.amdhsa_user_sgpr_private_segment_size 0
		.amdhsa_wavefront_size32 1
		.amdhsa_uses_dynamic_stack 0
		.amdhsa_enable_private_segment 0
		.amdhsa_system_sgpr_workgroup_id_x 1
		.amdhsa_system_sgpr_workgroup_id_y 1
		.amdhsa_system_sgpr_workgroup_id_z 0
		.amdhsa_system_sgpr_workgroup_info 0
		.amdhsa_system_vgpr_workitem_id 1
		.amdhsa_next_free_vgpr 28
		.amdhsa_next_free_sgpr 20
		.amdhsa_named_barrier_count 0
		.amdhsa_reserve_vcc 1
		.amdhsa_float_round_mode_32 0
		.amdhsa_float_round_mode_16_64 0
		.amdhsa_float_denorm_mode_32 3
		.amdhsa_float_denorm_mode_16_64 3
		.amdhsa_fp16_overflow 0
		.amdhsa_memory_ordered 1
		.amdhsa_forward_progress 1
		.amdhsa_inst_pref_size 38
		.amdhsa_round_robin_scheduling 0
		.amdhsa_exception_fp_ieee_invalid_op 0
		.amdhsa_exception_fp_denorm_src 0
		.amdhsa_exception_fp_ieee_div_zero 0
		.amdhsa_exception_fp_ieee_overflow 0
		.amdhsa_exception_fp_ieee_underflow 0
		.amdhsa_exception_fp_ieee_inexact 0
		.amdhsa_exception_int_div_zero 0
	.end_amdhsa_kernel
	.section	.text._ZL9rope_normILb1ELb1Ef6__halfEvPKT1_PT2_iiiiiiiiiiPKifff14rope_corr_dimsfPKfPKli,"axG",@progbits,_ZL9rope_normILb1ELb1Ef6__halfEvPKT1_PT2_iiiiiiiiiiPKifff14rope_corr_dimsfPKfPKli,comdat
.Lfunc_end17:
	.size	_ZL9rope_normILb1ELb1Ef6__halfEvPKT1_PT2_iiiiiiiiiiPKifff14rope_corr_dimsfPKfPKli, .Lfunc_end17-_ZL9rope_normILb1ELb1Ef6__halfEvPKT1_PT2_iiiiiiiiiiPKifff14rope_corr_dimsfPKfPKli
                                        ; -- End function
	.set _ZL9rope_normILb1ELb1Ef6__halfEvPKT1_PT2_iiiiiiiiiiPKifff14rope_corr_dimsfPKfPKli.num_vgpr, 28
	.set _ZL9rope_normILb1ELb1Ef6__halfEvPKT1_PT2_iiiiiiiiiiPKifff14rope_corr_dimsfPKfPKli.num_agpr, 0
	.set _ZL9rope_normILb1ELb1Ef6__halfEvPKT1_PT2_iiiiiiiiiiPKifff14rope_corr_dimsfPKfPKli.numbered_sgpr, 20
	.set _ZL9rope_normILb1ELb1Ef6__halfEvPKT1_PT2_iiiiiiiiiiPKifff14rope_corr_dimsfPKfPKli.num_named_barrier, 0
	.set _ZL9rope_normILb1ELb1Ef6__halfEvPKT1_PT2_iiiiiiiiiiPKifff14rope_corr_dimsfPKfPKli.private_seg_size, 0
	.set _ZL9rope_normILb1ELb1Ef6__halfEvPKT1_PT2_iiiiiiiiiiPKifff14rope_corr_dimsfPKfPKli.uses_vcc, 1
	.set _ZL9rope_normILb1ELb1Ef6__halfEvPKT1_PT2_iiiiiiiiiiPKifff14rope_corr_dimsfPKfPKli.uses_flat_scratch, 0
	.set _ZL9rope_normILb1ELb1Ef6__halfEvPKT1_PT2_iiiiiiiiiiPKifff14rope_corr_dimsfPKfPKli.has_dyn_sized_stack, 0
	.set _ZL9rope_normILb1ELb1Ef6__halfEvPKT1_PT2_iiiiiiiiiiPKifff14rope_corr_dimsfPKfPKli.has_recursion, 0
	.set _ZL9rope_normILb1ELb1Ef6__halfEvPKT1_PT2_iiiiiiiiiiPKifff14rope_corr_dimsfPKfPKli.has_indirect_call, 0
	.section	.AMDGPU.csdata,"",@progbits
; Kernel info:
; codeLenInByte = 4760
; TotalNumSgprs: 22
; NumVgprs: 28
; ScratchSize: 0
; MemoryBound: 0
; FloatMode: 240
; IeeeMode: 1
; LDSByteSize: 0 bytes/workgroup (compile time only)
; SGPRBlocks: 0
; VGPRBlocks: 1
; NumSGPRsForWavesPerEU: 22
; NumVGPRsForWavesPerEU: 28
; NamedBarCnt: 0
; Occupancy: 16
; WaveLimiterHint : 0
; COMPUTE_PGM_RSRC2:SCRATCH_EN: 0
; COMPUTE_PGM_RSRC2:USER_SGPR: 2
; COMPUTE_PGM_RSRC2:TRAP_HANDLER: 0
; COMPUTE_PGM_RSRC2:TGID_X_EN: 1
; COMPUTE_PGM_RSRC2:TGID_Y_EN: 1
; COMPUTE_PGM_RSRC2:TGID_Z_EN: 0
; COMPUTE_PGM_RSRC2:TIDIG_COMP_CNT: 1
	.section	.text._ZL9rope_normILb1ELb0E6__halfS0_EvPKT1_PT2_iiiiiiiiiiPKifff14rope_corr_dimsfPKfPKli,"axG",@progbits,_ZL9rope_normILb1ELb0E6__halfS0_EvPKT1_PT2_iiiiiiiiiiPKifff14rope_corr_dimsfPKfPKli,comdat
	.globl	_ZL9rope_normILb1ELb0E6__halfS0_EvPKT1_PT2_iiiiiiiiiiPKifff14rope_corr_dimsfPKfPKli ; -- Begin function _ZL9rope_normILb1ELb0E6__halfS0_EvPKT1_PT2_iiiiiiiiiiPKifff14rope_corr_dimsfPKfPKli
	.p2align	8
	.type	_ZL9rope_normILb1ELb0E6__halfS0_EvPKT1_PT2_iiiiiiiiiiPKifff14rope_corr_dimsfPKfPKli,@function
_ZL9rope_normILb1ELb0E6__halfS0_EvPKT1_PT2_iiiiiiiiiiPKifff14rope_corr_dimsfPKfPKli: ; @_ZL9rope_normILb1ELb0E6__halfS0_EvPKT1_PT2_iiiiiiiiiiPKifff14rope_corr_dimsfPKfPKli
; %bb.0:
	s_clause 0x1
	s_load_u16 s3, s[0:1], 0x7e
	s_load_b256 s[4:11], s[0:1], 0x10
	s_bfe_u32 s2, ttmp6, 0x40010
	s_bfe_u32 s13, ttmp6, 0x40004
	s_add_co_i32 s2, s2, 1
	v_bfe_u32 v1, v0, 10, 10
	s_mul_i32 s12, ttmp7, s2
	s_getreg_b32 s2, hwreg(HW_REG_IB_STS2, 6, 4)
	s_add_co_i32 s13, s13, s12
	s_cmp_eq_u32 s2, 0
	s_cselect_b32 s12, ttmp7, s13
	s_wait_kmcnt 0x0
	s_mul_i32 s12, s12, s3
	s_mov_b32 s3, exec_lo
	v_add_lshl_u32 v4, s12, v1, 1
	s_delay_alu instid0(VALU_DEP_1)
	v_cmpx_gt_i32_e64 s4, v4
	s_cbranch_execz .LBB18_20
; %bb.1:
	s_add_nc_u64 s[12:13], s[0:1], 0x70
	s_bfe_u32 s4, ttmp6, 0x4000c
	s_load_b32 s3, s[12:13], 0xc
	s_add_co_i32 s4, s4, 1
	s_wait_xcnt 0x0
	s_and_b32 s12, ttmp6, 15
	s_mul_i32 s4, ttmp9, s4
	v_and_b32_e32 v0, 0x3ff, v0
	s_add_co_i32 s12, s12, s4
	s_wait_kmcnt 0x0
	s_and_b32 s3, s3, 0xffff
	s_cmp_eq_u32 s2, 0
	s_mul_i32 s2, s6, s5
	s_cselect_b32 s4, ttmp9, s12
	s_abs_i32 s6, s2
	v_mad_u32 v2, s4, s3, v0
	s_cvt_f32_u32 s12, s6
	s_sub_co_i32 s4, 0, s6
	s_delay_alu instid0(SALU_CYCLE_2) | instskip(NEXT) | instid1(VALU_DEP_1)
	v_rcp_iflag_f32_e32 v1, s12
	v_sub_nc_u32_e32 v0, 0, v2
	s_delay_alu instid0(TRANS32_DEP_1) | instskip(NEXT) | instid1(VALU_DEP_2)
	v_readfirstlane_b32 s3, v1
	v_max_i32_e32 v0, v2, v0
	s_mul_f32 s3, s3, 0x4f7ffffe
	s_delay_alu instid0(SALU_CYCLE_3) | instskip(NEXT) | instid1(SALU_CYCLE_3)
	s_cvt_u32_f32 s3, s3
	s_mul_i32 s4, s4, s3
	s_delay_alu instid0(SALU_CYCLE_1) | instskip(NEXT) | instid1(SALU_CYCLE_1)
	s_mul_hi_u32 s4, s3, s4
	s_add_co_i32 s3, s3, s4
	s_load_b32 s4, s[0:1], 0x68
	v_mul_hi_u32 v1, v0, s3
	s_cvt_f32_u32 s3, s5
	s_delay_alu instid0(VALU_DEP_1) | instskip(NEXT) | instid1(VALU_DEP_1)
	v_mul_lo_u32 v3, v1, s6
	v_dual_sub_nc_u32 v0, v0, v3 :: v_dual_add_nc_u32 v3, 1, v1
	s_delay_alu instid0(VALU_DEP_1) | instskip(NEXT) | instid1(VALU_DEP_2)
	v_cmp_le_u32_e32 vcc_lo, s6, v0
	v_dual_cndmask_b32 v1, v1, v3, vcc_lo :: v_dual_bitop2_b32 v3, s2, v2 bitop3:0x14
	v_subrev_nc_u32_e32 v5, s6, v0
	s_delay_alu instid0(VALU_DEP_1) | instskip(NEXT) | instid1(VALU_DEP_3)
	v_dual_cndmask_b32 v0, v0, v5 :: v_dual_ashrrev_i32 v3, 31, v3
	v_add_nc_u32_e32 v5, 1, v1
	s_delay_alu instid0(VALU_DEP_2) | instskip(NEXT) | instid1(VALU_DEP_2)
	v_cmp_le_u32_e32 vcc_lo, s6, v0
	v_cndmask_b32_e32 v0, v1, v5, vcc_lo
	v_rcp_iflag_f32_e32 v1, s3
	s_delay_alu instid0(VALU_DEP_1) | instskip(NEXT) | instid1(TRANS32_DEP_1)
	v_xor_b32_e32 v0, v0, v3
	v_readfirstlane_b32 s3, v1
	s_delay_alu instid0(VALU_DEP_2) | instskip(NEXT) | instid1(VALU_DEP_1)
	v_sub_nc_u32_e32 v0, v0, v3
	v_mul_lo_u32 v1, s2, v0
	s_mul_f32 s2, s3, 0x4f7ffffe
	s_sub_co_i32 s3, 0, s5
	s_delay_alu instid0(SALU_CYCLE_2) | instskip(NEXT) | instid1(SALU_CYCLE_3)
	s_cvt_u32_f32 s2, s2
	s_mul_i32 s3, s3, s2
	s_delay_alu instid0(VALU_DEP_1) | instskip(SKIP_1) | instid1(SALU_CYCLE_1)
	v_sub_nc_u32_e32 v1, v2, v1
	s_mul_hi_u32 s3, s2, s3
	s_add_co_i32 s2, s2, s3
	s_delay_alu instid0(VALU_DEP_1) | instid1(SALU_CYCLE_1)
	v_mul_hi_u32 v2, v1, s2
	s_load_b64 s[2:3], s[0:1], 0x30
	s_wait_kmcnt 0x0
	s_cmp_eq_u32 s4, 0
	s_delay_alu instid0(VALU_DEP_1) | instskip(NEXT) | instid1(VALU_DEP_1)
	v_mul_lo_u32 v3, v2, s5
	v_dual_add_nc_u32 v5, 1, v2 :: v_dual_sub_nc_u32 v3, v1, v3
	s_delay_alu instid0(VALU_DEP_1) | instskip(SKIP_1) | instid1(VALU_DEP_2)
	v_subrev_nc_u32_e32 v6, s5, v3
	v_cmp_le_u32_e32 vcc_lo, s5, v3
	v_dual_cndmask_b32 v2, v2, v5 :: v_dual_cndmask_b32 v3, v3, v6
	s_delay_alu instid0(VALU_DEP_1) | instskip(NEXT) | instid1(VALU_DEP_2)
	v_add_nc_u32_e32 v5, 1, v2
	v_cmp_le_u32_e32 vcc_lo, s5, v3
	s_delay_alu instid0(VALU_DEP_2)
	v_cndmask_b32_e32 v2, v2, v5, vcc_lo
	s_cbranch_scc1 .LBB18_3
; %bb.2:
	s_load_b64 s[12:13], s[0:1], 0x60
	v_mov_b32_e32 v3, 0
	s_wait_kmcnt 0x0
	s_delay_alu instid0(VALU_DEP_1)
	v_lshl_add_u64 v[6:7], v[2:3], 3, s[12:13]
	global_load_b32 v3, v[6:7], off
	s_wait_loadcnt 0x0
	v_mul_lo_u32 v5, s4, v3
	s_branch .LBB18_4
.LBB18_3:
	v_mul_lo_u32 v3, v0, s2
	s_delay_alu instid0(VALU_DEP_1)
	v_mad_u32 v5, v2, s11, v3
.LBB18_4:
	v_mad_u32 v0, v0, s9, v4
	v_mul_lo_u32 v3, v2, s5
	s_load_b128 s[12:15], s[0:1], 0x0
	s_mov_b32 s2, exec_lo
	s_delay_alu instid0(VALU_DEP_2) | instskip(NEXT) | instid1(VALU_DEP_2)
	v_mad_u32 v0, v2, s8, v0
	v_sub_nc_u32_e32 v6, v1, v3
                                        ; implicit-def: $vgpr3
	s_delay_alu instid0(VALU_DEP_1) | instskip(NEXT) | instid1(VALU_DEP_1)
	v_mad_u32 v0, v6, s7, v0
	v_ashrrev_i32_e32 v1, 31, v0
	v_cmpx_le_i32_e64 s3, v4
	s_xor_b32 s2, exec_lo, s2
	s_cbranch_execz .LBB18_6
; %bb.5:
	s_wait_kmcnt 0x0
	v_lshl_add_u64 v[0:1], v[0:1], 1, s[12:13]
                                        ; implicit-def: $vgpr2
	global_load_b32 v3, v[0:1], off
                                        ; implicit-def: $vgpr0
.LBB18_6:
	s_wait_xcnt 0x0
	s_and_not1_saveexec_b32 s5, s2
	s_cbranch_execz .LBB18_19
; %bb.7:
	s_load_b64 s[6:7], s[0:1], 0x50
	s_wait_loadcnt 0x0
	v_cvt_f32_i32_e32 v3, v4
	s_mov_b32 s4, 0x3e76c4e1
	s_clause 0x1
	s_load_b64 s[2:3], s[0:1], 0x38
	s_load_b128 s[16:19], s[0:1], 0x40
	v_mul_f32_e32 v3, 0.5, v3
	s_wait_kmcnt 0x0
	s_cmp_neq_f32 s7, 1.0
	global_load_b32 v24, v2, s[2:3] scale_offset
	s_cselect_b32 vcc_lo, -1, 0
	v_cndmask_b32_e32 v7, 1.0, v3, vcc_lo
	s_delay_alu instid0(VALU_DEP_1) | instskip(SKIP_1) | instid1(VALU_DEP_1)
	v_cmp_neq_f32_e32 vcc_lo, 0, v7
	v_cndmask_b32_e64 v3, 1.0, s7, vcc_lo
	v_frexp_mant_f32_e64 v8, |v3|
	v_cmp_lt_f32_e64 s8, |v3|, 1.0
	v_cmp_class_f32_e64 s0, v3, 0x204
	s_delay_alu instid0(VALU_DEP_3) | instskip(SKIP_1) | instid1(VALU_DEP_1)
	v_cmp_gt_f32_e32 vcc_lo, 0x3f2aaaab, v8
	v_cndmask_b32_e64 v9, 1.0, 2.0, vcc_lo
	v_mul_f32_e32 v8, v8, v9
	s_delay_alu instid0(VALU_DEP_1) | instskip(SKIP_1) | instid1(VALU_DEP_2)
	v_dual_add_f32 v11, 1.0, v8 :: v_dual_add_f32 v9, -1.0, v8
	v_cmp_neq_f32_e64 s7, v7, |v7|
	v_rcp_f32_e32 v14, v11
	v_add_f32_e32 v12, -1.0, v11
	s_xor_b32 s7, s7, s8
	s_delay_alu instid0(TRANS32_DEP_1) | instid1(VALU_DEP_1)
	v_dual_sub_f32 v8, v8, v12 :: v_dual_mul_f32 v15, v9, v14
	s_delay_alu instid0(VALU_DEP_1) | instskip(NEXT) | instid1(VALU_DEP_1)
	v_mul_f32_e32 v10, v11, v15
	v_fma_f32 v12, v15, v11, -v10
	s_delay_alu instid0(VALU_DEP_1) | instskip(NEXT) | instid1(VALU_DEP_1)
	v_fmac_f32_e32 v12, v15, v8
	v_add_f32_e32 v8, v10, v12
	s_delay_alu instid0(VALU_DEP_1) | instskip(NEXT) | instid1(VALU_DEP_1)
	v_dual_sub_f32 v11, v9, v8 :: v_dual_mov_b32 v13, v8
	v_pk_add_f32 v[8:9], v[8:9], v[10:11] neg_lo:[0,1] neg_hi:[0,1]
	s_delay_alu instid0(VALU_DEP_1) | instskip(NEXT) | instid1(VALU_DEP_1)
	v_pk_add_f32 v[8:9], v[8:9], v[12:13] neg_lo:[0,1] neg_hi:[0,1]
	v_add_f32_e32 v8, v8, v9
	s_delay_alu instid0(VALU_DEP_1) | instskip(NEXT) | instid1(VALU_DEP_1)
	v_add_f32_e32 v8, v11, v8
	v_mul_f32_e32 v9, v14, v8
	s_delay_alu instid0(VALU_DEP_1) | instskip(NEXT) | instid1(VALU_DEP_1)
	v_add_f32_e32 v8, v15, v9
	v_sub_f32_e32 v10, v8, v15
	s_delay_alu instid0(VALU_DEP_1) | instskip(NEXT) | instid1(VALU_DEP_1)
	v_sub_f32_e32 v20, v9, v10
	v_add_f32_e32 v10, v20, v20
	v_mul_f32_e32 v11, v8, v8
	s_delay_alu instid0(VALU_DEP_1) | instskip(NEXT) | instid1(VALU_DEP_1)
	v_fma_f32 v9, v8, v8, -v11
	v_fmac_f32_e32 v9, v8, v10
	s_delay_alu instid0(VALU_DEP_1) | instskip(NEXT) | instid1(VALU_DEP_1)
	v_add_f32_e32 v10, v11, v9
	v_dual_fmaak_f32 v12, s4, v10, 0x3e91f4c4 :: v_dual_sub_f32 v11, v10, v11
	v_cmp_eq_f32_e64 s4, 0, v3
	s_delay_alu instid0(VALU_DEP_2) | instskip(SKIP_1) | instid1(VALU_DEP_2)
	v_fmaak_f32 v14, v10, v12, 0x3ecccdef
	v_cvt_f64_f32_e64 v[12:13], |v3|
	v_dual_sub_f32 v18, v9, v11 :: v_dual_mul_f32 v15, v10, v14
	s_delay_alu instid0(VALU_DEP_1) | instskip(NEXT) | instid1(VALU_DEP_1)
	v_fma_f32 v9, v10, v14, -v15
	v_fmac_f32_e32 v9, v18, v14
	s_wait_xcnt 0x0
	s_delay_alu instid0(VALU_DEP_1) | instskip(NEXT) | instid1(VALU_DEP_1)
	v_add_f32_e32 v2, v15, v9
	v_sub_f32_e32 v11, v2, v15
	v_add_f32_e32 v15, 0x3f2aaaaa, v2
	s_delay_alu instid0(VALU_DEP_2) | instskip(NEXT) | instid1(VALU_DEP_2)
	v_sub_f32_e32 v9, v9, v11
	v_add_f32_e32 v11, 0xbf2aaaaa, v15
	v_frexp_exp_i32_f64_e32 v19, v[12:13]
	s_delay_alu instid0(VALU_DEP_3) | instskip(NEXT) | instid1(VALU_DEP_3)
	v_add_f32_e32 v9, 0x31739010, v9
	v_sub_f32_e32 v11, v2, v11
	s_delay_alu instid0(VALU_DEP_1) | instskip(NEXT) | instid1(VALU_DEP_1)
	v_pk_mul_f32 v[12:13], v[8:9], v[10:11]
	v_fma_f32 v14, v10, v8, -v12
	s_delay_alu instid0(VALU_DEP_1) | instskip(NEXT) | instid1(VALU_DEP_1)
	v_fmac_f32_e32 v14, v10, v20
	v_fmac_f32_e32 v14, v18, v8
	v_pk_add_f32 v[16:17], v[8:9], v[10:11]
	s_delay_alu instid0(VALU_DEP_1) | instskip(SKIP_1) | instid1(VALU_DEP_2)
	v_mov_b32_e32 v13, v17
	v_subrev_co_ci_u32_e64 v9, null, 0, v19, vcc_lo
	v_pk_add_f32 v[10:11], v[12:13], v[14:15]
	s_delay_alu instid0(VALU_DEP_1) | instskip(NEXT) | instid1(VALU_DEP_1)
	v_mov_b32_e32 v2, v11
	v_pk_mul_f32 v[18:19], v[10:11], v[2:3]
	v_sub_f32_e32 v13, v15, v11
	v_cvt_f32_i32_e32 v2, v9
	s_delay_alu instid0(VALU_DEP_3) | instskip(NEXT) | instid1(VALU_DEP_2)
	v_dual_sub_f32 v9, v10, v12 :: v_dual_fma_f32 v12, v10, v11, -v18
	v_dual_add_f32 v13, v17, v13 :: v_dual_mul_f32 v16, 0x3f317218, v2
	s_delay_alu instid0(VALU_DEP_2) | instskip(NEXT) | instid1(VALU_DEP_2)
	v_sub_f32_e32 v9, v14, v9
	v_fmac_f32_e32 v12, v10, v13
	s_delay_alu instid0(VALU_DEP_3) | instskip(NEXT) | instid1(VALU_DEP_2)
	v_fma_f32 v10, 0x3f317218, v2, -v16
	v_fmac_f32_e32 v12, v9, v11
	v_ldexp_f32 v11, v8, 1
	s_delay_alu instid0(VALU_DEP_2) | instskip(NEXT) | instid1(VALU_DEP_2)
	v_add_f32_e32 v17, v18, v12
	v_dual_fmamk_f32 v10, v2, 0xb102e308, v10 :: v_dual_mov_b32 v19, v11
	v_ldexp_f32 v2, v20, 1
	s_delay_alu instid0(VALU_DEP_3) | instskip(NEXT) | instid1(VALU_DEP_3)
	v_mov_b32_e32 v13, v17
	v_pk_add_f32 v[8:9], v[16:17], v[10:11]
	s_delay_alu instid0(VALU_DEP_1) | instskip(SKIP_1) | instid1(VALU_DEP_1)
	v_dual_mov_b32 v15, v9 :: v_dual_mov_b32 v11, v8
	v_dual_mov_b32 v14, v17 :: v_dual_mov_b32 v22, v9
	v_pk_add_f32 v[14:15], v[14:15], v[18:19] neg_lo:[0,1] neg_hi:[0,1]
	s_delay_alu instid0(VALU_DEP_1) | instskip(NEXT) | instid1(VALU_DEP_1)
	v_pk_add_f32 v[12:13], v[12:13], v[14:15] neg_lo:[0,1] neg_hi:[0,1]
	v_add_f32_e32 v2, v2, v12
	s_delay_alu instid0(VALU_DEP_1) | instskip(NEXT) | instid1(VALU_DEP_1)
	v_add_f32_e32 v17, v2, v13
	v_pk_add_f32 v[12:13], v[8:9], v[16:17]
	v_pk_add_f32 v[14:15], v[8:9], v[16:17] neg_lo:[0,1] neg_hi:[0,1]
	s_delay_alu instid0(VALU_DEP_2) | instskip(NEXT) | instid1(VALU_DEP_1)
	v_mov_b32_e32 v15, v13
	v_pk_add_f32 v[18:19], v[10:11], v[14:15]
	v_pk_add_f32 v[10:11], v[10:11], v[14:15] neg_lo:[0,1] neg_hi:[0,1]
	s_delay_alu instid0(VALU_DEP_2) | instskip(NEXT) | instid1(VALU_DEP_1)
	v_dual_mov_b32 v2, v19 :: v_dual_mov_b32 v11, v19
	v_pk_add_f32 v[20:21], v[2:3], v[8:9] neg_lo:[0,1] neg_hi:[0,1]
	v_dual_mov_b32 v18, v13 :: v_dual_mov_b32 v9, v8
	s_delay_alu instid0(VALU_DEP_2) | instskip(SKIP_1) | instid1(VALU_DEP_2)
	v_dual_mov_b32 v8, v17 :: v_dual_mov_b32 v23, v20
	v_mov_b32_e32 v17, v20
	v_pk_add_f32 v[14:15], v[18:19], v[22:23] neg_lo:[0,1] neg_hi:[0,1]
	s_delay_alu instid0(VALU_DEP_2) | instskip(SKIP_1) | instid1(VALU_DEP_3)
	v_pk_add_f32 v[12:13], v[12:13], v[16:17] neg_lo:[0,1] neg_hi:[0,1]
	v_mov_b32_e32 v12, v10
	v_pk_add_f32 v[8:9], v[8:9], v[14:15] neg_lo:[0,1] neg_hi:[0,1]
	s_delay_alu instid0(VALU_DEP_1) | instskip(NEXT) | instid1(VALU_DEP_1)
	v_pk_add_f32 v[12:13], v[12:13], v[8:9]
	v_mov_b32_e32 v14, v13
	s_delay_alu instid0(VALU_DEP_1) | instskip(NEXT) | instid1(VALU_DEP_1)
	v_pk_add_f32 v[14:15], v[12:13], v[14:15]
	v_pk_add_f32 v[16:17], v[2:3], v[14:15]
	s_delay_alu instid0(VALU_DEP_1) | instskip(NEXT) | instid1(VALU_DEP_1)
	v_dual_mov_b32 v9, v14 :: v_dual_mov_b32 v13, v16
	v_pk_add_f32 v[18:19], v[12:13], v[10:11] neg_lo:[0,1] neg_hi:[0,1]
	s_delay_alu instid0(VALU_DEP_1) | instskip(NEXT) | instid1(VALU_DEP_2)
	v_sub_f32_e32 v2, v12, v18
	v_pk_add_f32 v[8:9], v[8:9], v[18:19] neg_lo:[0,1] neg_hi:[0,1]
	s_delay_alu instid0(VALU_DEP_2) | instskip(NEXT) | instid1(VALU_DEP_1)
	v_sub_f32_e32 v2, v10, v2
	v_add_f32_e32 v2, v8, v2
	s_delay_alu instid0(VALU_DEP_1) | instskip(NEXT) | instid1(VALU_DEP_1)
	v_add_f32_e32 v2, v2, v9
	v_add_f32_e32 v8, v16, v2
	s_delay_alu instid0(VALU_DEP_1) | instskip(NEXT) | instid1(VALU_DEP_1)
	v_sub_f32_e32 v9, v8, v16
	v_dual_sub_f32 v2, v2, v9 :: v_dual_mul_f32 v10, v7, v8
	s_delay_alu instid0(VALU_DEP_1) | instskip(SKIP_1) | instid1(VALU_DEP_2)
	v_fma_f32 v8, v7, v8, -v10
	v_cmp_class_f32_e64 vcc_lo, v10, 0x204
	v_fmac_f32_e32 v8, v7, v2
	s_delay_alu instid0(VALU_DEP_1) | instskip(NEXT) | instid1(VALU_DEP_1)
	v_add_f32_e32 v2, v10, v8
	v_cndmask_b32_e32 v9, v2, v10, vcc_lo
	s_delay_alu instid0(VALU_DEP_1) | instskip(SKIP_1) | instid1(VALU_DEP_1)
	v_cmp_eq_f32_e32 vcc_lo, 0x42b17218, v9
	v_cndmask_b32_e64 v11, 0, 0x37000000, vcc_lo
	v_sub_f32_e32 v12, v9, v11
	s_delay_alu instid0(VALU_DEP_1) | instskip(NEXT) | instid1(VALU_DEP_1)
	v_mul_f32_e32 v13, 0x3fb8aa3b, v12
	v_fma_f32 v14, 0x3fb8aa3b, v12, -v13
	v_rndne_f32_e32 v15, v13
	s_delay_alu instid0(VALU_DEP_1) | instskip(SKIP_3) | instid1(VALU_DEP_4)
	v_dual_fmamk_f32 v14, v12, 0x32a5705f, v14 :: v_dual_sub_f32 v13, v13, v15
	v_sub_f32_e32 v2, v2, v10
	v_cmp_neq_f32_e64 vcc_lo, 0x7f800000, |v9|
	v_trunc_f32_e32 v9, v7
	v_add_f32_e32 v13, v13, v14
	s_delay_alu instid0(VALU_DEP_4) | instskip(NEXT) | instid1(VALU_DEP_2)
	v_sub_f32_e32 v2, v8, v2
	v_exp_f32_e32 v10, v13
	v_nop
	v_cvt_i32_f32_e32 v13, v15
	s_delay_alu instid0(VALU_DEP_3)
	v_cndmask_b32_e32 v2, 0, v2, vcc_lo
	v_cmp_ngt_f32_e32 vcc_lo, 0xc2ce8ed0, v12
	s_delay_alu instid0(TRANS32_DEP_1) | instid1(VALU_DEP_3)
	v_ldexp_f32 v8, v10, v13
	s_delay_alu instid0(VALU_DEP_1) | instskip(NEXT) | instid1(VALU_DEP_1)
	v_dual_mul_f32 v10, 0.5, v7 :: v_dual_cndmask_b32 v8, 0, v8, vcc_lo
	v_trunc_f32_e32 v13, v10
	v_cmp_nlt_f32_e32 vcc_lo, 0x42b17218, v12
	s_delay_alu instid0(VALU_DEP_2) | instskip(NEXT) | instid1(VALU_DEP_4)
	v_cmp_neq_f32_e64 s2, v13, v10
	v_cndmask_b32_e32 v8, 0x7f800000, v8, vcc_lo
	v_cmp_eq_f32_e32 vcc_lo, v9, v7
	s_delay_alu instid0(VALU_DEP_2) | instskip(SKIP_1) | instid1(SALU_CYCLE_1)
	v_cmp_class_f32_e64 s3, v8, 0x204
	s_and_b32 s2, vcc_lo, s2
	v_dual_add_f32 v2, v11, v2 :: v_dual_cndmask_b32 v11, 0, v3, s2
	s_delay_alu instid0(VALU_DEP_1) | instskip(NEXT) | instid1(VALU_DEP_1)
	v_dual_cndmask_b32 v9, 1.0, v3, s2 :: v_dual_fma_f32 v2, v8, v2, v8
	v_cndmask_b32_e64 v2, v2, v8, s3
	v_cndmask_b32_e64 v8, 0x7f800000, 0, s7
	v_cmp_gt_f32_e64 s3, 0, v7
	s_delay_alu instid0(VALU_DEP_3) | instskip(SKIP_1) | instid1(SALU_CYCLE_1)
	v_bfi_b32 v2, 0x7fffffff, v2, v9
	s_xor_b32 s3, s3, s4
	v_cndmask_b32_e64 v9, 0x7f800000, 0, s3
	s_delay_alu instid0(VALU_DEP_2) | instskip(SKIP_1) | instid1(VALU_DEP_3)
	v_cndmask_b32_e32 v10, 0x7fc00000, v2, vcc_lo
	v_cmp_neq_f32_e64 vcc_lo, |v3|, 1.0
	v_bfi_b32 v9, 0x7fffffff, v9, v11
	v_cndmask_b32_e32 v8, 1.0, v8, vcc_lo
	v_cmp_gt_f32_e32 vcc_lo, 0, v3
	v_cndmask_b32_e32 v2, v2, v10, vcc_lo
	v_cmp_class_f32_e64 vcc_lo, v7, 0x204
	s_wait_loadcnt 0x0
	v_cvt_f32_i32_e32 v7, v24
	s_delay_alu instid0(VALU_DEP_3) | instskip(SKIP_2) | instid1(VALU_DEP_1)
	v_cndmask_b32_e32 v2, v2, v8, vcc_lo
	s_or_b32 vcc_lo, s4, s0
	s_cmp_eq_f32 s17, 0
	v_cndmask_b32_e32 v2, v2, v9, vcc_lo
	v_cmp_o_f32_e32 vcc_lo, v3, v3
	s_delay_alu instid0(VALU_DEP_2) | instskip(NEXT) | instid1(VALU_DEP_1)
	v_cndmask_b32_e32 v2, 0x7fc00000, v2, vcc_lo
	v_mul_f32_e32 v2, v2, v7
	s_delay_alu instid0(VALU_DEP_1)
	v_mul_f32_e32 v3, s16, v2
	s_cbranch_scc1 .LBB18_9
; %bb.8:
	v_ashrrev_i32_e32 v7, 1, v4
	s_sub_f32 s0, s6, s19
	v_div_scale_f32 v9, null, s16, s16, 1.0
	s_delay_alu instid0(SALU_CYCLE_2) | instskip(SKIP_4) | instid1(VALU_DEP_3)
	s_max_num_f32 s1, s0, 0x3a83126f
	v_cvt_f32_i32_e32 v7, v7
	v_rcp_f32_e32 v11, v9
	v_nop
	v_xor_b32_e32 v9, 0x80000000, v9
	v_subrev_f32_e32 v7, s19, v7
	s_delay_alu instid0(TRANS32_DEP_1) | instid1(VALU_DEP_2)
	v_fma_f32 v13, v9, v11, 1.0
	s_delay_alu instid0(VALU_DEP_2) | instskip(SKIP_1) | instid1(VALU_DEP_3)
	v_div_scale_f32 v8, null, s1, s1, v7
	v_div_scale_f32 v14, vcc_lo, v7, s1, v7
	v_fmac_f32_e32 v11, v13, v11
	s_delay_alu instid0(VALU_DEP_3) | instskip(SKIP_1) | instid1(TRANS32_DEP_1)
	v_rcp_f32_e32 v10, v8
	v_nop
	v_fma_f32 v12, -v8, v10, 1.0
	s_delay_alu instid0(VALU_DEP_1) | instskip(SKIP_1) | instid1(VALU_DEP_2)
	v_fmac_f32_e32 v10, v12, v10
	v_div_scale_f32 v12, s0, 1.0, s16, 1.0
	v_mul_f32_e32 v13, v14, v10
	s_delay_alu instid0(VALU_DEP_1) | instskip(NEXT) | instid1(VALU_DEP_3)
	v_fma_f32 v16, -v8, v13, v14
	v_mul_f32_e32 v15, v12, v11
	s_delay_alu instid0(VALU_DEP_1) | instskip(NEXT) | instid1(VALU_DEP_1)
	v_dual_fmac_f32 v13, v16, v10 :: v_dual_fma_f32 v17, v9, v15, v12
	v_dual_fma_f32 v8, -v8, v13, v14 :: v_dual_fmac_f32 v15, v17, v11
	s_delay_alu instid0(VALU_DEP_1) | instskip(NEXT) | instid1(VALU_DEP_2)
	v_div_fmas_f32 v8, v8, v10, v13
	v_fmac_f32_e32 v12, v9, v15
	s_mov_b32 vcc_lo, s0
	s_delay_alu instid0(VALU_DEP_2) | instskip(NEXT) | instid1(VALU_DEP_2)
	v_div_fixup_f32 v7, v8, s1, v7 clamp
	v_div_fmas_f32 v9, v12, v11, v15
	s_delay_alu instid0(VALU_DEP_2) | instskip(NEXT) | instid1(VALU_DEP_2)
	v_sub_f32_e32 v7, 1.0, v7
	v_div_fixup_f32 v9, v9, s16, 1.0
	s_delay_alu instid0(VALU_DEP_1) | instskip(SKIP_2) | instid1(SALU_CYCLE_1)
	v_readfirstlane_b32 s0, v9
	s_cmp_lt_f32 s0, 0x800000
	s_cselect_b32 s0, 0x4f800000, 1.0
	v_mul_f32_e32 v9, s0, v9
	s_cselect_b32 s0, 0x41b17218, 0
	s_delay_alu instid0(VALU_DEP_1) | instskip(SKIP_1) | instid1(TRANS32_DEP_1)
	v_log_f32_e32 v9, v9
	v_nop
	v_mul_f32_e32 v10, 0x3f317217, v9
	v_and_b32_e32 v8, 0x7fffffff, v9
	s_delay_alu instid0(VALU_DEP_2) | instskip(NEXT) | instid1(VALU_DEP_2)
	v_xor_b32_e32 v10, 0x80000000, v10
	v_cmp_gt_f32_e32 vcc_lo, 0x7f800000, v8
	s_delay_alu instid0(VALU_DEP_2) | instskip(NEXT) | instid1(VALU_DEP_1)
	v_fmac_f32_e32 v10, 0x3f317217, v9
	v_fmamk_f32 v10, v9, 0x3377d1cf, v10
	s_delay_alu instid0(VALU_DEP_1) | instskip(NEXT) | instid1(VALU_DEP_1)
	v_fmac_f32_e32 v10, 0x3f317217, v9
	v_dual_cndmask_b32 v10, v9, v10, vcc_lo :: v_dual_mul_f32 v8, s17, v7
	v_fma_f32 v9, -s17, v7, 1.0
	s_delay_alu instid0(VALU_DEP_2) | instskip(NEXT) | instid1(VALU_DEP_2)
	v_dual_mov_b32 v7, 1.0 :: v_dual_subrev_f32 v10, s0, v10
	v_pk_mul_f32 v[2:3], v[8:9], v[2:3]
	s_delay_alu instid0(VALU_DEP_2) | instskip(NEXT) | instid1(VALU_DEP_2)
	v_fmamk_f32 v7, v10, 0x3dcccccd, v7
	v_add_f32_e32 v3, v2, v3
	s_delay_alu instid0(VALU_DEP_2)
	v_mul_f32_e32 v7, s18, v7
	s_branch .LBB18_10
.LBB18_9:
	v_mov_b32_e32 v7, s18
.LBB18_10:
	s_delay_alu instid0(VALU_DEP_2) | instskip(SKIP_1) | instid1(VALU_DEP_2)
	v_and_b32_e32 v2, 0x7fffffff, v3
	v_cmp_ngt_f32_e64 s2, 0x48000000, |v3|
                                        ; implicit-def: $vgpr9
                                        ; implicit-def: $vgpr8
	v_lshrrev_b32_e32 v10, 23, v2
	s_and_saveexec_b32 s0, s2
	s_delay_alu instid0(SALU_CYCLE_1)
	s_xor_b32 s3, exec_lo, s0
	s_cbranch_execz .LBB18_12
; %bb.11:
	s_mov_b32 s0, 0x7fffff
	v_mov_b32_e32 v9, 0
	v_and_or_b32 v8, v2, s0, 0x800000
	s_mov_b64 s[0:1], 0xfe5163ab
	v_add_nc_u32_e32 v11, 0xffffff88, v10
	s_delay_alu instid0(VALU_DEP_2) | instskip(NEXT) | instid1(VALU_DEP_2)
	v_mul_u64_e32 v[12:13], s[0:1], v[8:9]
	v_cmp_lt_u32_e32 vcc_lo, 63, v11
	s_delay_alu instid0(VALU_DEP_2) | instskip(SKIP_2) | instid1(VALU_DEP_3)
	v_dual_mov_b32 v14, v13 :: v_dual_mov_b32 v15, v9
	v_dual_mov_b32 v17, v9 :: v_dual_mov_b32 v19, v9
	;; [unrolled: 1-line block ×3, first 2 shown]
	v_mad_nc_u64_u32 v[14:15], 0x3c439041, v8, v[14:15]
	v_cndmask_b32_e64 v13, 0, 0xffffffc0, vcc_lo
	s_delay_alu instid0(VALU_DEP_2) | instskip(NEXT) | instid1(VALU_DEP_1)
	v_mov_b32_e32 v16, v15
	v_mad_nc_u64_u32 v[16:17], 0xdb629599, v8, v[16:17]
	s_delay_alu instid0(VALU_DEP_1) | instskip(NEXT) | instid1(VALU_DEP_1)
	v_dual_mov_b32 v18, v17 :: v_dual_cndmask_b32 v12, v16, v12, vcc_lo
	v_mad_nc_u64_u32 v[18:19], 0xf534ddc0, v8, v[18:19]
	s_delay_alu instid0(VALU_DEP_1) | instskip(NEXT) | instid1(VALU_DEP_1)
	v_mov_b32_e32 v20, v19
	v_mad_nc_u64_u32 v[20:21], 0xfc2757d1, v8, v[20:21]
	s_delay_alu instid0(VALU_DEP_1) | instskip(NEXT) | instid1(VALU_DEP_1)
	v_dual_mov_b32 v22, v21 :: v_dual_cndmask_b32 v17, v20, v16
	v_mad_nc_u64_u32 v[22:23], 0x4e441529, v8, v[22:23]
	v_add_nc_u32_e32 v11, v13, v11
	s_delay_alu instid0(VALU_DEP_2) | instskip(NEXT) | instid1(VALU_DEP_3)
	v_dual_mov_b32 v25, v9 :: v_dual_cndmask_b32 v15, v22, v18, vcc_lo
	v_mov_b32_e32 v24, v23
	s_delay_alu instid0(VALU_DEP_3) | instskip(NEXT) | instid1(VALU_DEP_2)
	v_cmp_lt_u32_e64 s0, 31, v11
	v_mad_nc_u64_u32 v[8:9], 0xa2f9836e, v8, v[24:25]
	s_delay_alu instid0(VALU_DEP_2) | instskip(NEXT) | instid1(VALU_DEP_1)
	v_cndmask_b32_e64 v13, 0, 0xffffffe0, s0
	v_dual_cndmask_b32 v8, v8, v20 :: v_dual_add_nc_u32 v11, v13, v11
	s_delay_alu instid0(VALU_DEP_1) | instskip(NEXT) | instid1(VALU_DEP_4)
	v_cmp_lt_u32_e64 s1, 31, v11
	v_cndmask_b32_e32 v9, v9, v22, vcc_lo
	s_delay_alu instid0(VALU_DEP_2) | instskip(NEXT) | instid1(VALU_DEP_1)
	v_cndmask_b32_e64 v13, 0, 0xffffffe0, s1
	v_dual_add_nc_u32 v11, v13, v11 :: v_dual_cndmask_b32 v13, v18, v14, vcc_lo
	s_delay_alu instid0(VALU_DEP_3) | instskip(NEXT) | instid1(VALU_DEP_2)
	v_dual_cndmask_b32 v14, v8, v15, s0 :: v_dual_cndmask_b32 v8, v9, v8, s0
	v_dual_cndmask_b32 v9, v15, v17, s0 :: v_dual_sub_nc_u32 v15, 32, v11
	s_delay_alu instid0(VALU_DEP_3) | instskip(SKIP_1) | instid1(VALU_DEP_3)
	v_cndmask_b32_e64 v17, v17, v13, s0
	v_cmp_eq_u32_e32 vcc_lo, 0, v11
	v_dual_cndmask_b32 v8, v8, v14, s1 :: v_dual_cndmask_b32 v14, v14, v9, s1
	s_delay_alu instid0(VALU_DEP_1) | instskip(NEXT) | instid1(VALU_DEP_1)
	v_alignbit_b32 v18, v8, v14, v15
	v_dual_cndmask_b32 v9, v9, v17, s1 :: v_dual_cndmask_b32 v8, v18, v8, vcc_lo
	s_delay_alu instid0(VALU_DEP_1) | instskip(SKIP_1) | instid1(VALU_DEP_3)
	v_alignbit_b32 v16, v14, v9, v15
	v_cndmask_b32_e64 v11, v13, v12, s0
	v_bfe_u32 v13, v8, 29, 1
	s_delay_alu instid0(VALU_DEP_2) | instskip(NEXT) | instid1(VALU_DEP_2)
	v_dual_cndmask_b32 v12, v16, v14, vcc_lo :: v_dual_cndmask_b32 v11, v17, v11, s1
	v_sub_nc_u32_e32 v16, 0, v13
	s_delay_alu instid0(VALU_DEP_2) | instskip(NEXT) | instid1(VALU_DEP_3)
	v_alignbit_b32 v14, v8, v12, 30
	v_alignbit_b32 v15, v9, v11, v15
	s_delay_alu instid0(VALU_DEP_1) | instskip(NEXT) | instid1(VALU_DEP_1)
	v_dual_cndmask_b32 v9, v15, v9, vcc_lo :: v_dual_bitop2_b32 v14, v14, v16 bitop3:0x14
	v_clz_i32_u32_e32 v15, v14
	s_delay_alu instid0(VALU_DEP_2) | instskip(SKIP_1) | instid1(VALU_DEP_3)
	v_alignbit_b32 v12, v12, v9, 30
	v_alignbit_b32 v9, v9, v11, 30
	v_min_u32_e32 v15, 32, v15
	s_delay_alu instid0(VALU_DEP_3) | instskip(NEXT) | instid1(VALU_DEP_3)
	v_xor_b32_e32 v11, v12, v16
	v_xor_b32_e32 v9, v9, v16
	s_delay_alu instid0(VALU_DEP_3) | instskip(SKIP_1) | instid1(VALU_DEP_1)
	v_dual_lshrrev_b32 v16, 29, v8 :: v_dual_lshlrev_b32 v17, 23, v15
	v_sub_nc_u32_e32 v12, 31, v15
	v_alignbit_b32 v14, v14, v11, v12
	s_delay_alu instid0(VALU_DEP_4) | instskip(NEXT) | instid1(VALU_DEP_4)
	v_alignbit_b32 v9, v11, v9, v12
	v_lshlrev_b32_e32 v11, 31, v16
	s_delay_alu instid0(VALU_DEP_2) | instskip(NEXT) | instid1(VALU_DEP_2)
	v_alignbit_b32 v12, v14, v9, 9
	v_dual_lshrrev_b32 v14, 9, v14 :: v_dual_bitop2_b32 v16, 0.5, v11 bitop3:0x54
	v_or_b32_e32 v11, 0x33000000, v11
	s_delay_alu instid0(VALU_DEP_3) | instskip(NEXT) | instid1(VALU_DEP_3)
	v_clz_i32_u32_e32 v18, v12
	v_sub_nc_u32_e32 v16, v16, v17
	s_delay_alu instid0(VALU_DEP_2) | instskip(NEXT) | instid1(VALU_DEP_1)
	v_min_u32_e32 v17, 32, v18
	v_add_lshl_u32 v15, v17, v15, 23
	s_delay_alu instid0(VALU_DEP_1) | instskip(SKIP_1) | instid1(VALU_DEP_1)
	v_dual_sub_nc_u32 v11, v11, v15 :: v_dual_bitop2_b32 v14, v14, v16 bitop3:0x54
	v_not_b32_e32 v16, v17
	v_alignbit_b32 v9, v12, v9, v16
	s_delay_alu instid0(VALU_DEP_1) | instskip(NEXT) | instid1(VALU_DEP_1)
	v_dual_mul_f32 v18, 0x3fc90fda, v14 :: v_dual_lshrrev_b32 v9, 9, v9
	v_or_b32_e32 v9, v11, v9
	s_delay_alu instid0(VALU_DEP_2) | instskip(NEXT) | instid1(VALU_DEP_1)
	v_fma_f32 v12, 0x3fc90fda, v14, -v18
	v_fmamk_f32 v12, v14, 0x33a22168, v12
	s_delay_alu instid0(VALU_DEP_1) | instskip(NEXT) | instid1(VALU_DEP_1)
	v_dual_fmac_f32 v12, 0x3fc90fda, v9 :: v_dual_lshrrev_b32 v9, 30, v8
	v_dual_add_f32 v8, v18, v12 :: v_dual_add_nc_u32 v9, v13, v9
	s_or_saveexec_b32 s0, s3
	v_mul_f32_e64 v13, 0x3f22f983, |v3|
	s_xor_b32 exec_lo, exec_lo, s0
	s_branch .LBB18_13
.LBB18_12:
	s_or_saveexec_b32 s0, s3
	v_mul_f32_e64 v13, 0x3f22f983, |v3|
	s_xor_b32 exec_lo, exec_lo, s0
.LBB18_13:
	s_delay_alu instid0(VALU_DEP_1) | instskip(NEXT) | instid1(VALU_DEP_1)
	v_rndne_f32_e32 v9, v13
	v_fma_f32 v8, 0xbfc90fda, v9, |v3|
	s_delay_alu instid0(VALU_DEP_1) | instskip(NEXT) | instid1(VALU_DEP_1)
	v_fmamk_f32 v8, v9, 0xb3a22168, v8
	v_fmamk_f32 v8, v9, 0xa7c234c4, v8
	v_cvt_i32_f32_e32 v9, v9
; %bb.14:
	s_or_b32 exec_lo, exec_lo, s0
                                        ; implicit-def: $vgpr12
                                        ; implicit-def: $vgpr11
	s_and_saveexec_b32 s0, s2
	s_delay_alu instid0(SALU_CYCLE_1)
	s_xor_b32 s2, exec_lo, s0
	s_cbranch_execz .LBB18_16
; %bb.15:
	s_mov_b32 s0, 0x7fffff
	v_mov_b32_e32 v13, 0
	v_and_or_b32 v12, v2, s0, 0x800000
	s_mov_b64 s[0:1], 0xfe5163ab
	s_delay_alu instid0(VALU_DEP_1) | instid1(SALU_CYCLE_1)
	v_mul_u64_e32 v[14:15], s[0:1], v[12:13]
	s_delay_alu instid0(VALU_DEP_1) | instskip(SKIP_2) | instid1(VALU_DEP_3)
	v_dual_mov_b32 v16, v15 :: v_dual_mov_b32 v17, v13
	v_dual_mov_b32 v19, v13 :: v_dual_mov_b32 v21, v13
	;; [unrolled: 1-line block ×3, first 2 shown]
	v_mad_nc_u64_u32 v[16:17], 0x3c439041, v12, v[16:17]
	v_add_nc_u32_e32 v15, 0xffffff88, v10
	s_delay_alu instid0(VALU_DEP_1) | instskip(NEXT) | instid1(VALU_DEP_3)
	v_cmp_lt_u32_e32 vcc_lo, 63, v15
	v_mov_b32_e32 v18, v17
	v_cndmask_b32_e64 v17, 0, 0xffffffc0, vcc_lo
	s_delay_alu instid0(VALU_DEP_2) | instskip(NEXT) | instid1(VALU_DEP_1)
	v_mad_nc_u64_u32 v[18:19], 0xdb629599, v12, v[18:19]
	v_dual_mov_b32 v20, v19 :: v_dual_cndmask_b32 v14, v18, v14, vcc_lo
	s_delay_alu instid0(VALU_DEP_1) | instskip(NEXT) | instid1(VALU_DEP_1)
	v_mad_nc_u64_u32 v[20:21], 0xf534ddc0, v12, v[20:21]
	v_mov_b32_e32 v22, v21
	s_delay_alu instid0(VALU_DEP_1) | instskip(NEXT) | instid1(VALU_DEP_1)
	v_mad_nc_u64_u32 v[22:23], 0xfc2757d1, v12, v[22:23]
	v_mov_b32_e32 v24, v23
	s_delay_alu instid0(VALU_DEP_1) | instskip(NEXT) | instid1(VALU_DEP_1)
	v_mad_nc_u64_u32 v[10:11], 0x4e441529, v12, v[24:25]
	v_dual_mov_b32 v24, v11 :: v_dual_add_nc_u32 v15, v17, v15
	s_delay_alu instid0(VALU_DEP_1) | instskip(NEXT) | instid1(VALU_DEP_3)
	v_cmp_lt_u32_e64 s0, 31, v15
	v_cndmask_b32_e32 v17, v10, v20, vcc_lo
	s_delay_alu instid0(VALU_DEP_3) | instskip(NEXT) | instid1(VALU_DEP_3)
	v_mad_nc_u64_u32 v[12:13], 0xa2f9836e, v12, v[24:25]
	v_cndmask_b32_e64 v11, 0, 0xffffffe0, s0
	s_delay_alu instid0(VALU_DEP_1) | instskip(NEXT) | instid1(VALU_DEP_1)
	v_add_nc_u32_e32 v11, v11, v15
	v_cmp_lt_u32_e64 s1, 31, v11
	s_delay_alu instid0(VALU_DEP_4) | instskip(NEXT) | instid1(VALU_DEP_2)
	v_cndmask_b32_e32 v10, v13, v10, vcc_lo
	v_cndmask_b32_e64 v15, 0, 0xffffffe0, s1
	s_delay_alu instid0(VALU_DEP_1) | instskip(SKIP_1) | instid1(VALU_DEP_2)
	v_dual_cndmask_b32 v12, v12, v22 :: v_dual_add_nc_u32 v11, v15, v11
	v_dual_cndmask_b32 v13, v22, v18, vcc_lo :: v_dual_cndmask_b32 v15, v20, v16, vcc_lo
	v_dual_cndmask_b32 v16, v12, v17, s0 :: v_dual_cndmask_b32 v10, v10, v12, s0
	s_delay_alu instid0(VALU_DEP_3) | instskip(NEXT) | instid1(VALU_DEP_3)
	v_cmp_eq_u32_e32 vcc_lo, 0, v11
	v_dual_cndmask_b32 v12, v17, v13, s0 :: v_dual_sub_nc_u32 v17, 32, v11
	s_delay_alu instid0(VALU_DEP_3) | instskip(NEXT) | instid1(VALU_DEP_2)
	v_dual_cndmask_b32 v13, v13, v15, s0 :: v_dual_cndmask_b32 v10, v10, v16, s1
	v_dual_cndmask_b32 v11, v15, v14, s0 :: v_dual_cndmask_b32 v16, v16, v12, s1
	s_delay_alu instid0(VALU_DEP_2) | instskip(NEXT) | instid1(VALU_DEP_2)
	v_cndmask_b32_e64 v12, v12, v13, s1
	v_alignbit_b32 v19, v10, v16, v17
	s_delay_alu instid0(VALU_DEP_2) | instskip(NEXT) | instid1(VALU_DEP_1)
	v_alignbit_b32 v18, v16, v12, v17
	v_dual_cndmask_b32 v10, v19, v10, vcc_lo :: v_dual_cndmask_b32 v14, v18, v16, vcc_lo
	s_delay_alu instid0(VALU_DEP_1) | instskip(NEXT) | instid1(VALU_DEP_1)
	v_bfe_u32 v15, v10, 29, 1
	v_sub_nc_u32_e32 v16, 0, v15
	v_cndmask_b32_e64 v11, v13, v11, s1
	s_delay_alu instid0(VALU_DEP_4) | instskip(NEXT) | instid1(VALU_DEP_1)
	v_alignbit_b32 v13, v10, v14, 30
	v_xor_b32_e32 v13, v13, v16
	s_delay_alu instid0(VALU_DEP_3) | instskip(NEXT) | instid1(VALU_DEP_1)
	v_alignbit_b32 v17, v12, v11, v17
	v_cndmask_b32_e32 v12, v17, v12, vcc_lo
	s_delay_alu instid0(VALU_DEP_3) | instskip(NEXT) | instid1(VALU_DEP_2)
	v_clz_i32_u32_e32 v17, v13
	v_alignbit_b32 v14, v14, v12, 30
	s_delay_alu instid0(VALU_DEP_2) | instskip(SKIP_1) | instid1(VALU_DEP_2)
	v_min_u32_e32 v17, 32, v17
	v_alignbit_b32 v11, v12, v11, 30
	v_dual_sub_nc_u32 v14, 31, v17 :: v_dual_bitop2_b32 v12, v14, v16 bitop3:0x14
	s_delay_alu instid0(VALU_DEP_2) | instskip(SKIP_1) | instid1(VALU_DEP_3)
	v_dual_lshrrev_b32 v16, 29, v10 :: v_dual_bitop2_b32 v11, v11, v16 bitop3:0x14
	v_dual_lshlrev_b32 v18, 23, v17 :: v_dual_lshrrev_b32 v10, 30, v10
	v_alignbit_b32 v13, v13, v12, v14
	s_delay_alu instid0(VALU_DEP_3) | instskip(NEXT) | instid1(VALU_DEP_4)
	v_alignbit_b32 v11, v12, v11, v14
	v_lshlrev_b32_e32 v12, 31, v16
	s_delay_alu instid0(VALU_DEP_2) | instskip(NEXT) | instid1(VALU_DEP_2)
	v_alignbit_b32 v14, v13, v11, 9
	v_dual_lshrrev_b32 v13, 9, v13 :: v_dual_bitop2_b32 v16, 0.5, v12 bitop3:0x54
	v_or_b32_e32 v12, 0x33000000, v12
	s_delay_alu instid0(VALU_DEP_3) | instskip(NEXT) | instid1(VALU_DEP_3)
	v_clz_i32_u32_e32 v19, v14
	v_sub_nc_u32_e32 v16, v16, v18
	s_delay_alu instid0(VALU_DEP_2) | instskip(NEXT) | instid1(VALU_DEP_1)
	v_min_u32_e32 v18, 32, v19
	v_add_lshl_u32 v17, v18, v17, 23
	s_delay_alu instid0(VALU_DEP_3) | instskip(SKIP_1) | instid1(VALU_DEP_3)
	v_or_b32_e32 v13, v13, v16
	v_not_b32_e32 v16, v18
	v_sub_nc_u32_e32 v12, v12, v17
	s_delay_alu instid0(VALU_DEP_3) | instskip(NEXT) | instid1(VALU_DEP_3)
	v_mul_f32_e32 v19, 0x3fc90fda, v13
	v_alignbit_b32 v11, v14, v11, v16
	s_delay_alu instid0(VALU_DEP_2) | instskip(NEXT) | instid1(VALU_DEP_2)
	v_fma_f32 v14, 0x3fc90fda, v13, -v19
	v_lshrrev_b32_e32 v11, 9, v11
	s_delay_alu instid0(VALU_DEP_2) | instskip(NEXT) | instid1(VALU_DEP_2)
	v_fmamk_f32 v13, v13, 0x33a22168, v14
	v_dual_add_nc_u32 v12, v15, v10 :: v_dual_bitop2_b32 v11, v12, v11 bitop3:0x54
	s_delay_alu instid0(VALU_DEP_1) | instskip(NEXT) | instid1(VALU_DEP_1)
	v_fmac_f32_e32 v13, 0x3fc90fda, v11
	v_add_f32_e32 v11, v19, v13
                                        ; implicit-def: $vgpr13
	s_and_not1_saveexec_b32 s0, s2
	s_cbranch_execnz .LBB18_17
	s_branch .LBB18_18
.LBB18_16:
	s_and_not1_saveexec_b32 s0, s2
.LBB18_17:
	v_rndne_f32_e32 v10, v13
	s_delay_alu instid0(VALU_DEP_1) | instskip(SKIP_1) | instid1(VALU_DEP_2)
	v_fma_f32 v11, 0xbfc90fda, v10, |v3|
	v_cvt_i32_f32_e32 v12, v10
	v_fmamk_f32 v11, v10, 0xb3a22168, v11
	s_delay_alu instid0(VALU_DEP_1)
	v_fmamk_f32 v11, v10, 0xa7c234c4, v11
.LBB18_18:
	s_or_b32 exec_lo, exec_lo, s0
	v_lshl_add_u64 v[0:1], v[0:1], 1, s[12:13]
	s_mov_b32 s0, 0xb94c1982
	s_mov_b32 s1, 0x37d75334
	v_dual_lshlrev_b32 v9, 30, v9 :: v_dual_bitop2_b32 v13, 1, v9 bitop3:0x40
	global_load_b32 v10, v[0:1], off
	s_wait_xcnt 0x0
	v_dual_mul_f32 v0, v8, v8 :: v_dual_mul_f32 v1, v11, v11
	v_cmp_eq_u32_e32 vcc_lo, 0, v13
	s_delay_alu instid0(VALU_DEP_2) | instskip(NEXT) | instid1(VALU_DEP_3)
	v_fmaak_f32 v14, s0, v0, 0x3c0881c4
	v_fmaak_f32 v16, s0, v1, 0x3c0881c4
	;; [unrolled: 1-line block ×3, first 2 shown]
	s_delay_alu instid0(VALU_DEP_2) | instskip(NEXT) | instid1(VALU_DEP_1)
	v_fmaak_f32 v16, v1, v16, 0xbe2aaa9d
	v_mul_f32_e32 v16, v1, v16
	s_delay_alu instid0(VALU_DEP_1) | instskip(NEXT) | instid1(VALU_DEP_1)
	v_dual_fmaak_f32 v14, v0, v14, 0xbe2aaa9d :: v_dual_fmac_f32 v11, v11, v16
	v_dual_fmaak_f32 v15, s1, v0, 0xbab64f3b :: v_dual_mul_f32 v14, v0, v14
	v_dual_lshlrev_b32 v12, 30, v12 :: v_dual_bitop2_b32 v18, 1, v12 bitop3:0x40
	v_fmaak_f32 v17, v1, v17, 0x3d2aabf7
	s_delay_alu instid0(VALU_DEP_3) | instskip(NEXT) | instid1(VALU_DEP_4)
	v_fmaak_f32 v15, v0, v15, 0x3d2aabf7
	v_fmac_f32_e32 v8, v8, v14
	s_delay_alu instid0(VALU_DEP_4) | instskip(NEXT) | instid1(VALU_DEP_4)
	v_and_b32_e32 v12, 0x80000000, v12
	v_fmaak_f32 v17, v1, v17, 0xbf000004
	s_delay_alu instid0(VALU_DEP_4) | instskip(NEXT) | instid1(VALU_DEP_2)
	v_fmaak_f32 v15, v0, v15, 0xbf000004
	v_fma_f32 v1, v1, v17, 1.0
	s_delay_alu instid0(VALU_DEP_2) | instskip(NEXT) | instid1(VALU_DEP_1)
	v_fma_f32 v0, v0, v15, 1.0
	v_dual_cndmask_b32 v0, -v8, v0, vcc_lo :: v_dual_bitop2_b32 v2, v2, v3 bitop3:0x14
	v_cmp_eq_u32_e32 vcc_lo, 0, v18
	s_delay_alu instid0(VALU_DEP_2) | instskip(SKIP_2) | instid1(VALU_DEP_2)
	v_bitop3_b32 v0, v9, v0, 0x80000000 bitop3:0x6c
	v_cndmask_b32_e32 v1, v1, v11, vcc_lo
	v_cmp_class_f32_e64 vcc_lo, v3, 0x1f8
	v_xor3_b32 v1, v2, v12, v1
	s_delay_alu instid0(VALU_DEP_4) | instskip(NEXT) | instid1(VALU_DEP_1)
	v_cndmask_b32_e32 v0, 0x7fc00000, v0, vcc_lo
	v_dual_cndmask_b32 v1, 0x7fc00000, v1 :: v_dual_mul_f32 v0, v7, v0
	s_delay_alu instid0(VALU_DEP_1) | instskip(SKIP_1) | instid1(VALU_DEP_1)
	v_dual_mul_f32 v1, v7, v1 :: v_dual_mov_b32 v3, v0
	s_wait_loadcnt 0x0
	v_dual_mov_b32 v2, v1 :: v_dual_lshrrev_b32 v7, 16, v10
	v_cvt_f32_f16_e32 v8, v10
	s_delay_alu instid0(VALU_DEP_2) | instskip(NEXT) | instid1(VALU_DEP_1)
	v_cvt_f32_f16_e32 v9, v7
	v_pk_mul_f32 v[0:1], v[0:1], v[8:9]
	s_delay_alu instid0(VALU_DEP_1) | instskip(SKIP_1) | instid1(VALU_DEP_2)
	v_sub_f32_e32 v0, v0, v1
	v_pk_mul_f32 v[2:3], v[2:3], v[8:9]
	v_cvt_f16_f32_e32 v0, v0
	s_delay_alu instid0(VALU_DEP_2) | instskip(NEXT) | instid1(VALU_DEP_2)
	v_add_f32_e32 v2, v3, v2
	v_and_b32_e32 v0, 0xffff, v0
	s_delay_alu instid0(VALU_DEP_2) | instskip(NEXT) | instid1(VALU_DEP_1)
	v_cvt_f16_f32_e32 v1, v2
	v_lshlrev_b32_e32 v1, 16, v1
	s_delay_alu instid0(VALU_DEP_1)
	v_or_b32_e32 v3, v1, v0
.LBB18_19:
	s_or_b32 exec_lo, exec_lo, s5
	v_mul_lo_u32 v0, v6, s10
	s_delay_alu instid0(VALU_DEP_1) | instskip(NEXT) | instid1(VALU_DEP_1)
	v_add3_u32 v0, v0, v4, v5
	v_ashrrev_i32_e32 v1, 31, v0
	s_wait_kmcnt 0x0
	s_delay_alu instid0(VALU_DEP_1)
	v_lshl_add_u64 v[0:1], v[0:1], 1, s[14:15]
	s_wait_loadcnt 0x0
	global_store_b32 v[0:1], v3, off
.LBB18_20:
	s_endpgm
	.section	.rodata,"a",@progbits
	.p2align	6, 0x0
	.amdhsa_kernel _ZL9rope_normILb1ELb0E6__halfS0_EvPKT1_PT2_iiiiiiiiiiPKifff14rope_corr_dimsfPKfPKli
		.amdhsa_group_segment_fixed_size 0
		.amdhsa_private_segment_fixed_size 0
		.amdhsa_kernarg_size 368
		.amdhsa_user_sgpr_count 2
		.amdhsa_user_sgpr_dispatch_ptr 0
		.amdhsa_user_sgpr_queue_ptr 0
		.amdhsa_user_sgpr_kernarg_segment_ptr 1
		.amdhsa_user_sgpr_dispatch_id 0
		.amdhsa_user_sgpr_kernarg_preload_length 0
		.amdhsa_user_sgpr_kernarg_preload_offset 0
		.amdhsa_user_sgpr_private_segment_size 0
		.amdhsa_wavefront_size32 1
		.amdhsa_uses_dynamic_stack 0
		.amdhsa_enable_private_segment 0
		.amdhsa_system_sgpr_workgroup_id_x 1
		.amdhsa_system_sgpr_workgroup_id_y 1
		.amdhsa_system_sgpr_workgroup_id_z 0
		.amdhsa_system_sgpr_workgroup_info 0
		.amdhsa_system_vgpr_workitem_id 1
		.amdhsa_next_free_vgpr 26
		.amdhsa_next_free_sgpr 20
		.amdhsa_named_barrier_count 0
		.amdhsa_reserve_vcc 1
		.amdhsa_float_round_mode_32 0
		.amdhsa_float_round_mode_16_64 0
		.amdhsa_float_denorm_mode_32 3
		.amdhsa_float_denorm_mode_16_64 3
		.amdhsa_fp16_overflow 0
		.amdhsa_memory_ordered 1
		.amdhsa_forward_progress 1
		.amdhsa_inst_pref_size 37
		.amdhsa_round_robin_scheduling 0
		.amdhsa_exception_fp_ieee_invalid_op 0
		.amdhsa_exception_fp_denorm_src 0
		.amdhsa_exception_fp_ieee_div_zero 0
		.amdhsa_exception_fp_ieee_overflow 0
		.amdhsa_exception_fp_ieee_underflow 0
		.amdhsa_exception_fp_ieee_inexact 0
		.amdhsa_exception_int_div_zero 0
	.end_amdhsa_kernel
	.section	.text._ZL9rope_normILb1ELb0E6__halfS0_EvPKT1_PT2_iiiiiiiiiiPKifff14rope_corr_dimsfPKfPKli,"axG",@progbits,_ZL9rope_normILb1ELb0E6__halfS0_EvPKT1_PT2_iiiiiiiiiiPKifff14rope_corr_dimsfPKfPKli,comdat
.Lfunc_end18:
	.size	_ZL9rope_normILb1ELb0E6__halfS0_EvPKT1_PT2_iiiiiiiiiiPKifff14rope_corr_dimsfPKfPKli, .Lfunc_end18-_ZL9rope_normILb1ELb0E6__halfS0_EvPKT1_PT2_iiiiiiiiiiPKifff14rope_corr_dimsfPKfPKli
                                        ; -- End function
	.set _ZL9rope_normILb1ELb0E6__halfS0_EvPKT1_PT2_iiiiiiiiiiPKifff14rope_corr_dimsfPKfPKli.num_vgpr, 26
	.set _ZL9rope_normILb1ELb0E6__halfS0_EvPKT1_PT2_iiiiiiiiiiPKifff14rope_corr_dimsfPKfPKli.num_agpr, 0
	.set _ZL9rope_normILb1ELb0E6__halfS0_EvPKT1_PT2_iiiiiiiiiiPKifff14rope_corr_dimsfPKfPKli.numbered_sgpr, 20
	.set _ZL9rope_normILb1ELb0E6__halfS0_EvPKT1_PT2_iiiiiiiiiiPKifff14rope_corr_dimsfPKfPKli.num_named_barrier, 0
	.set _ZL9rope_normILb1ELb0E6__halfS0_EvPKT1_PT2_iiiiiiiiiiPKifff14rope_corr_dimsfPKfPKli.private_seg_size, 0
	.set _ZL9rope_normILb1ELb0E6__halfS0_EvPKT1_PT2_iiiiiiiiiiPKifff14rope_corr_dimsfPKfPKli.uses_vcc, 1
	.set _ZL9rope_normILb1ELb0E6__halfS0_EvPKT1_PT2_iiiiiiiiiiPKifff14rope_corr_dimsfPKfPKli.uses_flat_scratch, 0
	.set _ZL9rope_normILb1ELb0E6__halfS0_EvPKT1_PT2_iiiiiiiiiiPKifff14rope_corr_dimsfPKfPKli.has_dyn_sized_stack, 0
	.set _ZL9rope_normILb1ELb0E6__halfS0_EvPKT1_PT2_iiiiiiiiiiPKifff14rope_corr_dimsfPKfPKli.has_recursion, 0
	.set _ZL9rope_normILb1ELb0E6__halfS0_EvPKT1_PT2_iiiiiiiiiiPKifff14rope_corr_dimsfPKfPKli.has_indirect_call, 0
	.section	.AMDGPU.csdata,"",@progbits
; Kernel info:
; codeLenInByte = 4668
; TotalNumSgprs: 22
; NumVgprs: 26
; ScratchSize: 0
; MemoryBound: 0
; FloatMode: 240
; IeeeMode: 1
; LDSByteSize: 0 bytes/workgroup (compile time only)
; SGPRBlocks: 0
; VGPRBlocks: 1
; NumSGPRsForWavesPerEU: 22
; NumVGPRsForWavesPerEU: 26
; NamedBarCnt: 0
; Occupancy: 16
; WaveLimiterHint : 0
; COMPUTE_PGM_RSRC2:SCRATCH_EN: 0
; COMPUTE_PGM_RSRC2:USER_SGPR: 2
; COMPUTE_PGM_RSRC2:TRAP_HANDLER: 0
; COMPUTE_PGM_RSRC2:TGID_X_EN: 1
; COMPUTE_PGM_RSRC2:TGID_Y_EN: 1
; COMPUTE_PGM_RSRC2:TGID_Z_EN: 0
; COMPUTE_PGM_RSRC2:TIDIG_COMP_CNT: 1
	.section	.text._ZL9rope_normILb1ELb1E6__halfS0_EvPKT1_PT2_iiiiiiiiiiPKifff14rope_corr_dimsfPKfPKli,"axG",@progbits,_ZL9rope_normILb1ELb1E6__halfS0_EvPKT1_PT2_iiiiiiiiiiPKifff14rope_corr_dimsfPKfPKli,comdat
	.globl	_ZL9rope_normILb1ELb1E6__halfS0_EvPKT1_PT2_iiiiiiiiiiPKifff14rope_corr_dimsfPKfPKli ; -- Begin function _ZL9rope_normILb1ELb1E6__halfS0_EvPKT1_PT2_iiiiiiiiiiPKifff14rope_corr_dimsfPKfPKli
	.p2align	8
	.type	_ZL9rope_normILb1ELb1E6__halfS0_EvPKT1_PT2_iiiiiiiiiiPKifff14rope_corr_dimsfPKfPKli,@function
_ZL9rope_normILb1ELb1E6__halfS0_EvPKT1_PT2_iiiiiiiiiiPKifff14rope_corr_dimsfPKfPKli: ; @_ZL9rope_normILb1ELb1E6__halfS0_EvPKT1_PT2_iiiiiiiiiiPKifff14rope_corr_dimsfPKfPKli
; %bb.0:
	s_clause 0x1
	s_load_u16 s3, s[0:1], 0x7e
	s_load_b256 s[4:11], s[0:1], 0x10
	s_bfe_u32 s2, ttmp6, 0x40010
	s_bfe_u32 s13, ttmp6, 0x40004
	s_add_co_i32 s2, s2, 1
	v_bfe_u32 v1, v0, 10, 10
	s_mul_i32 s12, ttmp7, s2
	s_getreg_b32 s2, hwreg(HW_REG_IB_STS2, 6, 4)
	s_add_co_i32 s13, s13, s12
	s_cmp_eq_u32 s2, 0
	s_cselect_b32 s12, ttmp7, s13
	s_wait_kmcnt 0x0
	s_mul_i32 s12, s12, s3
	s_mov_b32 s3, exec_lo
	v_add_lshl_u32 v10, s12, v1, 1
	s_delay_alu instid0(VALU_DEP_1)
	v_cmpx_gt_i32_e64 s4, v10
	s_cbranch_execz .LBB19_20
; %bb.1:
	s_add_nc_u64 s[12:13], s[0:1], 0x70
	s_bfe_u32 s4, ttmp6, 0x4000c
	s_load_b32 s3, s[12:13], 0xc
	s_add_co_i32 s4, s4, 1
	s_wait_xcnt 0x0
	s_and_b32 s12, ttmp6, 15
	s_mul_i32 s4, ttmp9, s4
	v_and_b32_e32 v0, 0x3ff, v0
	s_add_co_i32 s12, s12, s4
	s_wait_kmcnt 0x0
	s_and_b32 s3, s3, 0xffff
	s_cmp_eq_u32 s2, 0
	s_mul_i32 s2, s6, s5
	s_cselect_b32 s4, ttmp9, s12
	s_abs_i32 s6, s2
	v_mad_u32 v2, s4, s3, v0
	s_cvt_f32_u32 s12, s6
	s_sub_co_i32 s4, 0, s6
	s_delay_alu instid0(SALU_CYCLE_2) | instskip(NEXT) | instid1(VALU_DEP_1)
	v_rcp_iflag_f32_e32 v1, s12
	v_sub_nc_u32_e32 v0, 0, v2
	s_delay_alu instid0(TRANS32_DEP_1) | instskip(NEXT) | instid1(VALU_DEP_2)
	v_readfirstlane_b32 s3, v1
	v_max_i32_e32 v0, v2, v0
	s_mul_f32 s3, s3, 0x4f7ffffe
	s_delay_alu instid0(SALU_CYCLE_3) | instskip(NEXT) | instid1(SALU_CYCLE_3)
	s_cvt_u32_f32 s3, s3
	s_mul_i32 s4, s4, s3
	s_delay_alu instid0(SALU_CYCLE_1) | instskip(NEXT) | instid1(SALU_CYCLE_1)
	s_mul_hi_u32 s4, s3, s4
	s_add_co_i32 s3, s3, s4
	s_load_b32 s4, s[0:1], 0x68
	v_mul_hi_u32 v1, v0, s3
	s_cvt_f32_u32 s3, s5
	s_delay_alu instid0(VALU_DEP_1) | instskip(NEXT) | instid1(VALU_DEP_1)
	v_mul_lo_u32 v3, v1, s6
	v_dual_sub_nc_u32 v0, v0, v3 :: v_dual_add_nc_u32 v3, 1, v1
	s_delay_alu instid0(VALU_DEP_1) | instskip(NEXT) | instid1(VALU_DEP_2)
	v_cmp_le_u32_e32 vcc_lo, s6, v0
	v_dual_cndmask_b32 v1, v1, v3, vcc_lo :: v_dual_bitop2_b32 v3, s2, v2 bitop3:0x14
	v_subrev_nc_u32_e32 v4, s6, v0
	s_delay_alu instid0(VALU_DEP_1) | instskip(NEXT) | instid1(VALU_DEP_1)
	v_dual_cndmask_b32 v0, v0, v4, vcc_lo :: v_dual_add_nc_u32 v4, 1, v1
	v_cmp_le_u32_e32 vcc_lo, s6, v0
	s_delay_alu instid0(VALU_DEP_2) | instskip(SKIP_1) | instid1(VALU_DEP_1)
	v_dual_cndmask_b32 v0, v1, v4 :: v_dual_ashrrev_i32 v3, 31, v3
	v_rcp_iflag_f32_e32 v1, s3
	v_xor_b32_e32 v0, v0, v3
	s_delay_alu instid0(TRANS32_DEP_1) | instskip(NEXT) | instid1(VALU_DEP_2)
	v_readfirstlane_b32 s3, v1
	v_sub_nc_u32_e32 v0, v0, v3
	s_delay_alu instid0(VALU_DEP_1) | instskip(SKIP_2) | instid1(SALU_CYCLE_2)
	v_mul_lo_u32 v1, s2, v0
	s_mul_f32 s2, s3, 0x4f7ffffe
	s_sub_co_i32 s3, 0, s5
	s_cvt_u32_f32 s2, s2
	s_delay_alu instid0(SALU_CYCLE_3) | instskip(NEXT) | instid1(VALU_DEP_1)
	s_mul_i32 s3, s3, s2
	v_sub_nc_u32_e32 v1, v2, v1
	s_mul_hi_u32 s3, s2, s3
	s_delay_alu instid0(SALU_CYCLE_1)
	s_add_co_i32 s2, s2, s3
	s_wait_kmcnt 0x0
	s_cmp_eq_u32 s4, 0
	v_mul_hi_u32 v2, v1, s2
	s_clause 0x1
	s_load_b64 s[2:3], s[0:1], 0x30
	s_load_b128 s[16:19], s[0:1], 0x58
	s_delay_alu instid0(VALU_DEP_1) | instskip(NEXT) | instid1(VALU_DEP_1)
	v_mul_lo_u32 v3, v2, s5
	v_sub_nc_u32_e32 v3, v1, v3
	s_delay_alu instid0(VALU_DEP_1) | instskip(SKIP_1) | instid1(VALU_DEP_2)
	v_subrev_nc_u32_e32 v5, s5, v3
	v_cmp_le_u32_e32 vcc_lo, s5, v3
	v_dual_cndmask_b32 v3, v3, v5 :: v_dual_add_nc_u32 v4, 1, v2
	s_delay_alu instid0(VALU_DEP_1) | instskip(NEXT) | instid1(VALU_DEP_2)
	v_cndmask_b32_e32 v2, v2, v4, vcc_lo
	v_cmp_le_u32_e32 vcc_lo, s5, v3
	s_delay_alu instid0(VALU_DEP_2) | instskip(NEXT) | instid1(VALU_DEP_1)
	v_add_nc_u32_e32 v4, 1, v2
	v_cndmask_b32_e32 v6, v2, v4, vcc_lo
	s_cbranch_scc1 .LBB19_3
; %bb.2:
	v_mov_b32_e32 v7, 0
	s_wait_kmcnt 0x0
	s_delay_alu instid0(VALU_DEP_1)
	v_lshl_add_u64 v[2:3], v[6:7], 3, s[18:19]
	global_load_b32 v2, v[2:3], off
	s_wait_loadcnt 0x0
	v_mul_lo_u32 v7, s4, v2
	s_branch .LBB19_4
.LBB19_3:
	s_wait_kmcnt 0x0
	v_mul_lo_u32 v2, v0, s2
	s_delay_alu instid0(VALU_DEP_1)
	v_mad_u32 v7, v6, s11, v2
.LBB19_4:
	v_mad_u32 v0, v0, s9, v10
	v_mul_lo_u32 v2, v6, s5
	s_load_b128 s[12:15], s[0:1], 0x0
	s_mov_b32 s2, exec_lo
	s_delay_alu instid0(VALU_DEP_2) | instskip(NEXT) | instid1(VALU_DEP_2)
	v_mad_u32 v0, v6, s8, v0
	v_sub_nc_u32_e32 v11, v1, v2
                                        ; implicit-def: $vgpr2
	s_delay_alu instid0(VALU_DEP_1) | instskip(NEXT) | instid1(VALU_DEP_1)
	v_mad_u32 v0, v11, s7, v0
	v_ashrrev_i32_e32 v1, 31, v0
	v_cmpx_le_i32_e64 s3, v10
	s_xor_b32 s2, exec_lo, s2
	s_cbranch_execz .LBB19_6
; %bb.5:
	s_wait_kmcnt 0x0
	v_lshl_add_u64 v[0:1], v[0:1], 1, s[12:13]
                                        ; implicit-def: $vgpr6
	global_load_b32 v2, v[0:1], off
                                        ; implicit-def: $vgpr0
.LBB19_6:
	s_wait_xcnt 0x0
	s_and_not1_saveexec_b32 s11, s2
	s_cbranch_execz .LBB19_19
; %bb.7:
	s_clause 0x1
	s_load_b64 s[8:9], s[0:1], 0x50
	s_load_b64 s[2:3], s[0:1], 0x38
	s_wait_loadcnt 0x0
	v_cvt_f32_i32_e32 v2, v10
	s_mov_b32 s4, 0x3e76c4e1
	s_delay_alu instid0(VALU_DEP_1)
	v_mul_f32_e32 v2, 0.5, v2
	s_wait_kmcnt 0x0
	s_cmp_neq_f32 s9, 1.0
	global_load_b32 v6, v6, s[2:3] scale_offset
	s_cselect_b32 vcc_lo, -1, 0
	v_cndmask_b32_e32 v13, 1.0, v2, vcc_lo
	s_delay_alu instid0(VALU_DEP_1) | instskip(SKIP_1) | instid1(VALU_DEP_1)
	v_cmp_neq_f32_e32 vcc_lo, 0, v13
	v_cndmask_b32_e64 v12, 1.0, s9, vcc_lo
	v_frexp_mant_f32_e64 v2, |v12|
	v_cmp_lt_f32_e64 s6, |v12|, 1.0
	s_delay_alu instid0(VALU_DEP_2) | instskip(SKIP_1) | instid1(VALU_DEP_1)
	v_cmp_gt_f32_e32 vcc_lo, 0x3f2aaaab, v2
	v_cndmask_b32_e64 v3, 1.0, 2.0, vcc_lo
	v_mul_f32_e32 v2, v2, v3
	v_cmp_neq_f32_e64 s5, v13, |v13|
	s_delay_alu instid0(VALU_DEP_2) | instskip(SKIP_1) | instid1(VALU_DEP_1)
	v_dual_add_f32 v5, 1.0, v2 :: v_dual_add_f32 v3, -1.0, v2
	s_xor_b32 s5, s5, s6
	v_rcp_f32_e32 v14, v5
	v_add_f32_e32 v8, -1.0, v5
	s_delay_alu instid0(TRANS32_DEP_1) | instid1(VALU_DEP_1)
	v_dual_sub_f32 v2, v2, v8 :: v_dual_mul_f32 v15, v3, v14
	s_delay_alu instid0(VALU_DEP_1) | instskip(NEXT) | instid1(VALU_DEP_1)
	v_mul_f32_e32 v4, v5, v15
	v_fma_f32 v8, v15, v5, -v4
	s_delay_alu instid0(VALU_DEP_1) | instskip(NEXT) | instid1(VALU_DEP_1)
	v_fmac_f32_e32 v8, v15, v2
	v_add_f32_e32 v2, v4, v8
	s_delay_alu instid0(VALU_DEP_1) | instskip(NEXT) | instid1(VALU_DEP_1)
	v_dual_sub_f32 v5, v3, v2 :: v_dual_mov_b32 v9, v2
	v_pk_add_f32 v[2:3], v[2:3], v[4:5] neg_lo:[0,1] neg_hi:[0,1]
	s_delay_alu instid0(VALU_DEP_1) | instskip(NEXT) | instid1(VALU_DEP_1)
	v_pk_add_f32 v[2:3], v[2:3], v[8:9] neg_lo:[0,1] neg_hi:[0,1]
	v_add_f32_e32 v2, v2, v3
	s_delay_alu instid0(VALU_DEP_1) | instskip(NEXT) | instid1(VALU_DEP_1)
	v_add_f32_e32 v2, v5, v2
	v_mul_f32_e32 v3, v14, v2
	s_delay_alu instid0(VALU_DEP_1) | instskip(NEXT) | instid1(VALU_DEP_1)
	v_add_f32_e32 v2, v15, v3
	v_dual_sub_f32 v4, v2, v15 :: v_dual_mul_f32 v5, v2, v2
	s_delay_alu instid0(VALU_DEP_1) | instskip(NEXT) | instid1(VALU_DEP_1)
	v_dual_sub_f32 v15, v3, v4 :: v_dual_fma_f32 v3, v2, v2, -v5
	v_add_f32_e32 v4, v15, v15
	s_delay_alu instid0(VALU_DEP_1) | instskip(NEXT) | instid1(VALU_DEP_1)
	v_fmac_f32_e32 v3, v2, v4
	v_add_f32_e32 v4, v5, v3
	s_delay_alu instid0(VALU_DEP_1) | instskip(SKIP_1) | instid1(VALU_DEP_2)
	v_dual_fmaak_f32 v8, s4, v4, 0x3e91f4c4 :: v_dual_sub_f32 v5, v4, v5
	v_cmp_eq_f32_e64 s4, 0, v12
	v_fmaak_f32 v14, v4, v8, 0x3ecccdef
	v_cvt_f64_f32_e64 v[8:9], |v12|
	s_delay_alu instid0(VALU_DEP_2) | instskip(NEXT) | instid1(VALU_DEP_1)
	v_dual_mul_f32 v16, v4, v14 :: v_dual_sub_f32 v20, v3, v5
	v_fma_f32 v3, v4, v14, -v16
	s_delay_alu instid0(VALU_DEP_1) | instskip(NEXT) | instid1(VALU_DEP_1)
	v_fmac_f32_e32 v3, v20, v14
	v_dual_add_f32 v5, v16, v3 :: v_dual_ashrrev_i32 v14, 1, v10
	global_load_b32 v26, v14, s[16:17] scale_offset
	v_dual_sub_f32 v16, v5, v16 :: v_dual_add_f32 v17, 0x3f2aaaaa, v5
	s_delay_alu instid0(VALU_DEP_1) | instskip(SKIP_1) | instid1(VALU_DEP_2)
	v_dual_sub_f32 v3, v3, v16 :: v_dual_add_f32 v16, 0xbf2aaaaa, v17
	v_frexp_exp_i32_f64_e32 v21, v[8:9]
	v_add_f32_e32 v3, 0x31739010, v3
	s_delay_alu instid0(VALU_DEP_3) | instskip(NEXT) | instid1(VALU_DEP_1)
	v_sub_f32_e32 v5, v5, v16
	v_pk_mul_f32 v[8:9], v[2:3], v[4:5]
	s_delay_alu instid0(VALU_DEP_1) | instskip(NEXT) | instid1(VALU_DEP_1)
	v_fma_f32 v16, v4, v2, -v8
	v_fmac_f32_e32 v16, v4, v15
	s_delay_alu instid0(VALU_DEP_1) | instskip(SKIP_1) | instid1(VALU_DEP_1)
	v_fmac_f32_e32 v16, v20, v2
	v_pk_add_f32 v[18:19], v[2:3], v[4:5]
	v_mov_b32_e32 v9, v19
	v_subrev_co_ci_u32_e64 v3, null, 0, v21, vcc_lo
	s_delay_alu instid0(VALU_DEP_2) | instskip(NEXT) | instid1(VALU_DEP_2)
	v_pk_add_f32 v[4:5], v[8:9], v[16:17]
	v_cvt_f32_i32_e32 v3, v3
	s_delay_alu instid0(VALU_DEP_2) | instskip(NEXT) | instid1(VALU_DEP_3)
	v_mov_b32_e32 v18, v5
	v_dual_sub_f32 v9, v17, v5 :: v_dual_sub_f32 v17, v4, v8
	s_delay_alu instid0(VALU_DEP_2) | instskip(NEXT) | instid1(VALU_DEP_4)
	v_pk_mul_f32 v[20:21], v[4:5], v[18:19]
	v_mul_f32_e32 v18, 0x3f317218, v3
	s_delay_alu instid0(VALU_DEP_3) | instskip(NEXT) | instid1(VALU_DEP_3)
	v_sub_f32_e32 v16, v16, v17
	v_fma_f32 v8, v4, v5, -v20
	v_add_f32_e32 v9, v19, v9
	s_delay_alu instid0(VALU_DEP_1) | instskip(SKIP_1) | instid1(VALU_DEP_2)
	v_fmac_f32_e32 v8, v4, v9
	v_fma_f32 v4, 0x3f317218, v3, -v18
	v_fmac_f32_e32 v8, v16, v5
	s_delay_alu instid0(VALU_DEP_2) | instskip(SKIP_1) | instid1(VALU_DEP_1)
	v_fmamk_f32 v4, v3, 0xb102e308, v4
	v_ldexp_f32 v5, v2, 1
	v_dual_add_f32 v19, v20, v8 :: v_dual_mov_b32 v21, v5
	s_delay_alu instid0(VALU_DEP_1) | instskip(SKIP_2) | instid1(VALU_DEP_3)
	v_pk_add_f32 v[2:3], v[18:19], v[4:5]
	v_mov_b32_e32 v16, v19
	v_ldexp_f32 v5, v15, 1
	v_dual_mov_b32 v9, v19 :: v_dual_mov_b32 v17, v3
	s_delay_alu instid0(VALU_DEP_1) | instskip(NEXT) | instid1(VALU_DEP_1)
	v_pk_add_f32 v[16:17], v[16:17], v[20:21] neg_lo:[0,1] neg_hi:[0,1]
	v_pk_add_f32 v[8:9], v[8:9], v[16:17] neg_lo:[0,1] neg_hi:[0,1]
	s_delay_alu instid0(VALU_DEP_1) | instskip(NEXT) | instid1(VALU_DEP_1)
	v_add_f32_e32 v5, v5, v8
	v_dual_add_f32 v19, v5, v9 :: v_dual_mov_b32 v5, v2
	s_delay_alu instid0(VALU_DEP_1) | instskip(SKIP_1) | instid1(VALU_DEP_2)
	v_pk_add_f32 v[8:9], v[2:3], v[18:19]
	v_pk_add_f32 v[16:17], v[2:3], v[18:19] neg_lo:[0,1] neg_hi:[0,1]
	v_dual_mov_b32 v24, v3 :: v_dual_mov_b32 v17, v9
	s_delay_alu instid0(VALU_DEP_1) | instskip(NEXT) | instid1(VALU_DEP_1)
	v_pk_add_f32 v[20:21], v[4:5], v[16:17]
	v_dual_mov_b32 v20, v9 :: v_dual_mov_b32 v18, v21
	v_pk_add_f32 v[4:5], v[4:5], v[16:17] neg_lo:[0,1] neg_hi:[0,1]
	s_delay_alu instid0(VALU_DEP_2) | instskip(SKIP_1) | instid1(VALU_DEP_2)
	v_pk_add_f32 v[22:23], v[18:19], v[2:3] neg_lo:[0,1] neg_hi:[0,1]
	v_dual_mov_b32 v3, v2 :: v_dual_mov_b32 v2, v19
	v_dual_mov_b32 v15, v22 :: v_dual_mov_b32 v25, v22
	s_delay_alu instid0(VALU_DEP_1) | instskip(NEXT) | instid1(VALU_DEP_2)
	v_pk_add_f32 v[8:9], v[8:9], v[14:15] neg_lo:[0,1] neg_hi:[0,1]
	v_pk_add_f32 v[16:17], v[20:21], v[24:25] neg_lo:[0,1] neg_hi:[0,1]
	v_mov_b32_e32 v8, v4
	s_delay_alu instid0(VALU_DEP_2) | instskip(NEXT) | instid1(VALU_DEP_1)
	v_pk_add_f32 v[2:3], v[2:3], v[16:17] neg_lo:[0,1] neg_hi:[0,1]
	v_pk_add_f32 v[8:9], v[8:9], v[2:3]
	s_delay_alu instid0(VALU_DEP_1) | instskip(NEXT) | instid1(VALU_DEP_1)
	v_mov_b32_e32 v16, v9
	v_pk_add_f32 v[16:17], v[8:9], v[16:17]
	s_delay_alu instid0(VALU_DEP_1) | instskip(NEXT) | instid1(VALU_DEP_1)
	v_pk_add_f32 v[18:19], v[18:19], v[16:17]
	v_dual_mov_b32 v5, v21 :: v_dual_mov_b32 v9, v18
	s_delay_alu instid0(VALU_DEP_1) | instskip(NEXT) | instid1(VALU_DEP_1)
	v_pk_add_f32 v[20:21], v[8:9], v[4:5] neg_lo:[0,1] neg_hi:[0,1]
	v_sub_f32_e32 v5, v8, v20
	s_delay_alu instid0(VALU_DEP_1) | instskip(SKIP_1) | instid1(VALU_DEP_1)
	v_sub_f32_e32 v4, v4, v5
	v_mov_b32_e32 v3, v16
	v_pk_add_f32 v[2:3], v[2:3], v[20:21] neg_lo:[0,1] neg_hi:[0,1]
	s_delay_alu instid0(VALU_DEP_1) | instskip(NEXT) | instid1(VALU_DEP_1)
	v_add_f32_e32 v2, v2, v4
	v_add_f32_e32 v2, v2, v3
	s_delay_alu instid0(VALU_DEP_1) | instskip(NEXT) | instid1(VALU_DEP_1)
	v_add_f32_e32 v3, v18, v2
	v_dual_sub_f32 v4, v3, v18 :: v_dual_mul_f32 v5, v13, v3
	s_delay_alu instid0(VALU_DEP_1) | instskip(SKIP_1) | instid1(VALU_DEP_2)
	v_dual_sub_f32 v2, v2, v4 :: v_dual_fma_f32 v3, v13, v3, -v5
	v_cmp_class_f32_e64 vcc_lo, v5, 0x204
	v_fmac_f32_e32 v3, v13, v2
	s_delay_alu instid0(VALU_DEP_1) | instskip(NEXT) | instid1(VALU_DEP_1)
	v_add_f32_e32 v2, v5, v3
	v_cndmask_b32_e32 v4, v2, v5, vcc_lo
	s_delay_alu instid0(VALU_DEP_1) | instskip(SKIP_2) | instid1(VALU_DEP_2)
	v_cmp_eq_f32_e32 vcc_lo, 0x42b17218, v4
	v_cndmask_b32_e64 v8, 0, 0x37000000, vcc_lo
	v_cmp_neq_f32_e64 vcc_lo, 0x7f800000, |v4|
	v_dual_sub_f32 v9, v4, v8 :: v_dual_sub_f32 v2, v2, v5
	v_trunc_f32_e32 v4, v13
	s_delay_alu instid0(VALU_DEP_2) | instskip(NEXT) | instid1(VALU_DEP_1)
	v_dual_mul_f32 v15, 0x3fb8aa3b, v9 :: v_dual_sub_f32 v2, v3, v2
	v_fma_f32 v16, 0x3fb8aa3b, v9, -v15
	v_rndne_f32_e32 v17, v15
	s_delay_alu instid0(VALU_DEP_3) | instskip(SKIP_1) | instid1(VALU_DEP_3)
	v_cndmask_b32_e32 v2, 0, v2, vcc_lo
	v_cmp_ngt_f32_e32 vcc_lo, 0xc2ce8ed0, v9
	v_dual_fmamk_f32 v16, v9, 0x32a5705f, v16 :: v_dual_sub_f32 v15, v15, v17
	s_delay_alu instid0(VALU_DEP_1) | instskip(NEXT) | instid1(VALU_DEP_1)
	v_add_f32_e32 v15, v15, v16
	v_exp_f32_e32 v5, v15
	v_nop
	v_cvt_i32_f32_e32 v15, v17
	s_delay_alu instid0(TRANS32_DEP_1) | instid1(VALU_DEP_1)
	v_ldexp_f32 v3, v5, v15
	s_delay_alu instid0(VALU_DEP_1) | instskip(NEXT) | instid1(VALU_DEP_1)
	v_dual_mul_f32 v5, 0.5, v13 :: v_dual_cndmask_b32 v3, 0, v3, vcc_lo
	v_trunc_f32_e32 v15, v5
	v_cmp_nlt_f32_e32 vcc_lo, 0x42b17218, v9
	s_wait_xcnt 0x1
	s_delay_alu instid0(VALU_DEP_2) | instskip(SKIP_2) | instid1(VALU_DEP_2)
	v_cmp_neq_f32_e64 s2, v15, v5
	v_cndmask_b32_e32 v3, 0x7f800000, v3, vcc_lo
	v_cmp_eq_f32_e32 vcc_lo, v4, v13
	v_cmp_class_f32_e64 s3, v3, 0x204
	s_and_b32 s2, vcc_lo, s2
	s_delay_alu instid0(SALU_CYCLE_1) | instskip(SKIP_2) | instid1(VALU_DEP_3)
	v_dual_cndmask_b32 v4, 1.0, v12, s2 :: v_dual_add_f32 v2, v8, v2
	v_cndmask_b32_e64 v8, 0, v12, s2
	v_cmp_class_f32_e64 s2, v12, 0x204
	v_fma_f32 v2, v3, v2, v3
	s_delay_alu instid0(VALU_DEP_1) | instskip(SKIP_2) | instid1(VALU_DEP_3)
	v_cndmask_b32_e64 v2, v2, v3, s3
	v_cndmask_b32_e64 v3, 0x7f800000, 0, s5
	v_cmp_gt_f32_e64 s3, 0, v13
	v_bfi_b32 v2, 0x7fffffff, v2, v4
	s_xor_b32 s3, s3, s4
	s_delay_alu instid0(SALU_CYCLE_1) | instskip(NEXT) | instid1(VALU_DEP_2)
	v_cndmask_b32_e64 v4, 0x7f800000, 0, s3
	v_cndmask_b32_e32 v5, 0x7fc00000, v2, vcc_lo
	v_cmp_neq_f32_e64 vcc_lo, |v12|, 1.0
	s_delay_alu instid0(VALU_DEP_3) | instskip(SKIP_4) | instid1(VALU_DEP_2)
	v_bfi_b32 v4, 0x7fffffff, v4, v8
	v_cndmask_b32_e32 v3, 1.0, v3, vcc_lo
	v_cmp_gt_f32_e32 vcc_lo, 0, v12
	v_cndmask_b32_e32 v2, v2, v5, vcc_lo
	v_cmp_class_f32_e64 vcc_lo, v13, 0x204
	v_cndmask_b32_e32 v2, v2, v3, vcc_lo
	s_or_b32 vcc_lo, s4, s2
	s_wait_loadcnt 0x1
	v_cvt_f32_i32_e32 v3, v6
	s_load_b128 s[4:7], s[0:1], 0x40
	v_cndmask_b32_e32 v2, v2, v4, vcc_lo
	v_cmp_o_f32_e32 vcc_lo, v12, v12
	s_delay_alu instid0(VALU_DEP_2) | instskip(NEXT) | instid1(VALU_DEP_1)
	v_cndmask_b32_e32 v2, 0x7fc00000, v2, vcc_lo
	v_mul_f32_e32 v2, v2, v3
	s_wait_loadcnt 0x0
	s_delay_alu instid0(VALU_DEP_1) | instskip(SKIP_3) | instid1(VALU_DEP_2)
	v_div_scale_f32 v3, null, v26, v26, v2
	v_div_scale_f32 v6, vcc_lo, v2, v26, v2
	s_wait_kmcnt 0x0
	s_cmp_eq_f32 s5, 0
	v_rcp_f32_e32 v4, v3
	v_nop
	s_delay_alu instid0(TRANS32_DEP_1) | instskip(NEXT) | instid1(VALU_DEP_1)
	v_fma_f32 v5, -v3, v4, 1.0
	v_fmac_f32_e32 v4, v5, v4
	s_delay_alu instid0(VALU_DEP_1) | instskip(NEXT) | instid1(VALU_DEP_1)
	v_mul_f32_e32 v5, v6, v4
	v_fma_f32 v8, -v3, v5, v6
	s_delay_alu instid0(VALU_DEP_1) | instskip(NEXT) | instid1(VALU_DEP_1)
	v_fmac_f32_e32 v5, v8, v4
	v_fma_f32 v3, -v3, v5, v6
	s_delay_alu instid0(VALU_DEP_1) | instskip(NEXT) | instid1(VALU_DEP_1)
	v_div_fmas_f32 v3, v3, v4, v5
	v_div_fixup_f32 v2, v3, v26, v2
	s_delay_alu instid0(VALU_DEP_1)
	v_mul_f32_e32 v3, s4, v2
	s_cbranch_scc1 .LBB19_9
; %bb.8:
	v_div_scale_f32 v6, null, s4, s4, 1.0
	v_cvt_f32_i32_e32 v4, v14
	s_sub_f32 s0, s8, s7
	s_delay_alu instid0(VALU_DEP_2)
	v_rcp_f32_e32 v9, v6
	v_nop
	v_xor_b32_e32 v6, 0x80000000, v6
	s_max_num_f32 s1, s0, 0x3a83126f
	s_delay_alu instid0(TRANS32_DEP_1) | instid1(VALU_DEP_1)
	v_fma_f32 v13, v6, v9, 1.0
	s_delay_alu instid0(VALU_DEP_1)
	v_dual_subrev_f32 v4, s7, v4 :: v_dual_fmac_f32 v9, v13, v9
	s_delay_alu instid0(VALU_DEP_1) | instid1(SALU_CYCLE_1)
	v_div_scale_f32 v5, null, s1, s1, v4
	v_div_scale_f32 v14, vcc_lo, v4, s1, v4
	s_delay_alu instid0(VALU_DEP_2) | instskip(SKIP_1) | instid1(TRANS32_DEP_1)
	v_rcp_f32_e32 v8, v5
	v_nop
	v_fma_f32 v12, -v5, v8, 1.0
	s_delay_alu instid0(VALU_DEP_1) | instskip(SKIP_1) | instid1(VALU_DEP_1)
	v_fmac_f32_e32 v8, v12, v8
	v_div_scale_f32 v12, s0, 1.0, s4, 1.0
	v_mul_f32_e32 v15, v12, v9
	s_delay_alu instid0(VALU_DEP_1) | instskip(NEXT) | instid1(VALU_DEP_1)
	v_fma_f32 v17, v6, v15, v12
	v_dual_mul_f32 v13, v14, v8 :: v_dual_fmac_f32 v15, v17, v9
	s_delay_alu instid0(VALU_DEP_1) | instskip(NEXT) | instid1(VALU_DEP_1)
	v_dual_fma_f32 v16, -v5, v13, v14 :: v_dual_fmac_f32 v12, v6, v15
	v_fmac_f32_e32 v13, v16, v8
	s_delay_alu instid0(VALU_DEP_1) | instskip(NEXT) | instid1(VALU_DEP_1)
	v_fma_f32 v5, -v5, v13, v14
	v_div_fmas_f32 v5, v5, v8, v13
	s_mov_b32 vcc_lo, s0
	v_div_fmas_f32 v6, v12, v9, v15
	s_delay_alu instid0(VALU_DEP_2) | instskip(NEXT) | instid1(VALU_DEP_2)
	v_div_fixup_f32 v4, v5, s1, v4 clamp
	v_div_fixup_f32 v6, v6, s4, 1.0
	s_delay_alu instid0(VALU_DEP_2) | instskip(NEXT) | instid1(VALU_DEP_2)
	v_sub_f32_e32 v9, 1.0, v4
	v_readfirstlane_b32 s0, v6
	s_cmp_lt_f32 s0, 0x800000
	s_cselect_b32 s0, 0x4f800000, 1.0
	s_delay_alu instid0(SALU_CYCLE_1) | instskip(SKIP_2) | instid1(VALU_DEP_2)
	v_mul_f32_e32 v6, s0, v6
	s_cselect_b32 s0, 0x41b17218, 0
	v_mul_f32_e32 v4, s5, v9
	v_log_f32_e32 v6, v6
	v_nop
	s_delay_alu instid0(TRANS32_DEP_1) | instskip(SKIP_1) | instid1(VALU_DEP_2)
	v_mul_f32_e32 v8, 0x3f317217, v6
	v_and_b32_e32 v5, 0x7fffffff, v6
	v_xor_b32_e32 v8, 0x80000000, v8
	s_delay_alu instid0(VALU_DEP_2) | instskip(SKIP_1) | instid1(VALU_DEP_1)
	v_cmp_gt_f32_e32 vcc_lo, 0x7f800000, v5
	v_fma_f32 v5, -s5, v9, 1.0
	v_pk_mul_f32 v[2:3], v[4:5], v[2:3]
	s_delay_alu instid0(VALU_DEP_1) | instskip(NEXT) | instid1(VALU_DEP_1)
	v_dual_fmac_f32 v8, 0x3f317217, v6 :: v_dual_add_f32 v3, v2, v3
	v_fmamk_f32 v8, v6, 0x3377d1cf, v8
	s_delay_alu instid0(VALU_DEP_1) | instskip(NEXT) | instid1(VALU_DEP_1)
	v_fmac_f32_e32 v8, 0x3f317217, v6
	v_dual_cndmask_b32 v6, v6, v8, vcc_lo :: v_dual_mov_b32 v8, 1.0
	s_delay_alu instid0(VALU_DEP_1) | instskip(NEXT) | instid1(VALU_DEP_1)
	v_subrev_f32_e32 v6, s0, v6
	v_fmamk_f32 v4, v6, 0x3dcccccd, v8
	s_delay_alu instid0(VALU_DEP_1)
	v_mul_f32_e32 v4, s6, v4
	s_branch .LBB19_10
.LBB19_9:
	v_mov_b32_e32 v4, s6
.LBB19_10:
	s_delay_alu instid0(VALU_DEP_2) | instskip(SKIP_1) | instid1(VALU_DEP_2)
	v_and_b32_e32 v2, 0x7fffffff, v3
	v_cmp_ngt_f32_e64 s2, 0x48000000, |v3|
                                        ; implicit-def: $vgpr6
                                        ; implicit-def: $vgpr5
	v_lshrrev_b32_e32 v8, 23, v2
	s_and_saveexec_b32 s0, s2
	s_delay_alu instid0(SALU_CYCLE_1)
	s_xor_b32 s3, exec_lo, s0
	s_cbranch_execz .LBB19_12
; %bb.11:
	s_mov_b32 s0, 0x7fffff
	v_mov_b32_e32 v13, 0
	v_and_or_b32 v12, v2, s0, 0x800000
	s_mov_b64 s[0:1], 0xfe5163ab
	v_add_nc_u32_e32 v5, 0xffffff88, v8
	s_delay_alu instid0(VALU_DEP_2) | instskip(NEXT) | instid1(VALU_DEP_2)
	v_mul_u64_e32 v[14:15], s[0:1], v[12:13]
	v_cmp_lt_u32_e32 vcc_lo, 63, v5
	v_cndmask_b32_e64 v6, 0, 0xffffffc0, vcc_lo
	s_delay_alu instid0(VALU_DEP_3) | instskip(SKIP_2) | instid1(VALU_DEP_3)
	v_dual_mov_b32 v16, v15 :: v_dual_mov_b32 v17, v13
	v_dual_mov_b32 v19, v13 :: v_dual_mov_b32 v21, v13
	v_dual_mov_b32 v23, v13 :: v_dual_mov_b32 v25, v13
	v_mad_nc_u64_u32 v[16:17], 0x3c439041, v12, v[16:17]
	v_dual_add_nc_u32 v5, v6, v5 :: v_dual_mov_b32 v27, v13
	s_delay_alu instid0(VALU_DEP_1) | instskip(NEXT) | instid1(VALU_DEP_3)
	v_cmp_lt_u32_e64 s0, 31, v5
	v_mov_b32_e32 v18, v17
	s_delay_alu instid0(VALU_DEP_2) | instskip(NEXT) | instid1(VALU_DEP_2)
	v_cndmask_b32_e64 v6, 0, 0xffffffe0, s0
	v_mad_nc_u64_u32 v[18:19], 0xdb629599, v12, v[18:19]
	s_delay_alu instid0(VALU_DEP_2) | instskip(NEXT) | instid1(VALU_DEP_1)
	v_add_nc_u32_e32 v5, v6, v5
	v_cmp_lt_u32_e64 s1, 31, v5
	s_delay_alu instid0(VALU_DEP_3) | instskip(NEXT) | instid1(VALU_DEP_2)
	v_mov_b32_e32 v20, v19
	v_cndmask_b32_e64 v6, 0, 0xffffffe0, s1
	s_delay_alu instid0(VALU_DEP_2) | instskip(NEXT) | instid1(VALU_DEP_1)
	v_mad_nc_u64_u32 v[20:21], 0xf534ddc0, v12, v[20:21]
	v_dual_cndmask_b32 v6, v20, v16 :: v_dual_add_nc_u32 v5, v6, v5
	s_delay_alu instid0(VALU_DEP_2) | instskip(NEXT) | instid1(VALU_DEP_1)
	v_mov_b32_e32 v22, v21
	v_mad_nc_u64_u32 v[22:23], 0xfc2757d1, v12, v[22:23]
	s_delay_alu instid0(VALU_DEP_1) | instskip(NEXT) | instid1(VALU_DEP_1)
	v_dual_mov_b32 v24, v23 :: v_dual_cndmask_b32 v15, v22, v18
	v_mad_nc_u64_u32 v[24:25], 0x4e441529, v12, v[24:25]
	s_delay_alu instid0(VALU_DEP_1) | instskip(NEXT) | instid1(VALU_DEP_1)
	v_dual_mov_b32 v26, v25 :: v_dual_cndmask_b32 v9, v24, v20
	v_mad_nc_u64_u32 v[12:13], 0xa2f9836e, v12, v[26:27]
	s_delay_alu instid0(VALU_DEP_1) | instskip(NEXT) | instid1(VALU_DEP_1)
	v_dual_cndmask_b32 v12, v12, v22 :: v_dual_cndmask_b32 v13, v13, v24
	v_dual_cndmask_b32 v16, v12, v9, s0 :: v_dual_cndmask_b32 v12, v13, v12, s0
	v_dual_cndmask_b32 v9, v9, v15, s0 :: v_dual_sub_nc_u32 v13, 32, v5
	s_delay_alu instid0(VALU_DEP_2) | instskip(NEXT) | instid1(VALU_DEP_1)
	v_dual_cndmask_b32 v15, v15, v6, s0 :: v_dual_cndmask_b32 v12, v12, v16, s1
	v_dual_cndmask_b32 v16, v16, v9, s1 :: v_dual_cndmask_b32 v9, v9, v15, s1
	s_delay_alu instid0(VALU_DEP_1) | instskip(SKIP_2) | instid1(VALU_DEP_4)
	v_alignbit_b32 v17, v12, v16, v13
	v_cndmask_b32_e32 v14, v18, v14, vcc_lo
	v_cmp_eq_u32_e32 vcc_lo, 0, v5
	v_alignbit_b32 v18, v16, v9, v13
	s_delay_alu instid0(VALU_DEP_3) | instskip(NEXT) | instid1(VALU_DEP_2)
	v_dual_cndmask_b32 v5, v17, v12, vcc_lo :: v_dual_cndmask_b32 v6, v6, v14, s0
	v_cndmask_b32_e32 v12, v18, v16, vcc_lo
	s_delay_alu instid0(VALU_DEP_2) | instskip(NEXT) | instid1(VALU_DEP_1)
	v_bfe_u32 v14, v5, 29, 1
	v_sub_nc_u32_e32 v16, 0, v14
	s_delay_alu instid0(VALU_DEP_4) | instskip(NEXT) | instid1(VALU_DEP_4)
	v_cndmask_b32_e64 v6, v15, v6, s1
	v_alignbit_b32 v15, v5, v12, 30
	s_delay_alu instid0(VALU_DEP_2) | instskip(NEXT) | instid1(VALU_DEP_1)
	v_alignbit_b32 v13, v9, v6, v13
	v_dual_cndmask_b32 v9, v13, v9, vcc_lo :: v_dual_bitop2_b32 v15, v15, v16 bitop3:0x14
	s_delay_alu instid0(VALU_DEP_1) | instskip(NEXT) | instid1(VALU_DEP_2)
	v_clz_i32_u32_e32 v13, v15
	v_alignbit_b32 v12, v12, v9, 30
	s_delay_alu instid0(VALU_DEP_2) | instskip(SKIP_1) | instid1(VALU_DEP_2)
	v_min_u32_e32 v13, 32, v13
	v_alignbit_b32 v6, v9, v6, 30
	v_dual_sub_nc_u32 v12, 31, v13 :: v_dual_bitop2_b32 v9, v12, v16 bitop3:0x14
	s_delay_alu instid0(VALU_DEP_2) | instskip(SKIP_1) | instid1(VALU_DEP_3)
	v_dual_lshrrev_b32 v16, 29, v5 :: v_dual_bitop2_b32 v6, v6, v16 bitop3:0x14
	v_lshlrev_b32_e32 v17, 23, v13
	v_alignbit_b32 v15, v15, v9, v12
	s_delay_alu instid0(VALU_DEP_3) | instskip(NEXT) | instid1(VALU_DEP_4)
	v_alignbit_b32 v6, v9, v6, v12
	v_lshlrev_b32_e32 v9, 31, v16
	s_delay_alu instid0(VALU_DEP_2) | instskip(NEXT) | instid1(VALU_DEP_2)
	v_alignbit_b32 v12, v15, v6, 9
	v_dual_lshrrev_b32 v15, 9, v15 :: v_dual_bitop2_b32 v16, 0.5, v9 bitop3:0x54
	v_or_b32_e32 v9, 0x33000000, v9
	s_delay_alu instid0(VALU_DEP_3) | instskip(NEXT) | instid1(VALU_DEP_3)
	v_clz_i32_u32_e32 v18, v12
	v_sub_nc_u32_e32 v16, v16, v17
	s_delay_alu instid0(VALU_DEP_2) | instskip(NEXT) | instid1(VALU_DEP_1)
	v_min_u32_e32 v17, 32, v18
	v_add_lshl_u32 v13, v17, v13, 23
	s_delay_alu instid0(VALU_DEP_3) | instskip(SKIP_1) | instid1(VALU_DEP_2)
	v_or_b32_e32 v15, v15, v16
	v_not_b32_e32 v16, v17
	v_dual_mul_f32 v18, 0x3fc90fda, v15 :: v_dual_sub_nc_u32 v9, v9, v13
	s_delay_alu instid0(VALU_DEP_2) | instskip(NEXT) | instid1(VALU_DEP_2)
	v_alignbit_b32 v6, v12, v6, v16
	v_fma_f32 v12, 0x3fc90fda, v15, -v18
	s_delay_alu instid0(VALU_DEP_2) | instskip(NEXT) | instid1(VALU_DEP_2)
	v_lshrrev_b32_e32 v6, 9, v6
	v_fmamk_f32 v12, v15, 0x33a22168, v12
	s_delay_alu instid0(VALU_DEP_2) | instskip(NEXT) | instid1(VALU_DEP_1)
	v_or_b32_e32 v6, v9, v6
	v_fmac_f32_e32 v12, 0x3fc90fda, v6
	s_delay_alu instid0(VALU_DEP_1) | instskip(NEXT) | instid1(VALU_DEP_1)
	v_dual_add_f32 v5, v18, v12 :: v_dual_lshrrev_b32 v6, 30, v5
	v_add_nc_u32_e32 v6, v14, v6
	s_or_saveexec_b32 s0, s3
	v_mul_f32_e64 v13, 0x3f22f983, |v3|
	s_xor_b32 exec_lo, exec_lo, s0
	s_branch .LBB19_13
.LBB19_12:
	s_or_saveexec_b32 s0, s3
	v_mul_f32_e64 v13, 0x3f22f983, |v3|
	s_xor_b32 exec_lo, exec_lo, s0
.LBB19_13:
	s_delay_alu instid0(VALU_DEP_1) | instskip(NEXT) | instid1(VALU_DEP_1)
	v_rndne_f32_e32 v6, v13
	v_fma_f32 v5, 0xbfc90fda, v6, |v3|
	s_delay_alu instid0(VALU_DEP_1) | instskip(NEXT) | instid1(VALU_DEP_1)
	v_fmamk_f32 v5, v6, 0xb3a22168, v5
	v_fmamk_f32 v5, v6, 0xa7c234c4, v5
	v_cvt_i32_f32_e32 v6, v6
; %bb.14:
	s_or_b32 exec_lo, exec_lo, s0
                                        ; implicit-def: $vgpr12
                                        ; implicit-def: $vgpr9
	s_and_saveexec_b32 s0, s2
	s_delay_alu instid0(SALU_CYCLE_1)
	s_xor_b32 s2, exec_lo, s0
	s_cbranch_execz .LBB19_16
; %bb.15:
	s_mov_b32 s0, 0x7fffff
	v_mov_b32_e32 v13, 0
	v_and_or_b32 v12, v2, s0, 0x800000
	s_mov_b64 s[0:1], 0xfe5163ab
	s_delay_alu instid0(VALU_DEP_1) | instid1(SALU_CYCLE_1)
	v_mul_u64_e32 v[14:15], s[0:1], v[12:13]
	s_delay_alu instid0(VALU_DEP_1) | instskip(SKIP_2) | instid1(VALU_DEP_3)
	v_dual_mov_b32 v16, v15 :: v_dual_mov_b32 v17, v13
	v_dual_mov_b32 v19, v13 :: v_dual_mov_b32 v21, v13
	v_dual_mov_b32 v23, v13 :: v_dual_mov_b32 v25, v13
	v_mad_nc_u64_u32 v[16:17], 0x3c439041, v12, v[16:17]
	v_add_nc_u32_e32 v15, 0xffffff88, v8
	s_delay_alu instid0(VALU_DEP_1) | instskip(NEXT) | instid1(VALU_DEP_3)
	v_cmp_lt_u32_e32 vcc_lo, 63, v15
	v_mov_b32_e32 v18, v17
	v_cndmask_b32_e64 v17, 0, 0xffffffc0, vcc_lo
	s_delay_alu instid0(VALU_DEP_2) | instskip(NEXT) | instid1(VALU_DEP_1)
	v_mad_nc_u64_u32 v[18:19], 0xdb629599, v12, v[18:19]
	v_dual_mov_b32 v20, v19 :: v_dual_cndmask_b32 v14, v18, v14, vcc_lo
	s_delay_alu instid0(VALU_DEP_1) | instskip(NEXT) | instid1(VALU_DEP_1)
	v_mad_nc_u64_u32 v[20:21], 0xf534ddc0, v12, v[20:21]
	v_mov_b32_e32 v22, v21
	s_delay_alu instid0(VALU_DEP_1) | instskip(NEXT) | instid1(VALU_DEP_1)
	v_mad_nc_u64_u32 v[22:23], 0xfc2757d1, v12, v[22:23]
	v_mov_b32_e32 v24, v23
	s_delay_alu instid0(VALU_DEP_1) | instskip(NEXT) | instid1(VALU_DEP_1)
	v_mad_nc_u64_u32 v[8:9], 0x4e441529, v12, v[24:25]
	v_dual_add_nc_u32 v15, v17, v15 :: v_dual_cndmask_b32 v17, v8, v20, vcc_lo
	s_delay_alu instid0(VALU_DEP_1) | instskip(NEXT) | instid1(VALU_DEP_3)
	v_cmp_lt_u32_e64 s0, 31, v15
	v_mov_b32_e32 v24, v9
	s_delay_alu instid0(VALU_DEP_2) | instskip(NEXT) | instid1(VALU_DEP_1)
	v_cndmask_b32_e64 v9, 0, 0xffffffe0, s0
	v_add_nc_u32_e32 v9, v9, v15
	s_delay_alu instid0(VALU_DEP_3) | instskip(NEXT) | instid1(VALU_DEP_2)
	v_mad_nc_u64_u32 v[12:13], 0xa2f9836e, v12, v[24:25]
	v_cmp_lt_u32_e64 s1, 31, v9
	s_delay_alu instid0(VALU_DEP_1) | instskip(NEXT) | instid1(VALU_DEP_3)
	v_cndmask_b32_e64 v15, 0, 0xffffffe0, s1
	v_dual_cndmask_b32 v12, v12, v22, vcc_lo :: v_dual_cndmask_b32 v8, v13, v8, vcc_lo
	s_delay_alu instid0(VALU_DEP_2) | instskip(SKIP_1) | instid1(VALU_DEP_3)
	v_dual_cndmask_b32 v13, v22, v18, vcc_lo :: v_dual_add_nc_u32 v9, v15, v9
	v_cndmask_b32_e32 v15, v20, v16, vcc_lo
	v_cndmask_b32_e64 v16, v12, v17, s0
	s_delay_alu instid0(VALU_DEP_3) | instskip(NEXT) | instid1(VALU_DEP_3)
	v_dual_cndmask_b32 v8, v8, v12, s0 :: v_dual_cndmask_b32 v12, v17, v13, s0
	v_dual_sub_nc_u32 v17, 32, v9 :: v_dual_cndmask_b32 v13, v13, v15, s0
	v_cmp_eq_u32_e32 vcc_lo, 0, v9
	s_delay_alu instid0(VALU_DEP_3) | instskip(NEXT) | instid1(VALU_DEP_4)
	v_cndmask_b32_e64 v8, v8, v16, s1
	v_dual_cndmask_b32 v16, v16, v12, s1 :: v_dual_cndmask_b32 v9, v15, v14, s0
	s_delay_alu instid0(VALU_DEP_1) | instskip(SKIP_1) | instid1(VALU_DEP_2)
	v_alignbit_b32 v19, v8, v16, v17
	v_cndmask_b32_e64 v12, v12, v13, s1
	v_dual_cndmask_b32 v9, v13, v9, s1 :: v_dual_cndmask_b32 v8, v19, v8, vcc_lo
	s_delay_alu instid0(VALU_DEP_2) | instskip(NEXT) | instid1(VALU_DEP_2)
	v_alignbit_b32 v18, v16, v12, v17
	v_alignbit_b32 v17, v12, v9, v17
	s_delay_alu instid0(VALU_DEP_3) | instskip(NEXT) | instid1(VALU_DEP_3)
	v_bfe_u32 v15, v8, 29, 1
	v_cndmask_b32_e32 v14, v18, v16, vcc_lo
	s_delay_alu instid0(VALU_DEP_2) | instskip(NEXT) | instid1(VALU_DEP_2)
	v_dual_cndmask_b32 v12, v17, v12, vcc_lo :: v_dual_sub_nc_u32 v16, 0, v15
	v_alignbit_b32 v13, v8, v14, 30
	s_delay_alu instid0(VALU_DEP_2) | instskip(SKIP_1) | instid1(VALU_DEP_3)
	v_alignbit_b32 v14, v14, v12, 30
	v_alignbit_b32 v9, v12, v9, 30
	v_xor_b32_e32 v13, v13, v16
	s_delay_alu instid0(VALU_DEP_2) | instskip(NEXT) | instid1(VALU_DEP_2)
	v_xor_b32_e32 v9, v9, v16
	v_clz_i32_u32_e32 v17, v13
	s_delay_alu instid0(VALU_DEP_1) | instskip(NEXT) | instid1(VALU_DEP_1)
	v_min_u32_e32 v17, 32, v17
	v_dual_lshlrev_b32 v18, 23, v17 :: v_dual_bitop2_b32 v12, v14, v16 bitop3:0x14
	v_sub_nc_u32_e32 v14, 31, v17
	s_delay_alu instid0(VALU_DEP_1) | instskip(SKIP_3) | instid1(VALU_DEP_2)
	v_alignbit_b32 v13, v13, v12, v14
	v_lshrrev_b32_e32 v16, 29, v8
	v_alignbit_b32 v9, v12, v9, v14
	v_lshrrev_b32_e32 v8, 30, v8
	v_alignbit_b32 v14, v13, v9, 9
	s_delay_alu instid0(VALU_DEP_4) | instskip(NEXT) | instid1(VALU_DEP_2)
	v_dual_lshrrev_b32 v13, 9, v13 :: v_dual_lshlrev_b32 v12, 31, v16
	v_clz_i32_u32_e32 v19, v14
	s_delay_alu instid0(VALU_DEP_2) | instskip(SKIP_1) | instid1(VALU_DEP_2)
	v_or_b32_e32 v16, 0.5, v12
	v_or_b32_e32 v12, 0x33000000, v12
	v_sub_nc_u32_e32 v16, v16, v18
	s_delay_alu instid0(VALU_DEP_4) | instskip(NEXT) | instid1(VALU_DEP_2)
	v_min_u32_e32 v18, 32, v19
	v_or_b32_e32 v13, v13, v16
	s_delay_alu instid0(VALU_DEP_2) | instskip(SKIP_1) | instid1(VALU_DEP_2)
	v_not_b32_e32 v16, v18
	v_add_lshl_u32 v17, v18, v17, 23
	v_alignbit_b32 v9, v14, v9, v16
	s_delay_alu instid0(VALU_DEP_2) | instskip(NEXT) | instid1(VALU_DEP_2)
	v_sub_nc_u32_e32 v12, v12, v17
	v_lshrrev_b32_e32 v9, 9, v9
	v_mul_f32_e32 v19, 0x3fc90fda, v13
	s_delay_alu instid0(VALU_DEP_2) | instskip(NEXT) | instid1(VALU_DEP_2)
	v_dual_add_nc_u32 v12, v15, v8 :: v_dual_bitop2_b32 v9, v12, v9 bitop3:0x54
	v_fma_f32 v14, 0x3fc90fda, v13, -v19
	s_delay_alu instid0(VALU_DEP_1) | instskip(NEXT) | instid1(VALU_DEP_1)
	v_fmamk_f32 v13, v13, 0x33a22168, v14
	v_fmac_f32_e32 v13, 0x3fc90fda, v9
	s_delay_alu instid0(VALU_DEP_1)
	v_add_f32_e32 v9, v19, v13
                                        ; implicit-def: $vgpr13
	s_and_not1_saveexec_b32 s0, s2
	s_cbranch_execnz .LBB19_17
	s_branch .LBB19_18
.LBB19_16:
	s_and_not1_saveexec_b32 s0, s2
.LBB19_17:
	v_rndne_f32_e32 v8, v13
	s_delay_alu instid0(VALU_DEP_1) | instskip(SKIP_1) | instid1(VALU_DEP_2)
	v_fma_f32 v9, 0xbfc90fda, v8, |v3|
	v_cvt_i32_f32_e32 v12, v8
	v_fmamk_f32 v9, v8, 0xb3a22168, v9
	s_delay_alu instid0(VALU_DEP_1)
	v_fmamk_f32 v9, v8, 0xa7c234c4, v9
.LBB19_18:
	s_or_b32 exec_lo, exec_lo, s0
	v_lshl_add_u64 v[0:1], v[0:1], 1, s[12:13]
	s_mov_b32 s0, 0xb94c1982
	s_mov_b32 s1, 0x37d75334
	v_dual_lshlrev_b32 v6, 30, v6 :: v_dual_bitop2_b32 v13, 1, v6 bitop3:0x40
	global_load_b32 v8, v[0:1], off
	s_wait_xcnt 0x0
	v_mul_f32_e32 v0, v5, v5
	v_mul_f32_e32 v1, v9, v9
	v_cmp_eq_u32_e32 vcc_lo, 0, v13
	s_delay_alu instid0(VALU_DEP_3) | instskip(NEXT) | instid1(VALU_DEP_3)
	v_fmaak_f32 v14, s0, v0, 0x3c0881c4
	v_fmaak_f32 v17, s1, v1, 0xbab64f3b
	s_delay_alu instid0(VALU_DEP_2) | instskip(NEXT) | instid1(VALU_DEP_1)
	v_fmaak_f32 v14, v0, v14, 0xbe2aaa9d
	v_dual_fmaak_f32 v15, s1, v0, 0xbab64f3b :: v_dual_mul_f32 v14, v0, v14
	s_delay_alu instid0(VALU_DEP_1) | instskip(NEXT) | instid1(VALU_DEP_1)
	v_dual_fmaak_f32 v16, s0, v1, 0x3c0881c4 :: v_dual_fmac_f32 v5, v5, v14
	v_fmaak_f32 v16, v1, v16, 0xbe2aaa9d
	s_delay_alu instid0(VALU_DEP_1) | instskip(NEXT) | instid1(VALU_DEP_1)
	v_dual_fmaak_f32 v15, v0, v15, 0x3d2aabf7 :: v_dual_mul_f32 v16, v1, v16
	v_fmaak_f32 v15, v0, v15, 0xbf000004
	s_delay_alu instid0(VALU_DEP_2) | instskip(SKIP_2) | instid1(VALU_DEP_4)
	v_fmac_f32_e32 v9, v9, v16
	v_dual_lshlrev_b32 v12, 30, v12 :: v_dual_bitop2_b32 v18, 1, v12 bitop3:0x40
	v_fmaak_f32 v17, v1, v17, 0x3d2aabf7
	v_fma_f32 v0, v0, v15, 1.0
	v_xor_b32_e32 v2, v2, v3
	s_delay_alu instid0(VALU_DEP_4) | instskip(NEXT) | instid1(VALU_DEP_4)
	v_and_b32_e32 v12, 0x80000000, v12
	v_fmaak_f32 v17, v1, v17, 0xbf000004
	s_delay_alu instid0(VALU_DEP_4) | instskip(SKIP_1) | instid1(VALU_DEP_3)
	v_cndmask_b32_e64 v0, -v5, v0, vcc_lo
	v_cmp_eq_u32_e32 vcc_lo, 0, v18
	v_fma_f32 v1, v1, v17, 1.0
	s_delay_alu instid0(VALU_DEP_3) | instskip(NEXT) | instid1(VALU_DEP_2)
	v_bitop3_b32 v0, v6, v0, 0x80000000 bitop3:0x6c
	v_cndmask_b32_e32 v1, v1, v9, vcc_lo
	v_cmp_class_f32_e64 vcc_lo, v3, 0x1f8
	s_delay_alu instid0(VALU_DEP_2) | instskip(NEXT) | instid1(VALU_DEP_4)
	v_xor3_b32 v1, v2, v12, v1
	v_cndmask_b32_e32 v0, 0x7fc00000, v0, vcc_lo
	s_delay_alu instid0(VALU_DEP_1) | instskip(NEXT) | instid1(VALU_DEP_1)
	v_dual_cndmask_b32 v1, 0x7fc00000, v1 :: v_dual_mul_f32 v0, v4, v0
	v_mul_f32_e32 v1, v4, v1
	s_delay_alu instid0(VALU_DEP_1) | instskip(SKIP_3) | instid1(VALU_DEP_2)
	v_dual_mov_b32 v3, v0 :: v_dual_mov_b32 v2, v1
	s_wait_loadcnt 0x0
	v_lshrrev_b32_e32 v5, 16, v8
	v_cvt_f32_f16_e32 v4, v8
	v_cvt_f32_f16_e32 v5, v5
	s_delay_alu instid0(VALU_DEP_1) | instskip(SKIP_1) | instid1(VALU_DEP_1)
	v_pk_mul_f32 v[2:3], v[2:3], v[4:5]
	v_pk_mul_f32 v[0:1], v[0:1], v[4:5]
	v_dual_add_f32 v2, v3, v2 :: v_dual_sub_f32 v0, v0, v1
	s_delay_alu instid0(VALU_DEP_1) | instskip(NEXT) | instid1(VALU_DEP_2)
	v_cvt_f16_f32_e32 v1, v2
	v_cvt_f16_f32_e32 v0, v0
	s_delay_alu instid0(VALU_DEP_2) | instskip(NEXT) | instid1(VALU_DEP_2)
	v_lshlrev_b32_e32 v1, 16, v1
	v_and_b32_e32 v0, 0xffff, v0
	s_delay_alu instid0(VALU_DEP_1)
	v_or_b32_e32 v2, v1, v0
.LBB19_19:
	s_or_b32 exec_lo, exec_lo, s11
	v_mul_lo_u32 v0, v11, s10
	s_delay_alu instid0(VALU_DEP_1) | instskip(NEXT) | instid1(VALU_DEP_1)
	v_add3_u32 v0, v0, v10, v7
	v_ashrrev_i32_e32 v1, 31, v0
	s_wait_kmcnt 0x0
	s_delay_alu instid0(VALU_DEP_1)
	v_lshl_add_u64 v[0:1], v[0:1], 1, s[14:15]
	s_wait_loadcnt 0x0
	global_store_b32 v[0:1], v2, off
.LBB19_20:
	s_endpgm
	.section	.rodata,"a",@progbits
	.p2align	6, 0x0
	.amdhsa_kernel _ZL9rope_normILb1ELb1E6__halfS0_EvPKT1_PT2_iiiiiiiiiiPKifff14rope_corr_dimsfPKfPKli
		.amdhsa_group_segment_fixed_size 0
		.amdhsa_private_segment_fixed_size 0
		.amdhsa_kernarg_size 368
		.amdhsa_user_sgpr_count 2
		.amdhsa_user_sgpr_dispatch_ptr 0
		.amdhsa_user_sgpr_queue_ptr 0
		.amdhsa_user_sgpr_kernarg_segment_ptr 1
		.amdhsa_user_sgpr_dispatch_id 0
		.amdhsa_user_sgpr_kernarg_preload_length 0
		.amdhsa_user_sgpr_kernarg_preload_offset 0
		.amdhsa_user_sgpr_private_segment_size 0
		.amdhsa_wavefront_size32 1
		.amdhsa_uses_dynamic_stack 0
		.amdhsa_enable_private_segment 0
		.amdhsa_system_sgpr_workgroup_id_x 1
		.amdhsa_system_sgpr_workgroup_id_y 1
		.amdhsa_system_sgpr_workgroup_id_z 0
		.amdhsa_system_sgpr_workgroup_info 0
		.amdhsa_system_vgpr_workitem_id 1
		.amdhsa_next_free_vgpr 28
		.amdhsa_next_free_sgpr 20
		.amdhsa_named_barrier_count 0
		.amdhsa_reserve_vcc 1
		.amdhsa_float_round_mode_32 0
		.amdhsa_float_round_mode_16_64 0
		.amdhsa_float_denorm_mode_32 3
		.amdhsa_float_denorm_mode_16_64 3
		.amdhsa_fp16_overflow 0
		.amdhsa_memory_ordered 1
		.amdhsa_forward_progress 1
		.amdhsa_inst_pref_size 38
		.amdhsa_round_robin_scheduling 0
		.amdhsa_exception_fp_ieee_invalid_op 0
		.amdhsa_exception_fp_denorm_src 0
		.amdhsa_exception_fp_ieee_div_zero 0
		.amdhsa_exception_fp_ieee_overflow 0
		.amdhsa_exception_fp_ieee_underflow 0
		.amdhsa_exception_fp_ieee_inexact 0
		.amdhsa_exception_int_div_zero 0
	.end_amdhsa_kernel
	.section	.text._ZL9rope_normILb1ELb1E6__halfS0_EvPKT1_PT2_iiiiiiiiiiPKifff14rope_corr_dimsfPKfPKli,"axG",@progbits,_ZL9rope_normILb1ELb1E6__halfS0_EvPKT1_PT2_iiiiiiiiiiPKifff14rope_corr_dimsfPKfPKli,comdat
.Lfunc_end19:
	.size	_ZL9rope_normILb1ELb1E6__halfS0_EvPKT1_PT2_iiiiiiiiiiPKifff14rope_corr_dimsfPKfPKli, .Lfunc_end19-_ZL9rope_normILb1ELb1E6__halfS0_EvPKT1_PT2_iiiiiiiiiiPKifff14rope_corr_dimsfPKfPKli
                                        ; -- End function
	.set _ZL9rope_normILb1ELb1E6__halfS0_EvPKT1_PT2_iiiiiiiiiiPKifff14rope_corr_dimsfPKfPKli.num_vgpr, 28
	.set _ZL9rope_normILb1ELb1E6__halfS0_EvPKT1_PT2_iiiiiiiiiiPKifff14rope_corr_dimsfPKfPKli.num_agpr, 0
	.set _ZL9rope_normILb1ELb1E6__halfS0_EvPKT1_PT2_iiiiiiiiiiPKifff14rope_corr_dimsfPKfPKli.numbered_sgpr, 20
	.set _ZL9rope_normILb1ELb1E6__halfS0_EvPKT1_PT2_iiiiiiiiiiPKifff14rope_corr_dimsfPKfPKli.num_named_barrier, 0
	.set _ZL9rope_normILb1ELb1E6__halfS0_EvPKT1_PT2_iiiiiiiiiiPKifff14rope_corr_dimsfPKfPKli.private_seg_size, 0
	.set _ZL9rope_normILb1ELb1E6__halfS0_EvPKT1_PT2_iiiiiiiiiiPKifff14rope_corr_dimsfPKfPKli.uses_vcc, 1
	.set _ZL9rope_normILb1ELb1E6__halfS0_EvPKT1_PT2_iiiiiiiiiiPKifff14rope_corr_dimsfPKfPKli.uses_flat_scratch, 0
	.set _ZL9rope_normILb1ELb1E6__halfS0_EvPKT1_PT2_iiiiiiiiiiPKifff14rope_corr_dimsfPKfPKli.has_dyn_sized_stack, 0
	.set _ZL9rope_normILb1ELb1E6__halfS0_EvPKT1_PT2_iiiiiiiiiiPKifff14rope_corr_dimsfPKfPKli.has_recursion, 0
	.set _ZL9rope_normILb1ELb1E6__halfS0_EvPKT1_PT2_iiiiiiiiiiPKifff14rope_corr_dimsfPKfPKli.has_indirect_call, 0
	.section	.AMDGPU.csdata,"",@progbits
; Kernel info:
; codeLenInByte = 4788
; TotalNumSgprs: 22
; NumVgprs: 28
; ScratchSize: 0
; MemoryBound: 0
; FloatMode: 240
; IeeeMode: 1
; LDSByteSize: 0 bytes/workgroup (compile time only)
; SGPRBlocks: 0
; VGPRBlocks: 1
; NumSGPRsForWavesPerEU: 22
; NumVGPRsForWavesPerEU: 28
; NamedBarCnt: 0
; Occupancy: 16
; WaveLimiterHint : 0
; COMPUTE_PGM_RSRC2:SCRATCH_EN: 0
; COMPUTE_PGM_RSRC2:USER_SGPR: 2
; COMPUTE_PGM_RSRC2:TRAP_HANDLER: 0
; COMPUTE_PGM_RSRC2:TGID_X_EN: 1
; COMPUTE_PGM_RSRC2:TGID_Y_EN: 1
; COMPUTE_PGM_RSRC2:TGID_Z_EN: 0
; COMPUTE_PGM_RSRC2:TIDIG_COMP_CNT: 1
	.section	.text._ZL9rope_neoxILb0ELb0EffEvPKT1_PT2_iiiiiiiiiiPKifff14rope_corr_dimsfPKfPKli,"axG",@progbits,_ZL9rope_neoxILb0ELb0EffEvPKT1_PT2_iiiiiiiiiiPKifff14rope_corr_dimsfPKfPKli,comdat
	.globl	_ZL9rope_neoxILb0ELb0EffEvPKT1_PT2_iiiiiiiiiiPKifff14rope_corr_dimsfPKfPKli ; -- Begin function _ZL9rope_neoxILb0ELb0EffEvPKT1_PT2_iiiiiiiiiiPKifff14rope_corr_dimsfPKfPKli
	.p2align	8
	.type	_ZL9rope_neoxILb0ELb0EffEvPKT1_PT2_iiiiiiiiiiPKifff14rope_corr_dimsfPKfPKli,@function
_ZL9rope_neoxILb0ELb0EffEvPKT1_PT2_iiiiiiiiiiPKifff14rope_corr_dimsfPKfPKli: ; @_ZL9rope_neoxILb0ELb0EffEvPKT1_PT2_iiiiiiiiiiPKifff14rope_corr_dimsfPKfPKli
; %bb.0:
	s_clause 0x1
	s_load_u16 s3, s[0:1], 0x7e
	s_load_b256 s[4:11], s[0:1], 0x10
	s_bfe_u32 s2, ttmp6, 0x40010
	s_bfe_u32 s13, ttmp6, 0x40004
	s_add_co_i32 s2, s2, 1
	v_bfe_u32 v1, v0, 10, 10
	s_mul_i32 s12, ttmp7, s2
	s_getreg_b32 s2, hwreg(HW_REG_IB_STS2, 6, 4)
	s_add_co_i32 s13, s13, s12
	s_cmp_eq_u32 s2, 0
	s_cselect_b32 s12, ttmp7, s13
	s_wait_kmcnt 0x0
	s_mul_i32 s12, s12, s3
	s_mov_b32 s3, exec_lo
	v_add_lshl_u32 v3, s12, v1, 1
	s_delay_alu instid0(VALU_DEP_1)
	v_cmpx_gt_i32_e64 s4, v3
	s_cbranch_execz .LBB20_19
; %bb.1:
	s_add_nc_u64 s[12:13], s[0:1], 0x70
	s_bfe_u32 s4, ttmp6, 0x4000c
	s_load_b32 s3, s[12:13], 0xc
	s_add_co_i32 s4, s4, 1
	s_wait_xcnt 0x0
	s_and_b32 s12, ttmp6, 15
	s_mul_i32 s4, ttmp9, s4
	v_and_b32_e32 v0, 0x3ff, v0
	s_add_co_i32 s12, s12, s4
	s_load_b64 s[16:17], s[0:1], 0x30
	s_wait_kmcnt 0x0
	s_and_b32 s3, s3, 0xffff
	s_cmp_eq_u32 s2, 0
	s_mul_i32 s2, s6, s5
	s_cselect_b32 s4, ttmp9, s12
	s_abs_i32 s6, s2
	v_mad_u32 v2, s4, s3, v0
	s_cvt_f32_u32 s12, s6
	s_sub_co_i32 s4, 0, s6
	s_delay_alu instid0(SALU_CYCLE_2) | instskip(NEXT) | instid1(VALU_DEP_1)
	v_rcp_iflag_f32_e32 v1, s12
	v_sub_nc_u32_e32 v0, 0, v2
	s_delay_alu instid0(TRANS32_DEP_1) | instskip(NEXT) | instid1(VALU_DEP_2)
	v_readfirstlane_b32 s3, v1
	v_max_i32_e32 v0, v2, v0
	s_mul_f32 s3, s3, 0x4f7ffffe
	s_delay_alu instid0(SALU_CYCLE_3) | instskip(NEXT) | instid1(SALU_CYCLE_3)
	s_cvt_u32_f32 s3, s3
	s_mul_i32 s4, s4, s3
	s_delay_alu instid0(SALU_CYCLE_1) | instskip(NEXT) | instid1(SALU_CYCLE_1)
	s_mul_hi_u32 s4, s3, s4
	s_add_co_i32 s3, s3, s4
	s_delay_alu instid0(SALU_CYCLE_1) | instskip(SKIP_1) | instid1(VALU_DEP_1)
	v_mul_hi_u32 v1, v0, s3
	s_cvt_f32_u32 s3, s5
	v_mul_lo_u32 v4, v1, s6
	s_delay_alu instid0(VALU_DEP_1) | instskip(NEXT) | instid1(VALU_DEP_1)
	v_dual_sub_nc_u32 v0, v0, v4 :: v_dual_add_nc_u32 v4, 1, v1
	v_cmp_le_u32_e32 vcc_lo, s6, v0
	s_delay_alu instid0(VALU_DEP_2) | instskip(SKIP_1) | instid1(VALU_DEP_1)
	v_cndmask_b32_e32 v1, v1, v4, vcc_lo
	v_subrev_nc_u32_e32 v5, s6, v0
	v_dual_cndmask_b32 v0, v0, v5, vcc_lo :: v_dual_bitop2_b32 v4, s2, v2 bitop3:0x14
	s_delay_alu instid0(VALU_DEP_3) | instskip(NEXT) | instid1(VALU_DEP_2)
	v_add_nc_u32_e32 v5, 1, v1
	v_cmp_le_u32_e32 vcc_lo, s6, v0
	s_delay_alu instid0(VALU_DEP_2) | instskip(SKIP_1) | instid1(VALU_DEP_1)
	v_dual_ashrrev_i32 v4, 31, v4 :: v_dual_cndmask_b32 v0, v1, v5, vcc_lo
	v_rcp_iflag_f32_e32 v1, s3
	v_xor_b32_e32 v0, v0, v4
	s_delay_alu instid0(TRANS32_DEP_1) | instskip(NEXT) | instid1(VALU_DEP_2)
	v_readfirstlane_b32 s3, v1
	v_sub_nc_u32_e32 v0, v0, v4
	s_delay_alu instid0(VALU_DEP_1) | instskip(SKIP_2) | instid1(SALU_CYCLE_2)
	v_mul_lo_u32 v1, s2, v0
	s_mul_f32 s2, s3, 0x4f7ffffe
	s_sub_co_i32 s3, 0, s5
	s_cvt_u32_f32 s2, s2
	s_delay_alu instid0(SALU_CYCLE_3) | instskip(NEXT) | instid1(VALU_DEP_1)
	s_mul_i32 s3, s3, s2
	v_sub_nc_u32_e32 v2, v2, v1
	s_mul_hi_u32 s3, s2, s3
	s_delay_alu instid0(SALU_CYCLE_1)
	s_add_co_i32 s2, s2, s3
	s_delay_alu instid0(VALU_DEP_1) | instid1(SALU_CYCLE_1)
	v_mul_hi_u32 v1, v2, s2
	s_load_b32 s2, s[0:1], 0x68
	s_delay_alu instid0(VALU_DEP_1) | instskip(SKIP_2) | instid1(VALU_DEP_1)
	v_mul_lo_u32 v4, v1, s5
	s_wait_kmcnt 0x0
	s_cmp_eq_u32 s2, 0
	v_sub_nc_u32_e32 v4, v2, v4
	s_delay_alu instid0(VALU_DEP_1) | instskip(SKIP_1) | instid1(VALU_DEP_2)
	v_subrev_nc_u32_e32 v6, s5, v4
	v_cmp_le_u32_e32 vcc_lo, s5, v4
	v_dual_cndmask_b32 v4, v4, v6 :: v_dual_add_nc_u32 v5, 1, v1
	s_delay_alu instid0(VALU_DEP_1) | instskip(NEXT) | instid1(VALU_DEP_2)
	v_cndmask_b32_e32 v1, v1, v5, vcc_lo
	v_cmp_le_u32_e32 vcc_lo, s5, v4
	s_delay_alu instid0(VALU_DEP_2) | instskip(NEXT) | instid1(VALU_DEP_1)
	v_add_nc_u32_e32 v5, 1, v1
	v_cndmask_b32_e32 v4, v1, v5, vcc_lo
	s_cbranch_scc1 .LBB20_3
; %bb.2:
	s_load_b64 s[12:13], s[0:1], 0x60
	v_mov_b32_e32 v5, 0
	s_wait_kmcnt 0x0
	s_delay_alu instid0(VALU_DEP_1)
	v_lshl_add_u64 v[6:7], v[4:5], 3, s[12:13]
	global_load_b32 v1, v[6:7], off
	s_wait_loadcnt 0x0
	v_mul_lo_u32 v5, s2, v1
	s_branch .LBB20_4
.LBB20_3:
	v_mul_lo_u32 v1, v0, s16
	s_delay_alu instid0(VALU_DEP_1)
	v_mad_u32 v5, v4, s11, v1
.LBB20_4:
	v_mul_lo_u32 v6, v4, s5
	v_ashrrev_i32_e32 v1, 1, v3
	s_load_b128 s[12:15], s[0:1], 0x0
	s_mov_b32 s2, exec_lo
	s_delay_alu instid0(VALU_DEP_2) | instskip(NEXT) | instid1(VALU_DEP_2)
	v_sub_nc_u32_e32 v2, v2, v6
	v_mad_u32 v0, v0, s9, v1
	s_delay_alu instid0(VALU_DEP_2) | instskip(NEXT) | instid1(VALU_DEP_2)
	v_mul_lo_u32 v6, v2, s10
	v_mad_u32 v0, v4, s8, v0
	s_delay_alu instid0(VALU_DEP_1) | instskip(NEXT) | instid1(VALU_DEP_3)
	v_mad_u32 v2, v2, s7, v0
	v_add3_u32 v0, v6, v1, v5
	v_cmpx_le_i32_e64 s17, v3
	s_xor_b32 s2, exec_lo, s2
	s_cbranch_execz .LBB20_6
; %bb.5:
	s_delay_alu instid0(VALU_DEP_2)
	v_dual_add_nc_u32 v2, v2, v1 :: v_dual_add_nc_u32 v0, v0, v1
                                        ; implicit-def: $vgpr4
	s_wait_kmcnt 0x0
	global_load_b32 v3, v2, s[12:13] scale_offset
	s_wait_loadcnt 0x0
	global_store_b32 v0, v3, s[14:15] scale_offset
	global_load_b32 v1, v2, s[12:13] offset:4 scale_offset
                                        ; implicit-def: $vgpr2
                                        ; implicit-def: $vgpr3
	s_wait_loadcnt 0x0
	global_store_b32 v0, v1, s[14:15] offset:4 scale_offset
                                        ; implicit-def: $vgpr0
                                        ; implicit-def: $vgpr1
.LBB20_6:
	s_wait_xcnt 0x0
	s_and_not1_saveexec_b32 s2, s2
	s_cbranch_execz .LBB20_19
; %bb.7:
	s_load_b64 s[6:7], s[0:1], 0x50
	v_cvt_f32_i32_e32 v3, v3
	s_mov_b32 s4, 0x3e76c4e1
	s_clause 0x1
	s_load_b64 s[2:3], s[0:1], 0x38
	s_load_b128 s[8:11], s[0:1], 0x40
	v_mul_f32_e32 v3, 0.5, v3
	s_wait_kmcnt 0x0
	s_cmp_neq_f32 s7, 1.0
	global_load_b32 v22, v4, s[2:3] scale_offset
	s_cselect_b32 vcc_lo, -1, 0
	v_cndmask_b32_e32 v5, 1.0, v3, vcc_lo
	s_delay_alu instid0(VALU_DEP_1) | instskip(SKIP_1) | instid1(VALU_DEP_1)
	v_cmp_neq_f32_e32 vcc_lo, 0, v5
	v_cndmask_b32_e64 v3, 1.0, s7, vcc_lo
	v_frexp_mant_f32_e64 v6, |v3|
	v_cmp_lt_f32_e64 s7, |v3|, 1.0
	v_cmp_class_f32_e64 s0, v3, 0x204
	s_delay_alu instid0(VALU_DEP_3) | instskip(SKIP_1) | instid1(VALU_DEP_1)
	v_cmp_gt_f32_e32 vcc_lo, 0x3f2aaaab, v6
	v_cndmask_b32_e64 v7, 1.0, 2.0, vcc_lo
	v_mul_f32_e32 v6, v6, v7
	s_delay_alu instid0(VALU_DEP_1) | instskip(SKIP_1) | instid1(VALU_DEP_2)
	v_dual_add_f32 v9, 1.0, v6 :: v_dual_add_f32 v7, -1.0, v6
	v_cmp_neq_f32_e64 s5, v5, |v5|
	v_rcp_f32_e32 v12, v9
	v_add_f32_e32 v10, -1.0, v9
	s_xor_b32 s5, s5, s7
	s_delay_alu instid0(TRANS32_DEP_1) | instid1(VALU_DEP_1)
	v_dual_mul_f32 v13, v7, v12 :: v_dual_sub_f32 v6, v6, v10
	s_delay_alu instid0(VALU_DEP_1) | instskip(NEXT) | instid1(VALU_DEP_1)
	v_mul_f32_e32 v8, v9, v13
	v_fma_f32 v10, v13, v9, -v8
	s_delay_alu instid0(VALU_DEP_1) | instskip(NEXT) | instid1(VALU_DEP_1)
	v_fmac_f32_e32 v10, v13, v6
	v_add_f32_e32 v6, v8, v10
	s_delay_alu instid0(VALU_DEP_1) | instskip(NEXT) | instid1(VALU_DEP_1)
	v_dual_sub_f32 v9, v7, v6 :: v_dual_mov_b32 v11, v6
	v_pk_add_f32 v[6:7], v[6:7], v[8:9] neg_lo:[0,1] neg_hi:[0,1]
	s_delay_alu instid0(VALU_DEP_1) | instskip(NEXT) | instid1(VALU_DEP_1)
	v_pk_add_f32 v[6:7], v[6:7], v[10:11] neg_lo:[0,1] neg_hi:[0,1]
	v_add_f32_e32 v6, v6, v7
	s_delay_alu instid0(VALU_DEP_1) | instskip(NEXT) | instid1(VALU_DEP_1)
	v_add_f32_e32 v6, v9, v6
	v_mul_f32_e32 v7, v12, v6
	s_delay_alu instid0(VALU_DEP_1) | instskip(NEXT) | instid1(VALU_DEP_1)
	v_add_f32_e32 v6, v13, v7
	v_sub_f32_e32 v8, v6, v13
	s_delay_alu instid0(VALU_DEP_1) | instskip(NEXT) | instid1(VALU_DEP_1)
	v_sub_f32_e32 v18, v7, v8
	v_add_f32_e32 v8, v18, v18
	v_mul_f32_e32 v9, v6, v6
	s_delay_alu instid0(VALU_DEP_1) | instskip(NEXT) | instid1(VALU_DEP_1)
	v_fma_f32 v7, v6, v6, -v9
	v_fmac_f32_e32 v7, v6, v8
	s_delay_alu instid0(VALU_DEP_1) | instskip(NEXT) | instid1(VALU_DEP_1)
	v_add_f32_e32 v8, v9, v7
	v_dual_fmaak_f32 v10, s4, v8, 0x3e91f4c4 :: v_dual_sub_f32 v9, v8, v9
	v_cmp_eq_f32_e64 s4, 0, v3
	s_delay_alu instid0(VALU_DEP_2) | instskip(SKIP_1) | instid1(VALU_DEP_2)
	v_fmaak_f32 v12, v8, v10, 0x3ecccdef
	v_cvt_f64_f32_e64 v[10:11], |v3|
	v_dual_sub_f32 v16, v7, v9 :: v_dual_mul_f32 v13, v8, v12
	s_delay_alu instid0(VALU_DEP_1) | instskip(NEXT) | instid1(VALU_DEP_1)
	v_fma_f32 v7, v8, v12, -v13
	v_fmac_f32_e32 v7, v16, v12
	s_wait_xcnt 0x0
	s_delay_alu instid0(VALU_DEP_1) | instskip(NEXT) | instid1(VALU_DEP_1)
	v_add_f32_e32 v4, v13, v7
	v_sub_f32_e32 v9, v4, v13
	v_add_f32_e32 v13, 0x3f2aaaaa, v4
	s_delay_alu instid0(VALU_DEP_2) | instskip(NEXT) | instid1(VALU_DEP_2)
	v_sub_f32_e32 v7, v7, v9
	v_add_f32_e32 v9, 0xbf2aaaaa, v13
	v_frexp_exp_i32_f64_e32 v17, v[10:11]
	s_delay_alu instid0(VALU_DEP_3) | instskip(NEXT) | instid1(VALU_DEP_3)
	v_add_f32_e32 v7, 0x31739010, v7
	v_sub_f32_e32 v9, v4, v9
	s_delay_alu instid0(VALU_DEP_1) | instskip(NEXT) | instid1(VALU_DEP_1)
	v_pk_mul_f32 v[10:11], v[6:7], v[8:9]
	v_fma_f32 v12, v8, v6, -v10
	s_delay_alu instid0(VALU_DEP_1) | instskip(NEXT) | instid1(VALU_DEP_1)
	v_fmac_f32_e32 v12, v8, v18
	v_fmac_f32_e32 v12, v16, v6
	v_pk_add_f32 v[14:15], v[6:7], v[8:9]
	s_delay_alu instid0(VALU_DEP_1) | instskip(SKIP_1) | instid1(VALU_DEP_2)
	v_mov_b32_e32 v11, v15
	v_subrev_co_ci_u32_e64 v7, null, 0, v17, vcc_lo
	v_pk_add_f32 v[8:9], v[10:11], v[12:13]
	s_delay_alu instid0(VALU_DEP_1) | instskip(NEXT) | instid1(VALU_DEP_1)
	v_mov_b32_e32 v4, v9
	v_pk_mul_f32 v[16:17], v[8:9], v[4:5]
	v_sub_f32_e32 v11, v13, v9
	v_cvt_f32_i32_e32 v4, v7
	s_delay_alu instid0(VALU_DEP_3) | instskip(NEXT) | instid1(VALU_DEP_2)
	v_dual_sub_f32 v7, v8, v10 :: v_dual_fma_f32 v10, v8, v9, -v16
	v_dual_add_f32 v11, v15, v11 :: v_dual_mul_f32 v14, 0x3f317218, v4
	s_delay_alu instid0(VALU_DEP_2) | instskip(NEXT) | instid1(VALU_DEP_2)
	v_sub_f32_e32 v7, v12, v7
	v_fmac_f32_e32 v10, v8, v11
	s_delay_alu instid0(VALU_DEP_3) | instskip(NEXT) | instid1(VALU_DEP_2)
	v_fma_f32 v8, 0x3f317218, v4, -v14
	v_fmac_f32_e32 v10, v7, v9
	v_ldexp_f32 v9, v6, 1
	s_delay_alu instid0(VALU_DEP_2) | instskip(NEXT) | instid1(VALU_DEP_2)
	v_add_f32_e32 v15, v16, v10
	v_dual_fmamk_f32 v8, v4, 0xb102e308, v8 :: v_dual_mov_b32 v17, v9
	v_ldexp_f32 v4, v18, 1
	s_delay_alu instid0(VALU_DEP_3) | instskip(NEXT) | instid1(VALU_DEP_3)
	v_mov_b32_e32 v11, v15
	v_pk_add_f32 v[6:7], v[14:15], v[8:9]
	s_delay_alu instid0(VALU_DEP_1) | instskip(SKIP_1) | instid1(VALU_DEP_1)
	v_dual_mov_b32 v13, v7 :: v_dual_mov_b32 v9, v6
	v_dual_mov_b32 v12, v15 :: v_dual_mov_b32 v20, v7
	v_pk_add_f32 v[12:13], v[12:13], v[16:17] neg_lo:[0,1] neg_hi:[0,1]
	s_delay_alu instid0(VALU_DEP_1) | instskip(NEXT) | instid1(VALU_DEP_1)
	v_pk_add_f32 v[10:11], v[10:11], v[12:13] neg_lo:[0,1] neg_hi:[0,1]
	v_add_f32_e32 v4, v4, v10
	s_delay_alu instid0(VALU_DEP_1) | instskip(NEXT) | instid1(VALU_DEP_1)
	v_add_f32_e32 v15, v4, v11
	v_pk_add_f32 v[10:11], v[6:7], v[14:15]
	v_pk_add_f32 v[12:13], v[6:7], v[14:15] neg_lo:[0,1] neg_hi:[0,1]
	s_delay_alu instid0(VALU_DEP_2) | instskip(NEXT) | instid1(VALU_DEP_1)
	v_mov_b32_e32 v13, v11
	v_pk_add_f32 v[16:17], v[8:9], v[12:13]
	v_pk_add_f32 v[8:9], v[8:9], v[12:13] neg_lo:[0,1] neg_hi:[0,1]
	s_delay_alu instid0(VALU_DEP_2) | instskip(NEXT) | instid1(VALU_DEP_1)
	v_dual_mov_b32 v4, v17 :: v_dual_mov_b32 v9, v17
	v_pk_add_f32 v[18:19], v[4:5], v[6:7] neg_lo:[0,1] neg_hi:[0,1]
	v_dual_mov_b32 v16, v11 :: v_dual_mov_b32 v7, v6
	s_delay_alu instid0(VALU_DEP_2) | instskip(SKIP_1) | instid1(VALU_DEP_2)
	v_dual_mov_b32 v6, v15 :: v_dual_mov_b32 v21, v18
	v_mov_b32_e32 v15, v18
	v_pk_add_f32 v[12:13], v[16:17], v[20:21] neg_lo:[0,1] neg_hi:[0,1]
	s_delay_alu instid0(VALU_DEP_2) | instskip(SKIP_1) | instid1(VALU_DEP_3)
	v_pk_add_f32 v[10:11], v[10:11], v[14:15] neg_lo:[0,1] neg_hi:[0,1]
	v_mov_b32_e32 v10, v8
	v_pk_add_f32 v[6:7], v[6:7], v[12:13] neg_lo:[0,1] neg_hi:[0,1]
	s_delay_alu instid0(VALU_DEP_1) | instskip(NEXT) | instid1(VALU_DEP_1)
	v_pk_add_f32 v[10:11], v[10:11], v[6:7]
	v_mov_b32_e32 v12, v11
	s_delay_alu instid0(VALU_DEP_1) | instskip(NEXT) | instid1(VALU_DEP_1)
	v_pk_add_f32 v[12:13], v[10:11], v[12:13]
	v_pk_add_f32 v[14:15], v[4:5], v[12:13]
	s_delay_alu instid0(VALU_DEP_1) | instskip(NEXT) | instid1(VALU_DEP_1)
	v_dual_mov_b32 v7, v12 :: v_dual_mov_b32 v11, v14
	v_pk_add_f32 v[16:17], v[10:11], v[8:9] neg_lo:[0,1] neg_hi:[0,1]
	s_delay_alu instid0(VALU_DEP_1) | instskip(NEXT) | instid1(VALU_DEP_2)
	v_sub_f32_e32 v4, v10, v16
	v_pk_add_f32 v[6:7], v[6:7], v[16:17] neg_lo:[0,1] neg_hi:[0,1]
	s_delay_alu instid0(VALU_DEP_2) | instskip(NEXT) | instid1(VALU_DEP_1)
	v_sub_f32_e32 v4, v8, v4
	v_add_f32_e32 v4, v6, v4
	s_delay_alu instid0(VALU_DEP_1) | instskip(NEXT) | instid1(VALU_DEP_1)
	v_add_f32_e32 v4, v4, v7
	v_add_f32_e32 v6, v14, v4
	s_delay_alu instid0(VALU_DEP_1) | instskip(NEXT) | instid1(VALU_DEP_1)
	v_sub_f32_e32 v7, v6, v14
	v_dual_sub_f32 v4, v4, v7 :: v_dual_mul_f32 v8, v5, v6
	s_delay_alu instid0(VALU_DEP_1) | instskip(SKIP_1) | instid1(VALU_DEP_2)
	v_fma_f32 v6, v5, v6, -v8
	v_cmp_class_f32_e64 vcc_lo, v8, 0x204
	v_fmac_f32_e32 v6, v5, v4
	s_delay_alu instid0(VALU_DEP_1) | instskip(NEXT) | instid1(VALU_DEP_1)
	v_add_f32_e32 v4, v8, v6
	v_cndmask_b32_e32 v7, v4, v8, vcc_lo
	s_delay_alu instid0(VALU_DEP_1) | instskip(SKIP_1) | instid1(VALU_DEP_1)
	v_cmp_eq_f32_e32 vcc_lo, 0x42b17218, v7
	v_cndmask_b32_e64 v9, 0, 0x37000000, vcc_lo
	v_sub_f32_e32 v10, v7, v9
	s_delay_alu instid0(VALU_DEP_1) | instskip(NEXT) | instid1(VALU_DEP_1)
	v_mul_f32_e32 v11, 0x3fb8aa3b, v10
	v_fma_f32 v12, 0x3fb8aa3b, v10, -v11
	v_rndne_f32_e32 v13, v11
	s_delay_alu instid0(VALU_DEP_1) | instskip(SKIP_3) | instid1(VALU_DEP_4)
	v_dual_fmamk_f32 v12, v10, 0x32a5705f, v12 :: v_dual_sub_f32 v11, v11, v13
	v_sub_f32_e32 v4, v4, v8
	v_cmp_neq_f32_e64 vcc_lo, 0x7f800000, |v7|
	v_trunc_f32_e32 v7, v5
	v_add_f32_e32 v11, v11, v12
	s_delay_alu instid0(VALU_DEP_4) | instskip(NEXT) | instid1(VALU_DEP_2)
	v_sub_f32_e32 v4, v6, v4
	v_exp_f32_e32 v8, v11
	v_nop
	v_cvt_i32_f32_e32 v11, v13
	s_delay_alu instid0(VALU_DEP_3)
	v_cndmask_b32_e32 v4, 0, v4, vcc_lo
	v_cmp_ngt_f32_e32 vcc_lo, 0xc2ce8ed0, v10
	s_delay_alu instid0(TRANS32_DEP_1) | instid1(VALU_DEP_3)
	v_ldexp_f32 v6, v8, v11
	s_delay_alu instid0(VALU_DEP_1) | instskip(NEXT) | instid1(VALU_DEP_1)
	v_dual_mul_f32 v8, 0.5, v5 :: v_dual_cndmask_b32 v6, 0, v6, vcc_lo
	v_trunc_f32_e32 v11, v8
	v_cmp_nlt_f32_e32 vcc_lo, 0x42b17218, v10
	s_delay_alu instid0(VALU_DEP_2) | instskip(NEXT) | instid1(VALU_DEP_4)
	v_cmp_neq_f32_e64 s2, v11, v8
	v_cndmask_b32_e32 v6, 0x7f800000, v6, vcc_lo
	v_cmp_eq_f32_e32 vcc_lo, v7, v5
	s_delay_alu instid0(VALU_DEP_2) | instskip(SKIP_1) | instid1(SALU_CYCLE_1)
	v_cmp_class_f32_e64 s3, v6, 0x204
	s_and_b32 s2, vcc_lo, s2
	v_dual_add_f32 v4, v9, v4 :: v_dual_cndmask_b32 v9, 0, v3, s2
	s_delay_alu instid0(VALU_DEP_1) | instskip(NEXT) | instid1(VALU_DEP_1)
	v_dual_cndmask_b32 v7, 1.0, v3, s2 :: v_dual_fma_f32 v4, v6, v4, v6
	v_cndmask_b32_e64 v4, v4, v6, s3
	v_cndmask_b32_e64 v6, 0x7f800000, 0, s5
	v_cmp_gt_f32_e64 s3, 0, v5
	s_delay_alu instid0(VALU_DEP_3) | instskip(SKIP_1) | instid1(SALU_CYCLE_1)
	v_bfi_b32 v4, 0x7fffffff, v4, v7
	s_xor_b32 s3, s3, s4
	v_cndmask_b32_e64 v7, 0x7f800000, 0, s3
	s_delay_alu instid0(VALU_DEP_2) | instskip(SKIP_1) | instid1(VALU_DEP_3)
	v_cndmask_b32_e32 v8, 0x7fc00000, v4, vcc_lo
	v_cmp_neq_f32_e64 vcc_lo, |v3|, 1.0
	v_bfi_b32 v7, 0x7fffffff, v7, v9
	v_cndmask_b32_e32 v6, 1.0, v6, vcc_lo
	v_cmp_gt_f32_e32 vcc_lo, 0, v3
	v_cndmask_b32_e32 v4, v4, v8, vcc_lo
	v_cmp_class_f32_e64 vcc_lo, v5, 0x204
	s_wait_loadcnt 0x0
	v_cvt_f32_i32_e32 v5, v22
	s_delay_alu instid0(VALU_DEP_3) | instskip(SKIP_2) | instid1(VALU_DEP_1)
	v_cndmask_b32_e32 v4, v4, v6, vcc_lo
	s_or_b32 vcc_lo, s4, s0
	s_cmp_eq_f32 s9, 0
	v_cndmask_b32_e32 v4, v4, v7, vcc_lo
	v_cmp_o_f32_e32 vcc_lo, v3, v3
	s_delay_alu instid0(VALU_DEP_2) | instskip(NEXT) | instid1(VALU_DEP_1)
	v_cndmask_b32_e32 v3, 0x7fc00000, v4, vcc_lo
	v_mul_f32_e32 v4, v3, v5
	s_delay_alu instid0(VALU_DEP_1)
	v_mul_f32_e32 v5, s8, v4
	s_cbranch_scc1 .LBB20_9
; %bb.8:
	v_cvt_f32_i32_e32 v1, v1
	s_sub_f32 s0, s6, s11
	v_div_scale_f32 v6, null, s8, s8, 1.0
	s_delay_alu instid0(SALU_CYCLE_2) | instskip(SKIP_4) | instid1(VALU_DEP_3)
	s_max_num_f32 s1, s0, 0x3a83126f
	v_subrev_f32_e32 v1, s11, v1
	v_rcp_f32_e32 v8, v6
	v_nop
	v_xor_b32_e32 v6, 0x80000000, v6
	v_div_scale_f32 v3, null, s1, s1, v1
	s_delay_alu instid0(TRANS32_DEP_1) | instid1(VALU_DEP_2)
	v_fma_f32 v10, v6, v8, 1.0
	s_delay_alu instid0(VALU_DEP_2) | instskip(SKIP_1) | instid1(TRANS32_DEP_1)
	v_rcp_f32_e32 v7, v3
	v_nop
	v_fma_f32 v9, -v3, v7, 1.0
	s_delay_alu instid0(VALU_DEP_1) | instskip(SKIP_2) | instid1(VALU_DEP_2)
	v_fmac_f32_e32 v7, v9, v7
	v_div_scale_f32 v11, vcc_lo, v1, s1, v1
	v_div_scale_f32 v9, s0, 1.0, s8, 1.0
	v_dual_fmac_f32 v8, v10, v8 :: v_dual_mul_f32 v10, v11, v7
	s_delay_alu instid0(VALU_DEP_1) | instskip(NEXT) | instid1(VALU_DEP_1)
	v_dual_mul_f32 v12, v9, v8 :: v_dual_fma_f32 v13, -v3, v10, v11
	v_dual_fma_f32 v14, v6, v12, v9 :: v_dual_fmac_f32 v10, v13, v7
	s_delay_alu instid0(VALU_DEP_1) | instskip(NEXT) | instid1(VALU_DEP_1)
	v_dual_fmac_f32 v12, v14, v8 :: v_dual_fma_f32 v3, -v3, v10, v11
	v_fmac_f32_e32 v9, v6, v12
	s_delay_alu instid0(VALU_DEP_2) | instskip(SKIP_1) | instid1(VALU_DEP_2)
	v_div_fmas_f32 v3, v3, v7, v10
	s_mov_b32 vcc_lo, s0
	v_div_fmas_f32 v6, v9, v8, v12
	s_delay_alu instid0(VALU_DEP_2) | instskip(NEXT) | instid1(VALU_DEP_2)
	v_div_fixup_f32 v1, v3, s1, v1 clamp
	v_div_fixup_f32 v6, v6, s8, 1.0
	s_delay_alu instid0(VALU_DEP_1) | instskip(SKIP_2) | instid1(SALU_CYCLE_1)
	v_readfirstlane_b32 s0, v6
	s_cmp_lt_f32 s0, 0x800000
	s_cselect_b32 s0, 0x4f800000, 1.0
	v_mul_f32_e32 v6, s0, v6
	s_cselect_b32 s0, 0x41b17218, 0
	s_delay_alu instid0(VALU_DEP_1) | instskip(SKIP_1) | instid1(TRANS32_DEP_1)
	v_log_f32_e32 v6, v6
	v_nop
	v_and_b32_e32 v3, 0x7fffffff, v6
	s_delay_alu instid0(VALU_DEP_1) | instskip(SKIP_2) | instid1(VALU_DEP_1)
	v_cmp_gt_f32_e32 vcc_lo, 0x7f800000, v3
	v_sub_f32_e32 v1, 1.0, v1
	v_mul_f32_e32 v7, 0x3f317217, v6
	v_xor_b32_e32 v7, 0x80000000, v7
	s_delay_alu instid0(VALU_DEP_1) | instskip(NEXT) | instid1(VALU_DEP_1)
	v_fmac_f32_e32 v7, 0x3f317217, v6
	v_fmamk_f32 v7, v6, 0x3377d1cf, v7
	s_delay_alu instid0(VALU_DEP_1) | instskip(NEXT) | instid1(VALU_DEP_1)
	v_fmac_f32_e32 v7, 0x3f317217, v6
	v_dual_cndmask_b32 v3, v6, v7 :: v_dual_mul_f32 v6, s9, v1
	v_fma_f32 v7, -s9, v1, 1.0
	s_delay_alu instid0(VALU_DEP_2) | instskip(NEXT) | instid1(VALU_DEP_2)
	v_dual_mov_b32 v1, 1.0 :: v_dual_subrev_f32 v3, s0, v3
	v_pk_mul_f32 v[4:5], v[6:7], v[4:5]
	s_delay_alu instid0(VALU_DEP_2) | instskip(NEXT) | instid1(VALU_DEP_2)
	v_fmamk_f32 v1, v3, 0x3dcccccd, v1
	v_add_f32_e32 v5, v4, v5
	s_delay_alu instid0(VALU_DEP_2)
	v_mul_f32_e32 v6, s10, v1
	s_branch .LBB20_10
.LBB20_9:
	v_mov_b32_e32 v6, s10
.LBB20_10:
	s_delay_alu instid0(VALU_DEP_2) | instskip(SKIP_1) | instid1(VALU_DEP_2)
	v_and_b32_e32 v1, 0x7fffffff, v5
	v_cmp_ngt_f32_e64 s2, 0x48000000, |v5|
                                        ; implicit-def: $vgpr7
                                        ; implicit-def: $vgpr4
	v_lshrrev_b32_e32 v3, 23, v1
	s_and_saveexec_b32 s0, s2
	s_delay_alu instid0(SALU_CYCLE_1)
	s_xor_b32 s3, exec_lo, s0
	s_cbranch_execz .LBB20_12
; %bb.11:
	s_mov_b32 s0, 0x7fffff
	v_mov_b32_e32 v9, 0
	v_and_or_b32 v8, v1, s0, 0x800000
	s_mov_b64 s[0:1], 0xfe5163ab
	s_delay_alu instid0(VALU_DEP_1) | instid1(SALU_CYCLE_1)
	v_mul_u64_e32 v[10:11], s[0:1], v[8:9]
	s_delay_alu instid0(VALU_DEP_1) | instskip(SKIP_2) | instid1(VALU_DEP_3)
	v_dual_mov_b32 v12, v11 :: v_dual_mov_b32 v13, v9
	v_dual_mov_b32 v15, v9 :: v_dual_mov_b32 v17, v9
	;; [unrolled: 1-line block ×3, first 2 shown]
	v_mad_nc_u64_u32 v[12:13], 0x3c439041, v8, v[12:13]
	s_delay_alu instid0(VALU_DEP_1) | instskip(NEXT) | instid1(VALU_DEP_1)
	v_dual_mov_b32 v23, v9 :: v_dual_mov_b32 v14, v13
	v_mad_nc_u64_u32 v[14:15], 0xdb629599, v8, v[14:15]
	s_delay_alu instid0(VALU_DEP_1) | instskip(NEXT) | instid1(VALU_DEP_1)
	v_mov_b32_e32 v16, v15
	v_mad_nc_u64_u32 v[16:17], 0xf534ddc0, v8, v[16:17]
	s_delay_alu instid0(VALU_DEP_1) | instskip(NEXT) | instid1(VALU_DEP_1)
	v_mov_b32_e32 v18, v17
	;; [unrolled: 3-line block ×3, first 2 shown]
	v_mad_nc_u64_u32 v[20:21], 0x4e441529, v8, v[20:21]
	v_add_nc_u32_e32 v4, 0xffffff88, v3
	s_delay_alu instid0(VALU_DEP_1) | instskip(SKIP_1) | instid1(VALU_DEP_4)
	v_cmp_lt_u32_e32 vcc_lo, 63, v4
	v_cndmask_b32_e64 v7, 0, 0xffffffc0, vcc_lo
	v_dual_cndmask_b32 v11, v20, v16 :: v_dual_mov_b32 v22, v21
	s_delay_alu instid0(VALU_DEP_2) | instskip(NEXT) | instid1(VALU_DEP_2)
	v_dual_cndmask_b32 v13, v18, v14 :: v_dual_add_nc_u32 v4, v7, v4
	v_mad_nc_u64_u32 v[8:9], 0xa2f9836e, v8, v[22:23]
	s_delay_alu instid0(VALU_DEP_2) | instskip(NEXT) | instid1(VALU_DEP_1)
	v_cmp_lt_u32_e64 s0, 31, v4
	v_cndmask_b32_e64 v7, 0, 0xffffffe0, s0
	s_delay_alu instid0(VALU_DEP_3) | instskip(NEXT) | instid1(VALU_DEP_2)
	v_dual_cndmask_b32 v8, v8, v18 :: v_dual_cndmask_b32 v9, v9, v20
	v_add_nc_u32_e32 v4, v7, v4
	s_delay_alu instid0(VALU_DEP_1) | instskip(NEXT) | instid1(VALU_DEP_1)
	v_cmp_lt_u32_e64 s1, 31, v4
	v_cndmask_b32_e64 v7, 0, 0xffffffe0, s1
	s_delay_alu instid0(VALU_DEP_1) | instskip(SKIP_2) | instid1(VALU_DEP_3)
	v_add_nc_u32_e32 v4, v7, v4
	v_cndmask_b32_e32 v7, v16, v12, vcc_lo
	v_dual_cndmask_b32 v12, v8, v11, s0 :: v_dual_cndmask_b32 v8, v9, v8, s0
	v_dual_cndmask_b32 v9, v11, v13, s0 :: v_dual_sub_nc_u32 v11, 32, v4
	s_delay_alu instid0(VALU_DEP_2) | instskip(NEXT) | instid1(VALU_DEP_2)
	v_dual_cndmask_b32 v13, v13, v7, s0 :: v_dual_cndmask_b32 v8, v8, v12, s1
	v_cndmask_b32_e64 v12, v12, v9, s1
	s_delay_alu instid0(VALU_DEP_2) | instskip(NEXT) | instid1(VALU_DEP_2)
	v_cndmask_b32_e64 v9, v9, v13, s1
	v_alignbit_b32 v15, v8, v12, v11
	v_cndmask_b32_e32 v10, v14, v10, vcc_lo
	v_cmp_eq_u32_e32 vcc_lo, 0, v4
	s_delay_alu instid0(VALU_DEP_4) | instskip(NEXT) | instid1(VALU_DEP_4)
	v_alignbit_b32 v14, v12, v9, v11
	v_cndmask_b32_e32 v4, v15, v8, vcc_lo
	s_delay_alu instid0(VALU_DEP_2) | instskip(NEXT) | instid1(VALU_DEP_2)
	v_dual_cndmask_b32 v7, v7, v10, s0 :: v_dual_cndmask_b32 v8, v14, v12, vcc_lo
	v_bfe_u32 v10, v4, 29, 1
	s_delay_alu instid0(VALU_DEP_2) | instskip(NEXT) | instid1(VALU_DEP_3)
	v_cndmask_b32_e64 v7, v13, v7, s1
	v_alignbit_b32 v12, v4, v8, 30
	s_delay_alu instid0(VALU_DEP_3) | instskip(NEXT) | instid1(VALU_DEP_3)
	v_sub_nc_u32_e32 v13, 0, v10
	v_alignbit_b32 v11, v9, v7, v11
	s_delay_alu instid0(VALU_DEP_2) | instskip(NEXT) | instid1(VALU_DEP_2)
	v_xor_b32_e32 v12, v12, v13
	v_cndmask_b32_e32 v9, v11, v9, vcc_lo
	s_delay_alu instid0(VALU_DEP_2) | instskip(NEXT) | instid1(VALU_DEP_2)
	v_clz_i32_u32_e32 v11, v12
	v_alignbit_b32 v8, v8, v9, 30
	v_alignbit_b32 v7, v9, v7, 30
	s_delay_alu instid0(VALU_DEP_3) | instskip(NEXT) | instid1(VALU_DEP_3)
	v_min_u32_e32 v11, 32, v11
	v_xor_b32_e32 v8, v8, v13
	s_delay_alu instid0(VALU_DEP_3) | instskip(NEXT) | instid1(VALU_DEP_3)
	v_dual_lshrrev_b32 v13, 29, v4 :: v_dual_bitop2_b32 v7, v7, v13 bitop3:0x14
	v_dual_sub_nc_u32 v9, 31, v11 :: v_dual_lshlrev_b32 v14, 23, v11
	s_delay_alu instid0(VALU_DEP_1) | instskip(NEXT) | instid1(VALU_DEP_3)
	v_alignbit_b32 v12, v12, v8, v9
	v_alignbit_b32 v7, v8, v7, v9
	s_delay_alu instid0(VALU_DEP_4) | instskip(NEXT) | instid1(VALU_DEP_2)
	v_lshlrev_b32_e32 v8, 31, v13
	v_alignbit_b32 v9, v12, v7, 9
	s_delay_alu instid0(VALU_DEP_2) | instskip(SKIP_2) | instid1(VALU_DEP_4)
	v_or_b32_e32 v13, 0.5, v8
	v_lshrrev_b32_e32 v12, 9, v12
	v_or_b32_e32 v8, 0x33000000, v8
	v_clz_i32_u32_e32 v15, v9
	s_delay_alu instid0(VALU_DEP_4) | instskip(NEXT) | instid1(VALU_DEP_2)
	v_sub_nc_u32_e32 v13, v13, v14
	v_min_u32_e32 v14, 32, v15
	s_delay_alu instid0(VALU_DEP_2) | instskip(NEXT) | instid1(VALU_DEP_2)
	v_or_b32_e32 v12, v12, v13
	v_not_b32_e32 v13, v14
	v_add_lshl_u32 v11, v14, v11, 23
	s_delay_alu instid0(VALU_DEP_2) | instskip(NEXT) | instid1(VALU_DEP_2)
	v_alignbit_b32 v7, v9, v7, v13
	v_sub_nc_u32_e32 v8, v8, v11
	s_delay_alu instid0(VALU_DEP_2) | instskip(SKIP_1) | instid1(VALU_DEP_2)
	v_lshrrev_b32_e32 v7, 9, v7
	v_mul_f32_e32 v15, 0x3fc90fda, v12
	v_or_b32_e32 v7, v8, v7
	s_delay_alu instid0(VALU_DEP_2) | instskip(NEXT) | instid1(VALU_DEP_1)
	v_fma_f32 v9, 0x3fc90fda, v12, -v15
	v_fmamk_f32 v9, v12, 0x33a22168, v9
	s_delay_alu instid0(VALU_DEP_1) | instskip(NEXT) | instid1(VALU_DEP_1)
	v_fmac_f32_e32 v9, 0x3fc90fda, v7
	v_dual_add_f32 v4, v15, v9 :: v_dual_lshrrev_b32 v7, 30, v4
	s_delay_alu instid0(VALU_DEP_1)
	v_add_nc_u32_e32 v7, v10, v7
	s_or_saveexec_b32 s0, s3
	v_mul_f32_e64 v10, 0x3f22f983, |v5|
	s_xor_b32 exec_lo, exec_lo, s0
	s_branch .LBB20_13
.LBB20_12:
	s_or_saveexec_b32 s0, s3
	v_mul_f32_e64 v10, 0x3f22f983, |v5|
	s_xor_b32 exec_lo, exec_lo, s0
.LBB20_13:
	s_delay_alu instid0(VALU_DEP_1) | instskip(NEXT) | instid1(VALU_DEP_1)
	v_rndne_f32_e32 v7, v10
	v_fma_f32 v4, 0xbfc90fda, v7, |v5|
	s_delay_alu instid0(VALU_DEP_1) | instskip(NEXT) | instid1(VALU_DEP_1)
	v_fmamk_f32 v4, v7, 0xb3a22168, v4
	v_fmamk_f32 v4, v7, 0xa7c234c4, v4
	v_cvt_i32_f32_e32 v7, v7
; %bb.14:
	s_or_b32 exec_lo, exec_lo, s0
                                        ; implicit-def: $vgpr9
                                        ; implicit-def: $vgpr8
	s_and_saveexec_b32 s0, s2
	s_delay_alu instid0(SALU_CYCLE_1)
	s_xor_b32 s2, exec_lo, s0
	s_cbranch_execz .LBB20_16
; %bb.15:
	s_mov_b32 s0, 0x7fffff
	v_mov_b32_e32 v9, 0
	v_and_or_b32 v8, v1, s0, 0x800000
	s_mov_b64 s[0:1], 0xfe5163ab
	v_add_nc_u32_e32 v3, 0xffffff88, v3
	s_delay_alu instid0(VALU_DEP_2) | instskip(NEXT) | instid1(VALU_DEP_2)
	v_mul_u64_e32 v[10:11], s[0:1], v[8:9]
	v_cmp_lt_u32_e32 vcc_lo, 63, v3
	s_delay_alu instid0(VALU_DEP_2) | instskip(SKIP_2) | instid1(VALU_DEP_3)
	v_dual_mov_b32 v12, v11 :: v_dual_mov_b32 v13, v9
	v_dual_mov_b32 v15, v9 :: v_dual_mov_b32 v17, v9
	;; [unrolled: 1-line block ×3, first 2 shown]
	v_mad_nc_u64_u32 v[12:13], 0x3c439041, v8, v[12:13]
	v_cndmask_b32_e64 v11, 0, 0xffffffc0, vcc_lo
	s_delay_alu instid0(VALU_DEP_1) | instskip(NEXT) | instid1(VALU_DEP_3)
	v_dual_mov_b32 v23, v9 :: v_dual_add_nc_u32 v3, v11, v3
	v_mov_b32_e32 v14, v13
	s_delay_alu instid0(VALU_DEP_2) | instskip(NEXT) | instid1(VALU_DEP_2)
	v_cmp_lt_u32_e64 s0, 31, v3
	v_mad_nc_u64_u32 v[14:15], 0xdb629599, v8, v[14:15]
	s_delay_alu instid0(VALU_DEP_2) | instskip(NEXT) | instid1(VALU_DEP_1)
	v_cndmask_b32_e64 v11, 0, 0xffffffe0, s0
	v_add_nc_u32_e32 v3, v11, v3
	s_delay_alu instid0(VALU_DEP_3) | instskip(NEXT) | instid1(VALU_DEP_2)
	v_mov_b32_e32 v16, v15
	v_cmp_lt_u32_e64 s1, 31, v3
	v_cndmask_b32_e32 v10, v14, v10, vcc_lo
	s_delay_alu instid0(VALU_DEP_3) | instskip(NEXT) | instid1(VALU_DEP_3)
	v_mad_nc_u64_u32 v[16:17], 0xf534ddc0, v8, v[16:17]
	v_cndmask_b32_e64 v11, 0, 0xffffffe0, s1
	s_delay_alu instid0(VALU_DEP_1) | instskip(NEXT) | instid1(VALU_DEP_3)
	v_dual_add_nc_u32 v3, v11, v3 :: v_dual_cndmask_b32 v11, v16, v12, vcc_lo
	v_mov_b32_e32 v18, v17
	s_delay_alu instid0(VALU_DEP_1) | instskip(NEXT) | instid1(VALU_DEP_1)
	v_mad_nc_u64_u32 v[18:19], 0xfc2757d1, v8, v[18:19]
	v_dual_mov_b32 v20, v19 :: v_dual_cndmask_b32 v15, v18, v14
	s_delay_alu instid0(VALU_DEP_1) | instskip(NEXT) | instid1(VALU_DEP_1)
	v_mad_nc_u64_u32 v[20:21], 0x4e441529, v8, v[20:21]
	v_dual_mov_b32 v22, v21 :: v_dual_cndmask_b32 v13, v20, v16
	s_delay_alu instid0(VALU_DEP_1) | instskip(NEXT) | instid1(VALU_DEP_1)
	v_mad_nc_u64_u32 v[8:9], 0xa2f9836e, v8, v[22:23]
	v_dual_cndmask_b32 v8, v8, v18 :: v_dual_cndmask_b32 v9, v9, v20
	v_cmp_eq_u32_e32 vcc_lo, 0, v3
	s_delay_alu instid0(VALU_DEP_2) | instskip(SKIP_2) | instid1(VALU_DEP_3)
	v_dual_cndmask_b32 v12, v8, v13, s0 :: v_dual_cndmask_b32 v8, v9, v8, s0
	v_cndmask_b32_e64 v9, v13, v15, s0
	v_sub_nc_u32_e32 v13, 32, v3
	v_dual_cndmask_b32 v15, v15, v11, s0 :: v_dual_cndmask_b32 v8, v8, v12, s1
	s_delay_alu instid0(VALU_DEP_3) | instskip(NEXT) | instid1(VALU_DEP_1)
	v_cndmask_b32_e64 v12, v12, v9, s1
	v_alignbit_b32 v16, v8, v12, v13
	s_delay_alu instid0(VALU_DEP_1) | instskip(NEXT) | instid1(VALU_DEP_1)
	v_dual_cndmask_b32 v9, v9, v15, s1 :: v_dual_cndmask_b32 v3, v16, v8, vcc_lo
	v_alignbit_b32 v14, v12, v9, v13
	v_cndmask_b32_e64 v8, v11, v10, s0
	s_delay_alu instid0(VALU_DEP_3) | instskip(NEXT) | instid1(VALU_DEP_3)
	v_bfe_u32 v11, v3, 29, 1
	v_cndmask_b32_e32 v10, v14, v12, vcc_lo
	s_delay_alu instid0(VALU_DEP_2) | instskip(NEXT) | instid1(VALU_DEP_2)
	v_dual_cndmask_b32 v8, v15, v8, s1 :: v_dual_sub_nc_u32 v14, 0, v11
	v_alignbit_b32 v12, v3, v10, 30
	s_delay_alu instid0(VALU_DEP_2) | instskip(NEXT) | instid1(VALU_DEP_1)
	v_alignbit_b32 v13, v9, v8, v13
	v_dual_cndmask_b32 v9, v13, v9, vcc_lo :: v_dual_bitop2_b32 v12, v12, v14 bitop3:0x14
	s_delay_alu instid0(VALU_DEP_1) | instskip(NEXT) | instid1(VALU_DEP_2)
	v_clz_i32_u32_e32 v13, v12
	v_alignbit_b32 v10, v10, v9, 30
	v_alignbit_b32 v8, v9, v8, 30
	s_delay_alu instid0(VALU_DEP_3) | instskip(NEXT) | instid1(VALU_DEP_3)
	v_min_u32_e32 v13, 32, v13
	v_xor_b32_e32 v9, v10, v14
	s_delay_alu instid0(VALU_DEP_3) | instskip(NEXT) | instid1(VALU_DEP_3)
	v_dual_lshrrev_b32 v14, 29, v3 :: v_dual_bitop2_b32 v8, v8, v14 bitop3:0x14
	v_dual_lshrrev_b32 v3, 30, v3 :: v_dual_sub_nc_u32 v10, 31, v13
	v_lshlrev_b32_e32 v15, 23, v13
	s_delay_alu instid0(VALU_DEP_2) | instskip(NEXT) | instid1(VALU_DEP_4)
	v_alignbit_b32 v12, v12, v9, v10
	v_alignbit_b32 v8, v9, v8, v10
	v_lshlrev_b32_e32 v9, 31, v14
	s_delay_alu instid0(VALU_DEP_2) | instskip(NEXT) | instid1(VALU_DEP_2)
	v_alignbit_b32 v10, v12, v8, 9
	v_dual_lshrrev_b32 v12, 9, v12 :: v_dual_bitop2_b32 v14, 0.5, v9 bitop3:0x54
	v_or_b32_e32 v9, 0x33000000, v9
	s_delay_alu instid0(VALU_DEP_3) | instskip(NEXT) | instid1(VALU_DEP_3)
	v_clz_i32_u32_e32 v16, v10
	v_sub_nc_u32_e32 v14, v14, v15
	s_delay_alu instid0(VALU_DEP_2) | instskip(NEXT) | instid1(VALU_DEP_1)
	v_min_u32_e32 v15, 32, v16
	v_add_lshl_u32 v13, v15, v13, 23
	s_delay_alu instid0(VALU_DEP_1) | instskip(SKIP_1) | instid1(VALU_DEP_1)
	v_dual_sub_nc_u32 v9, v9, v13 :: v_dual_bitop2_b32 v12, v12, v14 bitop3:0x54
	v_not_b32_e32 v14, v15
	v_alignbit_b32 v8, v10, v8, v14
	s_delay_alu instid0(VALU_DEP_1) | instskip(NEXT) | instid1(VALU_DEP_4)
	v_lshrrev_b32_e32 v8, 9, v8
	v_mul_f32_e32 v16, 0x3fc90fda, v12
	s_delay_alu instid0(VALU_DEP_2) | instskip(NEXT) | instid1(VALU_DEP_2)
	v_or_b32_e32 v8, v9, v8
	v_fma_f32 v10, 0x3fc90fda, v12, -v16
	s_delay_alu instid0(VALU_DEP_1) | instskip(NEXT) | instid1(VALU_DEP_1)
	v_dual_fmamk_f32 v10, v12, 0x33a22168, v10 :: v_dual_add_nc_u32 v9, v11, v3
	v_fmac_f32_e32 v10, 0x3fc90fda, v8
	s_delay_alu instid0(VALU_DEP_1)
	v_add_f32_e32 v8, v16, v10
                                        ; implicit-def: $vgpr10
	s_and_not1_saveexec_b32 s0, s2
	s_cbranch_execnz .LBB20_17
	s_branch .LBB20_18
.LBB20_16:
	s_and_not1_saveexec_b32 s0, s2
.LBB20_17:
	v_rndne_f32_e32 v3, v10
	s_delay_alu instid0(VALU_DEP_1) | instskip(SKIP_1) | instid1(VALU_DEP_2)
	v_fma_f32 v8, 0xbfc90fda, v3, |v5|
	v_cvt_i32_f32_e32 v9, v3
	v_fmamk_f32 v8, v3, 0xb3a22168, v8
	s_delay_alu instid0(VALU_DEP_1)
	v_fmamk_f32 v8, v3, 0xa7c234c4, v8
.LBB20_18:
	s_or_b32 exec_lo, exec_lo, s0
	v_ashrrev_i32_e32 v3, 31, v2
	s_lshr_b32 s0, s17, 31
	s_mov_b32 s2, 0xb94c1982
	s_add_co_i32 s0, s17, s0
	s_mov_b32 s3, 0x37d75334
	s_ashr_i32 s0, s0, 1
	v_lshl_add_u64 v[10:11], v[2:3], 2, s[12:13]
	s_ashr_i32 s1, s0, 31
	v_mul_f32_e32 v3, v8, v8
	s_lshl_b64 s[0:1], s[0:1], 2
	s_delay_alu instid0(VALU_DEP_2) | instid1(SALU_CYCLE_1)
	v_add_nc_u64_e32 v[10:11], s[0:1], v[10:11]
	s_clause 0x1
	global_load_b32 v12, v[10:11], off
	global_load_b32 v13, v2, s[12:13] scale_offset
	s_wait_xcnt 0x0
	v_dual_mul_f32 v2, v4, v4 :: v_dual_bitop2_b32 v10, 1, v7 bitop3:0x40
	v_fmaak_f32 v15, s2, v3, 0x3c0881c4
	v_lshlrev_b32_e32 v7, 30, v7
	v_fmaak_f32 v16, s3, v3, 0xbab64f3b
	s_delay_alu instid0(VALU_DEP_4) | instskip(SKIP_2) | instid1(VALU_DEP_1)
	v_fmaak_f32 v14, s3, v2, 0xbab64f3b
	v_cmp_eq_u32_e32 vcc_lo, 0, v10
	v_fmaak_f32 v15, v3, v15, 0xbe2aaa9d
	v_dual_fmaak_f32 v14, v2, v14, 0x3d2aabf7 :: v_dual_mul_f32 v15, v3, v15
	s_delay_alu instid0(VALU_DEP_1) | instskip(NEXT) | instid1(VALU_DEP_1)
	v_dual_fmaak_f32 v11, s2, v2, 0x3c0881c4 :: v_dual_fmac_f32 v8, v8, v15
	v_fmaak_f32 v11, v2, v11, 0xbe2aaa9d
	v_dual_lshlrev_b32 v9, 30, v9 :: v_dual_bitop2_b32 v17, 1, v9 bitop3:0x40
	s_delay_alu instid0(VALU_DEP_2) | instskip(SKIP_1) | instid1(VALU_DEP_3)
	v_dual_fmaak_f32 v16, v3, v16, 0x3d2aabf7 :: v_dual_mul_f32 v11, v2, v11
	v_xor_b32_e32 v1, v1, v5
	v_and_b32_e32 v9, 0x80000000, v9
	s_delay_alu instid0(VALU_DEP_3) | instskip(NEXT) | instid1(VALU_DEP_4)
	v_fmaak_f32 v16, v3, v16, 0xbf000004
	v_fmac_f32_e32 v4, v4, v11
	s_delay_alu instid0(VALU_DEP_2) | instskip(SKIP_1) | instid1(VALU_DEP_1)
	v_fma_f32 v3, v3, v16, 1.0
	v_fmaak_f32 v14, v2, v14, 0xbf000004
	v_fma_f32 v2, v2, v14, 1.0
	s_delay_alu instid0(VALU_DEP_1) | instskip(SKIP_1) | instid1(VALU_DEP_2)
	v_cndmask_b32_e64 v2, -v4, v2, vcc_lo
	v_cmp_eq_u32_e32 vcc_lo, 0, v17
	v_bitop3_b32 v2, v7, v2, 0x80000000 bitop3:0x6c
	v_cndmask_b32_e32 v3, v3, v8, vcc_lo
	v_cmp_class_f32_e64 vcc_lo, v5, 0x1f8
	s_delay_alu instid0(VALU_DEP_2) | instskip(NEXT) | instid1(VALU_DEP_4)
	v_xor3_b32 v1, v1, v9, v3
	v_cndmask_b32_e32 v4, 0x7fc00000, v2, vcc_lo
	s_delay_alu instid0(VALU_DEP_2) | instskip(NEXT) | instid1(VALU_DEP_1)
	v_dual_cndmask_b32 v2, 0x7fc00000, v1 :: v_dual_ashrrev_i32 v1, 31, v0
	v_mul_f32_e64 v5, v2, -v6
	s_delay_alu instid0(VALU_DEP_2) | instskip(NEXT) | instid1(VALU_DEP_4)
	v_lshl_add_u64 v[2:3], v[0:1], 2, s[14:15]
	v_mul_f32_e32 v1, v6, v4
	s_delay_alu instid0(VALU_DEP_2) | instskip(SKIP_3) | instid1(VALU_DEP_1)
	v_add_nc_u64_e32 v[2:3], s[0:1], v[2:3]
	s_wait_loadcnt 0x1
	v_mul_f32_e32 v4, v12, v5
	s_wait_loadcnt 0x0
	v_fma_f32 v4, v1, v13, -v4
	v_mul_f32_e32 v5, v13, v5
	s_delay_alu instid0(VALU_DEP_1)
	v_fmac_f32_e32 v5, v1, v12
	s_clause 0x1
	global_store_b32 v0, v4, s[14:15] scale_offset
	global_store_b32 v[2:3], v5, off
.LBB20_19:
	s_endpgm
	.section	.rodata,"a",@progbits
	.p2align	6, 0x0
	.amdhsa_kernel _ZL9rope_neoxILb0ELb0EffEvPKT1_PT2_iiiiiiiiiiPKifff14rope_corr_dimsfPKfPKli
		.amdhsa_group_segment_fixed_size 0
		.amdhsa_private_segment_fixed_size 0
		.amdhsa_kernarg_size 368
		.amdhsa_user_sgpr_count 2
		.amdhsa_user_sgpr_dispatch_ptr 0
		.amdhsa_user_sgpr_queue_ptr 0
		.amdhsa_user_sgpr_kernarg_segment_ptr 1
		.amdhsa_user_sgpr_dispatch_id 0
		.amdhsa_user_sgpr_kernarg_preload_length 0
		.amdhsa_user_sgpr_kernarg_preload_offset 0
		.amdhsa_user_sgpr_private_segment_size 0
		.amdhsa_wavefront_size32 1
		.amdhsa_uses_dynamic_stack 0
		.amdhsa_enable_private_segment 0
		.amdhsa_system_sgpr_workgroup_id_x 1
		.amdhsa_system_sgpr_workgroup_id_y 1
		.amdhsa_system_sgpr_workgroup_id_z 0
		.amdhsa_system_sgpr_workgroup_info 0
		.amdhsa_system_vgpr_workitem_id 1
		.amdhsa_next_free_vgpr 24
		.amdhsa_next_free_sgpr 18
		.amdhsa_named_barrier_count 0
		.amdhsa_reserve_vcc 1
		.amdhsa_float_round_mode_32 0
		.amdhsa_float_round_mode_16_64 0
		.amdhsa_float_denorm_mode_32 3
		.amdhsa_float_denorm_mode_16_64 3
		.amdhsa_fp16_overflow 0
		.amdhsa_memory_ordered 1
		.amdhsa_forward_progress 1
		.amdhsa_inst_pref_size 37
		.amdhsa_round_robin_scheduling 0
		.amdhsa_exception_fp_ieee_invalid_op 0
		.amdhsa_exception_fp_denorm_src 0
		.amdhsa_exception_fp_ieee_div_zero 0
		.amdhsa_exception_fp_ieee_overflow 0
		.amdhsa_exception_fp_ieee_underflow 0
		.amdhsa_exception_fp_ieee_inexact 0
		.amdhsa_exception_int_div_zero 0
	.end_amdhsa_kernel
	.section	.text._ZL9rope_neoxILb0ELb0EffEvPKT1_PT2_iiiiiiiiiiPKifff14rope_corr_dimsfPKfPKli,"axG",@progbits,_ZL9rope_neoxILb0ELb0EffEvPKT1_PT2_iiiiiiiiiiPKifff14rope_corr_dimsfPKfPKli,comdat
.Lfunc_end20:
	.size	_ZL9rope_neoxILb0ELb0EffEvPKT1_PT2_iiiiiiiiiiPKifff14rope_corr_dimsfPKfPKli, .Lfunc_end20-_ZL9rope_neoxILb0ELb0EffEvPKT1_PT2_iiiiiiiiiiPKifff14rope_corr_dimsfPKfPKli
                                        ; -- End function
	.set _ZL9rope_neoxILb0ELb0EffEvPKT1_PT2_iiiiiiiiiiPKifff14rope_corr_dimsfPKfPKli.num_vgpr, 24
	.set _ZL9rope_neoxILb0ELb0EffEvPKT1_PT2_iiiiiiiiiiPKifff14rope_corr_dimsfPKfPKli.num_agpr, 0
	.set _ZL9rope_neoxILb0ELb0EffEvPKT1_PT2_iiiiiiiiiiPKifff14rope_corr_dimsfPKfPKli.numbered_sgpr, 18
	.set _ZL9rope_neoxILb0ELb0EffEvPKT1_PT2_iiiiiiiiiiPKifff14rope_corr_dimsfPKfPKli.num_named_barrier, 0
	.set _ZL9rope_neoxILb0ELb0EffEvPKT1_PT2_iiiiiiiiiiPKifff14rope_corr_dimsfPKfPKli.private_seg_size, 0
	.set _ZL9rope_neoxILb0ELb0EffEvPKT1_PT2_iiiiiiiiiiPKifff14rope_corr_dimsfPKfPKli.uses_vcc, 1
	.set _ZL9rope_neoxILb0ELb0EffEvPKT1_PT2_iiiiiiiiiiPKifff14rope_corr_dimsfPKfPKli.uses_flat_scratch, 0
	.set _ZL9rope_neoxILb0ELb0EffEvPKT1_PT2_iiiiiiiiiiPKifff14rope_corr_dimsfPKfPKli.has_dyn_sized_stack, 0
	.set _ZL9rope_neoxILb0ELb0EffEvPKT1_PT2_iiiiiiiiiiPKifff14rope_corr_dimsfPKfPKli.has_recursion, 0
	.set _ZL9rope_neoxILb0ELb0EffEvPKT1_PT2_iiiiiiiiiiPKifff14rope_corr_dimsfPKfPKli.has_indirect_call, 0
	.section	.AMDGPU.csdata,"",@progbits
; Kernel info:
; codeLenInByte = 4692
; TotalNumSgprs: 20
; NumVgprs: 24
; ScratchSize: 0
; MemoryBound: 0
; FloatMode: 240
; IeeeMode: 1
; LDSByteSize: 0 bytes/workgroup (compile time only)
; SGPRBlocks: 0
; VGPRBlocks: 1
; NumSGPRsForWavesPerEU: 20
; NumVGPRsForWavesPerEU: 24
; NamedBarCnt: 0
; Occupancy: 16
; WaveLimiterHint : 0
; COMPUTE_PGM_RSRC2:SCRATCH_EN: 0
; COMPUTE_PGM_RSRC2:USER_SGPR: 2
; COMPUTE_PGM_RSRC2:TRAP_HANDLER: 0
; COMPUTE_PGM_RSRC2:TGID_X_EN: 1
; COMPUTE_PGM_RSRC2:TGID_Y_EN: 1
; COMPUTE_PGM_RSRC2:TGID_Z_EN: 0
; COMPUTE_PGM_RSRC2:TIDIG_COMP_CNT: 1
	.section	.text._ZL9rope_neoxILb0ELb1EffEvPKT1_PT2_iiiiiiiiiiPKifff14rope_corr_dimsfPKfPKli,"axG",@progbits,_ZL9rope_neoxILb0ELb1EffEvPKT1_PT2_iiiiiiiiiiPKifff14rope_corr_dimsfPKfPKli,comdat
	.globl	_ZL9rope_neoxILb0ELb1EffEvPKT1_PT2_iiiiiiiiiiPKifff14rope_corr_dimsfPKfPKli ; -- Begin function _ZL9rope_neoxILb0ELb1EffEvPKT1_PT2_iiiiiiiiiiPKifff14rope_corr_dimsfPKfPKli
	.p2align	8
	.type	_ZL9rope_neoxILb0ELb1EffEvPKT1_PT2_iiiiiiiiiiPKifff14rope_corr_dimsfPKfPKli,@function
_ZL9rope_neoxILb0ELb1EffEvPKT1_PT2_iiiiiiiiiiPKifff14rope_corr_dimsfPKfPKli: ; @_ZL9rope_neoxILb0ELb1EffEvPKT1_PT2_iiiiiiiiiiPKifff14rope_corr_dimsfPKfPKli
; %bb.0:
	s_clause 0x1
	s_load_u16 s3, s[0:1], 0x7e
	s_load_b256 s[4:11], s[0:1], 0x10
	s_bfe_u32 s2, ttmp6, 0x40010
	s_bfe_u32 s13, ttmp6, 0x40004
	s_add_co_i32 s2, s2, 1
	v_bfe_u32 v1, v0, 10, 10
	s_mul_i32 s12, ttmp7, s2
	s_getreg_b32 s2, hwreg(HW_REG_IB_STS2, 6, 4)
	s_add_co_i32 s13, s13, s12
	s_cmp_eq_u32 s2, 0
	s_cselect_b32 s12, ttmp7, s13
	s_wait_kmcnt 0x0
	s_mul_i32 s12, s12, s3
	s_mov_b32 s3, exec_lo
	v_add_lshl_u32 v3, s12, v1, 1
	s_delay_alu instid0(VALU_DEP_1)
	v_cmpx_gt_i32_e64 s4, v3
	s_cbranch_execz .LBB21_19
; %bb.1:
	s_add_nc_u64 s[12:13], s[0:1], 0x70
	s_bfe_u32 s4, ttmp6, 0x4000c
	s_load_b32 s3, s[12:13], 0xc
	s_add_co_i32 s4, s4, 1
	s_wait_xcnt 0x0
	s_and_b32 s12, ttmp6, 15
	s_mul_i32 s4, ttmp9, s4
	v_and_b32_e32 v0, 0x3ff, v0
	s_add_co_i32 s12, s12, s4
	s_clause 0x1
	s_load_b64 s[20:21], s[0:1], 0x30
	s_load_b128 s[16:19], s[0:1], 0x58
	s_wait_kmcnt 0x0
	s_and_b32 s3, s3, 0xffff
	s_cmp_eq_u32 s2, 0
	s_mul_i32 s2, s6, s5
	s_cselect_b32 s4, ttmp9, s12
	s_abs_i32 s6, s2
	v_mad_u32 v2, s4, s3, v0
	s_cvt_f32_u32 s12, s6
	s_sub_co_i32 s4, 0, s6
	s_delay_alu instid0(SALU_CYCLE_2) | instskip(NEXT) | instid1(VALU_DEP_1)
	v_rcp_iflag_f32_e32 v1, s12
	v_sub_nc_u32_e32 v0, 0, v2
	s_delay_alu instid0(TRANS32_DEP_1) | instskip(NEXT) | instid1(VALU_DEP_2)
	v_readfirstlane_b32 s3, v1
	v_max_i32_e32 v0, v2, v0
	s_mul_f32 s3, s3, 0x4f7ffffe
	s_delay_alu instid0(SALU_CYCLE_3) | instskip(NEXT) | instid1(SALU_CYCLE_3)
	s_cvt_u32_f32 s3, s3
	s_mul_i32 s4, s4, s3
	s_delay_alu instid0(SALU_CYCLE_1) | instskip(NEXT) | instid1(SALU_CYCLE_1)
	s_mul_hi_u32 s4, s3, s4
	s_add_co_i32 s3, s3, s4
	s_delay_alu instid0(SALU_CYCLE_1) | instskip(SKIP_1) | instid1(VALU_DEP_1)
	v_mul_hi_u32 v1, v0, s3
	s_cvt_f32_u32 s3, s5
	v_mul_lo_u32 v4, v1, s6
	s_delay_alu instid0(VALU_DEP_1) | instskip(NEXT) | instid1(VALU_DEP_1)
	v_dual_sub_nc_u32 v0, v0, v4 :: v_dual_add_nc_u32 v4, 1, v1
	v_cmp_le_u32_e32 vcc_lo, s6, v0
	s_delay_alu instid0(VALU_DEP_2) | instskip(SKIP_1) | instid1(VALU_DEP_1)
	v_cndmask_b32_e32 v1, v1, v4, vcc_lo
	v_subrev_nc_u32_e32 v5, s6, v0
	v_dual_cndmask_b32 v0, v0, v5, vcc_lo :: v_dual_bitop2_b32 v4, s2, v2 bitop3:0x14
	s_delay_alu instid0(VALU_DEP_3) | instskip(NEXT) | instid1(VALU_DEP_2)
	v_add_nc_u32_e32 v5, 1, v1
	v_cmp_le_u32_e32 vcc_lo, s6, v0
	s_delay_alu instid0(VALU_DEP_2) | instskip(SKIP_1) | instid1(VALU_DEP_1)
	v_dual_ashrrev_i32 v4, 31, v4 :: v_dual_cndmask_b32 v0, v1, v5, vcc_lo
	v_rcp_iflag_f32_e32 v1, s3
	v_xor_b32_e32 v0, v0, v4
	s_delay_alu instid0(TRANS32_DEP_1) | instskip(NEXT) | instid1(VALU_DEP_2)
	v_readfirstlane_b32 s3, v1
	v_sub_nc_u32_e32 v0, v0, v4
	s_delay_alu instid0(VALU_DEP_1) | instskip(SKIP_2) | instid1(SALU_CYCLE_2)
	v_mul_lo_u32 v1, s2, v0
	s_mul_f32 s2, s3, 0x4f7ffffe
	s_sub_co_i32 s3, 0, s5
	s_cvt_u32_f32 s2, s2
	s_delay_alu instid0(SALU_CYCLE_3) | instskip(NEXT) | instid1(VALU_DEP_1)
	s_mul_i32 s3, s3, s2
	v_sub_nc_u32_e32 v2, v2, v1
	s_mul_hi_u32 s3, s2, s3
	s_delay_alu instid0(SALU_CYCLE_1)
	s_add_co_i32 s2, s2, s3
	s_delay_alu instid0(VALU_DEP_1) | instid1(SALU_CYCLE_1)
	v_mul_hi_u32 v1, v2, s2
	s_load_b32 s2, s[0:1], 0x68
	s_delay_alu instid0(VALU_DEP_1) | instskip(SKIP_2) | instid1(VALU_DEP_1)
	v_mul_lo_u32 v4, v1, s5
	s_wait_kmcnt 0x0
	s_cmp_eq_u32 s2, 0
	v_sub_nc_u32_e32 v4, v2, v4
	s_delay_alu instid0(VALU_DEP_1) | instskip(SKIP_1) | instid1(VALU_DEP_2)
	v_subrev_nc_u32_e32 v6, s5, v4
	v_cmp_le_u32_e32 vcc_lo, s5, v4
	v_dual_cndmask_b32 v4, v4, v6 :: v_dual_add_nc_u32 v5, 1, v1
	s_delay_alu instid0(VALU_DEP_1) | instskip(NEXT) | instid1(VALU_DEP_2)
	v_cndmask_b32_e32 v1, v1, v5, vcc_lo
	v_cmp_le_u32_e32 vcc_lo, s5, v4
	s_delay_alu instid0(VALU_DEP_2) | instskip(NEXT) | instid1(VALU_DEP_1)
	v_add_nc_u32_e32 v5, 1, v1
	v_cndmask_b32_e32 v8, v1, v5, vcc_lo
	s_cbranch_scc1 .LBB21_3
; %bb.2:
	v_mov_b32_e32 v9, 0
	s_delay_alu instid0(VALU_DEP_1)
	v_lshl_add_u64 v[4:5], v[8:9], 3, s[18:19]
	global_load_b32 v1, v[4:5], off
	s_wait_loadcnt 0x0
	v_mul_lo_u32 v4, s2, v1
	s_branch .LBB21_4
.LBB21_3:
	v_mul_lo_u32 v1, v0, s20
	s_delay_alu instid0(VALU_DEP_1)
	v_mad_u32 v4, v8, s11, v1
.LBB21_4:
	v_mul_lo_u32 v5, v8, s5
	v_ashrrev_i32_e32 v1, 1, v3
	s_load_b128 s[12:15], s[0:1], 0x0
	s_mov_b32 s2, exec_lo
	s_delay_alu instid0(VALU_DEP_2) | instskip(NEXT) | instid1(VALU_DEP_2)
	v_sub_nc_u32_e32 v2, v2, v5
	v_mad_u32 v0, v0, s9, v1
	s_delay_alu instid0(VALU_DEP_2) | instskip(NEXT) | instid1(VALU_DEP_2)
	v_mul_lo_u32 v5, v2, s10
	v_mad_u32 v0, v8, s8, v0
	s_delay_alu instid0(VALU_DEP_1) | instskip(NEXT) | instid1(VALU_DEP_3)
	v_mad_u32 v2, v2, s7, v0
	v_add3_u32 v0, v5, v1, v4
	v_cmpx_le_i32_e64 s21, v3
	s_xor_b32 s2, exec_lo, s2
	s_cbranch_execz .LBB21_6
; %bb.5:
	s_delay_alu instid0(VALU_DEP_2)
	v_dual_add_nc_u32 v2, v2, v1 :: v_dual_add_nc_u32 v0, v0, v1
                                        ; implicit-def: $vgpr8
	s_wait_kmcnt 0x0
	global_load_b32 v3, v2, s[12:13] scale_offset
	s_wait_loadcnt 0x0
	global_store_b32 v0, v3, s[14:15] scale_offset
	global_load_b32 v1, v2, s[12:13] offset:4 scale_offset
                                        ; implicit-def: $vgpr2
                                        ; implicit-def: $vgpr3
	s_wait_loadcnt 0x0
	global_store_b32 v0, v1, s[14:15] offset:4 scale_offset
                                        ; implicit-def: $vgpr0
                                        ; implicit-def: $vgpr1
.LBB21_6:
	s_wait_xcnt 0x0
	s_and_not1_saveexec_b32 s2, s2
	s_cbranch_execz .LBB21_19
; %bb.7:
	s_clause 0x1
	s_load_b64 s[8:9], s[0:1], 0x50
	s_load_b64 s[2:3], s[0:1], 0x38
	v_cvt_f32_i32_e32 v3, v3
	s_mov_b32 s4, 0x3e76c4e1
	global_load_b32 v22, v1, s[16:17] scale_offset
	v_mul_f32_e32 v3, 0.5, v3
	s_wait_kmcnt 0x0
	s_cmp_neq_f32 s9, 1.0
	global_load_b32 v8, v8, s[2:3] scale_offset
	s_cselect_b32 vcc_lo, -1, 0
	v_cndmask_b32_e32 v9, 1.0, v3, vcc_lo
	s_delay_alu instid0(VALU_DEP_1) | instskip(SKIP_1) | instid1(VALU_DEP_1)
	v_cmp_neq_f32_e32 vcc_lo, 0, v9
	v_cndmask_b32_e64 v3, 1.0, s9, vcc_lo
	v_frexp_mant_f32_e64 v4, |v3|
	v_cmp_lt_f32_e64 s6, |v3|, 1.0
	s_delay_alu instid0(VALU_DEP_2) | instskip(SKIP_1) | instid1(VALU_DEP_1)
	v_cmp_gt_f32_e32 vcc_lo, 0x3f2aaaab, v4
	v_cndmask_b32_e64 v5, 1.0, 2.0, vcc_lo
	v_mul_f32_e32 v4, v4, v5
	s_delay_alu instid0(VALU_DEP_1) | instskip(SKIP_1) | instid1(VALU_DEP_2)
	v_dual_add_f32 v7, 1.0, v4 :: v_dual_add_f32 v5, -1.0, v4
	v_cmp_neq_f32_e64 s5, v9, |v9|
	v_rcp_f32_e32 v12, v7
	v_add_f32_e32 v10, -1.0, v7
	s_xor_b32 s5, s5, s6
	s_delay_alu instid0(TRANS32_DEP_1) | instid1(VALU_DEP_1)
	v_dual_sub_f32 v4, v4, v10 :: v_dual_mul_f32 v13, v5, v12
	s_delay_alu instid0(VALU_DEP_1) | instskip(NEXT) | instid1(VALU_DEP_1)
	v_mul_f32_e32 v6, v7, v13
	v_fma_f32 v10, v13, v7, -v6
	s_delay_alu instid0(VALU_DEP_1) | instskip(NEXT) | instid1(VALU_DEP_1)
	v_fmac_f32_e32 v10, v13, v4
	v_add_f32_e32 v4, v6, v10
	s_delay_alu instid0(VALU_DEP_1) | instskip(NEXT) | instid1(VALU_DEP_1)
	v_dual_sub_f32 v7, v5, v4 :: v_dual_mov_b32 v11, v4
	v_pk_add_f32 v[4:5], v[4:5], v[6:7] neg_lo:[0,1] neg_hi:[0,1]
	s_delay_alu instid0(VALU_DEP_1) | instskip(NEXT) | instid1(VALU_DEP_1)
	v_pk_add_f32 v[4:5], v[4:5], v[10:11] neg_lo:[0,1] neg_hi:[0,1]
	v_add_f32_e32 v4, v4, v5
	s_delay_alu instid0(VALU_DEP_1) | instskip(NEXT) | instid1(VALU_DEP_1)
	v_add_f32_e32 v4, v7, v4
	v_mul_f32_e32 v5, v12, v4
	s_delay_alu instid0(VALU_DEP_1) | instskip(NEXT) | instid1(VALU_DEP_1)
	v_add_f32_e32 v4, v13, v5
	v_dual_sub_f32 v6, v4, v13 :: v_dual_mul_f32 v7, v4, v4
	s_delay_alu instid0(VALU_DEP_1) | instskip(NEXT) | instid1(VALU_DEP_1)
	v_dual_sub_f32 v18, v5, v6 :: v_dual_fma_f32 v5, v4, v4, -v7
	v_add_f32_e32 v6, v18, v18
	s_delay_alu instid0(VALU_DEP_1) | instskip(NEXT) | instid1(VALU_DEP_1)
	v_fmac_f32_e32 v5, v4, v6
	v_add_f32_e32 v6, v7, v5
	s_delay_alu instid0(VALU_DEP_1) | instskip(SKIP_1) | instid1(VALU_DEP_2)
	v_dual_fmaak_f32 v10, s4, v6, 0x3e91f4c4 :: v_dual_sub_f32 v7, v6, v7
	v_cmp_eq_f32_e64 s4, 0, v3
	v_fmaak_f32 v12, v6, v10, 0x3ecccdef
	v_cvt_f64_f32_e64 v[10:11], |v3|
	s_delay_alu instid0(VALU_DEP_2) | instskip(NEXT) | instid1(VALU_DEP_1)
	v_dual_sub_f32 v16, v5, v7 :: v_dual_mul_f32 v13, v6, v12
	v_fma_f32 v5, v6, v12, -v13
	s_delay_alu instid0(VALU_DEP_1) | instskip(NEXT) | instid1(VALU_DEP_1)
	v_fmac_f32_e32 v5, v16, v12
	v_add_f32_e32 v7, v13, v5
	s_delay_alu instid0(VALU_DEP_1) | instskip(NEXT) | instid1(VALU_DEP_1)
	v_dual_sub_f32 v12, v7, v13 :: v_dual_add_f32 v13, 0x3f2aaaaa, v7
	v_dual_sub_f32 v5, v5, v12 :: v_dual_add_f32 v12, 0xbf2aaaaa, v13
	v_frexp_exp_i32_f64_e32 v17, v[10:11]
	s_delay_alu instid0(VALU_DEP_2) | instskip(NEXT) | instid1(VALU_DEP_3)
	v_add_f32_e32 v5, 0x31739010, v5
	v_sub_f32_e32 v7, v7, v12
	s_delay_alu instid0(VALU_DEP_1) | instskip(NEXT) | instid1(VALU_DEP_1)
	v_pk_mul_f32 v[10:11], v[4:5], v[6:7]
	v_fma_f32 v12, v6, v4, -v10
	s_delay_alu instid0(VALU_DEP_1) | instskip(NEXT) | instid1(VALU_DEP_1)
	v_fmac_f32_e32 v12, v6, v18
	v_fmac_f32_e32 v12, v16, v4
	v_pk_add_f32 v[14:15], v[4:5], v[6:7]
	s_delay_alu instid0(VALU_DEP_1) | instskip(SKIP_1) | instid1(VALU_DEP_2)
	v_mov_b32_e32 v11, v15
	v_subrev_co_ci_u32_e64 v5, null, 0, v17, vcc_lo
	v_pk_add_f32 v[6:7], v[10:11], v[12:13]
	s_delay_alu instid0(VALU_DEP_2) | instskip(NEXT) | instid1(VALU_DEP_2)
	v_cvt_f32_i32_e32 v5, v5
	v_dual_mov_b32 v14, v7 :: v_dual_sub_f32 v11, v13, v7
	s_delay_alu instid0(VALU_DEP_3) | instskip(NEXT) | instid1(VALU_DEP_2)
	v_sub_f32_e32 v13, v6, v10
	v_pk_mul_f32 v[16:17], v[6:7], v[14:15]
	s_delay_alu instid0(VALU_DEP_3) | instskip(NEXT) | instid1(VALU_DEP_2)
	v_dual_add_f32 v11, v15, v11 :: v_dual_mul_f32 v14, 0x3f317218, v5
	v_dual_sub_f32 v12, v12, v13 :: v_dual_fma_f32 v10, v6, v7, -v16
	s_delay_alu instid0(VALU_DEP_1) | instskip(NEXT) | instid1(VALU_DEP_3)
	v_fmac_f32_e32 v10, v6, v11
	v_fma_f32 v6, 0x3f317218, v5, -v14
	s_delay_alu instid0(VALU_DEP_2) | instskip(NEXT) | instid1(VALU_DEP_2)
	v_fmac_f32_e32 v10, v12, v7
	v_fmamk_f32 v6, v5, 0xb102e308, v6
	v_ldexp_f32 v7, v4, 1
	s_delay_alu instid0(VALU_DEP_1) | instskip(NEXT) | instid1(VALU_DEP_1)
	v_dual_add_f32 v15, v16, v10 :: v_dual_mov_b32 v17, v7
	v_pk_add_f32 v[4:5], v[14:15], v[6:7]
	v_mov_b32_e32 v12, v15
	v_ldexp_f32 v7, v18, 1
	s_delay_alu instid0(VALU_DEP_3) | instskip(SKIP_1) | instid1(VALU_DEP_2)
	v_dual_mov_b32 v11, v15 :: v_dual_mov_b32 v13, v5
	v_mov_b32_e32 v20, v5
	v_pk_add_f32 v[12:13], v[12:13], v[16:17] neg_lo:[0,1] neg_hi:[0,1]
	s_delay_alu instid0(VALU_DEP_1) | instskip(NEXT) | instid1(VALU_DEP_1)
	v_pk_add_f32 v[10:11], v[10:11], v[12:13] neg_lo:[0,1] neg_hi:[0,1]
	v_add_f32_e32 v7, v7, v10
	s_delay_alu instid0(VALU_DEP_1) | instskip(NEXT) | instid1(VALU_DEP_1)
	v_dual_add_f32 v15, v7, v11 :: v_dual_mov_b32 v7, v4
	v_pk_add_f32 v[10:11], v[4:5], v[14:15]
	v_pk_add_f32 v[12:13], v[4:5], v[14:15] neg_lo:[0,1] neg_hi:[0,1]
	s_delay_alu instid0(VALU_DEP_2) | instskip(NEXT) | instid1(VALU_DEP_1)
	v_mov_b32_e32 v13, v11
	v_pk_add_f32 v[16:17], v[6:7], v[12:13]
	v_pk_add_f32 v[6:7], v[6:7], v[12:13] neg_lo:[0,1] neg_hi:[0,1]
	s_delay_alu instid0(VALU_DEP_2) | instskip(NEXT) | instid1(VALU_DEP_1)
	v_dual_mov_b32 v14, v17 :: v_dual_mov_b32 v7, v17
	v_pk_add_f32 v[18:19], v[14:15], v[4:5] neg_lo:[0,1] neg_hi:[0,1]
	v_dual_mov_b32 v16, v11 :: v_dual_mov_b32 v5, v4
	s_delay_alu instid0(VALU_DEP_2) | instskip(SKIP_1) | instid1(VALU_DEP_2)
	v_dual_mov_b32 v4, v15 :: v_dual_mov_b32 v21, v18
	v_mov_b32_e32 v15, v18
	v_pk_add_f32 v[12:13], v[16:17], v[20:21] neg_lo:[0,1] neg_hi:[0,1]
	s_delay_alu instid0(VALU_DEP_2) | instskip(SKIP_1) | instid1(VALU_DEP_3)
	v_pk_add_f32 v[10:11], v[10:11], v[14:15] neg_lo:[0,1] neg_hi:[0,1]
	v_mov_b32_e32 v10, v6
	v_pk_add_f32 v[4:5], v[4:5], v[12:13] neg_lo:[0,1] neg_hi:[0,1]
	s_delay_alu instid0(VALU_DEP_1) | instskip(NEXT) | instid1(VALU_DEP_1)
	v_pk_add_f32 v[10:11], v[10:11], v[4:5]
	v_mov_b32_e32 v12, v11
	s_delay_alu instid0(VALU_DEP_1) | instskip(NEXT) | instid1(VALU_DEP_1)
	v_pk_add_f32 v[12:13], v[10:11], v[12:13]
	v_pk_add_f32 v[14:15], v[14:15], v[12:13]
	s_delay_alu instid0(VALU_DEP_1) | instskip(NEXT) | instid1(VALU_DEP_1)
	v_dual_mov_b32 v5, v12 :: v_dual_mov_b32 v11, v14
	v_pk_add_f32 v[16:17], v[10:11], v[6:7] neg_lo:[0,1] neg_hi:[0,1]
	s_delay_alu instid0(VALU_DEP_1) | instskip(SKIP_1) | instid1(VALU_DEP_1)
	v_pk_add_f32 v[4:5], v[4:5], v[16:17] neg_lo:[0,1] neg_hi:[0,1]
	v_sub_f32_e32 v7, v10, v16
	v_sub_f32_e32 v6, v6, v7
	s_delay_alu instid0(VALU_DEP_1) | instskip(NEXT) | instid1(VALU_DEP_1)
	v_add_f32_e32 v4, v4, v6
	v_add_f32_e32 v4, v4, v5
	s_delay_alu instid0(VALU_DEP_1) | instskip(NEXT) | instid1(VALU_DEP_1)
	v_add_f32_e32 v5, v14, v4
	v_sub_f32_e32 v6, v5, v14
	s_delay_alu instid0(VALU_DEP_1) | instskip(NEXT) | instid1(VALU_DEP_1)
	v_dual_sub_f32 v4, v4, v6 :: v_dual_mul_f32 v7, v9, v5
	v_fma_f32 v5, v9, v5, -v7
	s_delay_alu instid0(VALU_DEP_1) | instskip(SKIP_1) | instid1(VALU_DEP_2)
	v_fmac_f32_e32 v5, v9, v4
	v_cmp_class_f32_e64 vcc_lo, v7, 0x204
	v_add_f32_e32 v4, v7, v5
	s_delay_alu instid0(VALU_DEP_1) | instskip(NEXT) | instid1(VALU_DEP_1)
	v_dual_cndmask_b32 v6, v4, v7, vcc_lo :: v_dual_sub_f32 v4, v4, v7
	v_cmp_eq_f32_e32 vcc_lo, 0x42b17218, v6
	s_delay_alu instid0(VALU_DEP_2) | instskip(SKIP_2) | instid1(VALU_DEP_2)
	v_sub_f32_e32 v4, v5, v4
	v_cndmask_b32_e64 v10, 0, 0x37000000, vcc_lo
	v_cmp_neq_f32_e64 vcc_lo, 0x7f800000, |v6|
	v_dual_sub_f32 v11, v6, v10 :: v_dual_cndmask_b32 v4, 0, v4
	v_trunc_f32_e32 v6, v9
	s_delay_alu instid0(VALU_DEP_2) | instskip(NEXT) | instid1(VALU_DEP_1)
	v_mul_f32_e32 v12, 0x3fb8aa3b, v11
	v_fma_f32 v13, 0x3fb8aa3b, v11, -v12
	v_rndne_f32_e32 v14, v12
	s_delay_alu instid0(VALU_DEP_1) | instskip(NEXT) | instid1(VALU_DEP_1)
	v_dual_fmamk_f32 v13, v11, 0x32a5705f, v13 :: v_dual_sub_f32 v12, v12, v14
	v_add_f32_e32 v12, v12, v13
	v_cmp_ngt_f32_e32 vcc_lo, 0xc2ce8ed0, v11
	s_delay_alu instid0(VALU_DEP_2)
	v_exp_f32_e32 v7, v12
	v_nop
	v_cvt_i32_f32_e32 v12, v14
	s_delay_alu instid0(TRANS32_DEP_1) | instid1(VALU_DEP_1)
	v_ldexp_f32 v5, v7, v12
	v_mul_f32_e32 v7, 0.5, v9
	s_delay_alu instid0(VALU_DEP_2) | instskip(NEXT) | instid1(VALU_DEP_2)
	v_cndmask_b32_e32 v5, 0, v5, vcc_lo
	v_trunc_f32_e32 v12, v7
	v_cmp_nlt_f32_e32 vcc_lo, 0x42b17218, v11
	s_wait_xcnt 0x0
	s_delay_alu instid0(VALU_DEP_2) | instskip(SKIP_2) | instid1(VALU_DEP_2)
	v_cmp_neq_f32_e64 s2, v12, v7
	v_cndmask_b32_e32 v5, 0x7f800000, v5, vcc_lo
	v_cmp_eq_f32_e32 vcc_lo, v6, v9
	v_cmp_class_f32_e64 s3, v5, 0x204
	s_and_b32 s2, vcc_lo, s2
	s_delay_alu instid0(SALU_CYCLE_1) | instskip(SKIP_2) | instid1(VALU_DEP_3)
	v_dual_cndmask_b32 v6, 1.0, v3, s2 :: v_dual_add_f32 v4, v10, v4
	v_cndmask_b32_e64 v10, 0, v3, s2
	v_cmp_class_f32_e64 s2, v3, 0x204
	v_fma_f32 v4, v5, v4, v5
	s_delay_alu instid0(VALU_DEP_1) | instskip(SKIP_2) | instid1(VALU_DEP_3)
	v_cndmask_b32_e64 v4, v4, v5, s3
	v_cndmask_b32_e64 v5, 0x7f800000, 0, s5
	v_cmp_gt_f32_e64 s3, 0, v9
	v_bfi_b32 v4, 0x7fffffff, v4, v6
	s_xor_b32 s3, s3, s4
	s_delay_alu instid0(SALU_CYCLE_1) | instskip(NEXT) | instid1(VALU_DEP_2)
	v_cndmask_b32_e64 v6, 0x7f800000, 0, s3
	v_cndmask_b32_e32 v7, 0x7fc00000, v4, vcc_lo
	v_cmp_neq_f32_e64 vcc_lo, |v3|, 1.0
	s_delay_alu instid0(VALU_DEP_3) | instskip(SKIP_4) | instid1(VALU_DEP_2)
	v_bfi_b32 v6, 0x7fffffff, v6, v10
	v_cndmask_b32_e32 v5, 1.0, v5, vcc_lo
	v_cmp_gt_f32_e32 vcc_lo, 0, v3
	v_cndmask_b32_e32 v4, v4, v7, vcc_lo
	v_cmp_class_f32_e64 vcc_lo, v9, 0x204
	v_cndmask_b32_e32 v4, v4, v5, vcc_lo
	s_or_b32 vcc_lo, s4, s2
	s_wait_loadcnt 0x0
	v_cvt_f32_i32_e32 v5, v8
	s_load_b128 s[4:7], s[0:1], 0x40
	v_cndmask_b32_e32 v4, v4, v6, vcc_lo
	v_cmp_o_f32_e32 vcc_lo, v3, v3
	s_delay_alu instid0(VALU_DEP_2) | instskip(NEXT) | instid1(VALU_DEP_1)
	v_cndmask_b32_e32 v3, 0x7fc00000, v4, vcc_lo
	v_mul_f32_e32 v3, v3, v5
	s_delay_alu instid0(VALU_DEP_1) | instskip(SKIP_3) | instid1(VALU_DEP_2)
	v_div_scale_f32 v4, null, v22, v22, v3
	v_div_scale_f32 v7, vcc_lo, v3, v22, v3
	s_wait_kmcnt 0x0
	s_cmp_eq_f32 s5, 0
	v_rcp_f32_e32 v5, v4
	v_nop
	s_delay_alu instid0(TRANS32_DEP_1) | instskip(NEXT) | instid1(VALU_DEP_1)
	v_fma_f32 v6, -v4, v5, 1.0
	v_fmac_f32_e32 v5, v6, v5
	s_delay_alu instid0(VALU_DEP_1) | instskip(NEXT) | instid1(VALU_DEP_1)
	v_mul_f32_e32 v6, v7, v5
	v_fma_f32 v8, -v4, v6, v7
	s_delay_alu instid0(VALU_DEP_1) | instskip(NEXT) | instid1(VALU_DEP_1)
	v_fmac_f32_e32 v6, v8, v5
	v_fma_f32 v4, -v4, v6, v7
	s_delay_alu instid0(VALU_DEP_1) | instskip(NEXT) | instid1(VALU_DEP_1)
	v_div_fmas_f32 v4, v4, v5, v6
	v_div_fixup_f32 v4, v4, v22, v3
	s_delay_alu instid0(VALU_DEP_1)
	v_mul_f32_e32 v5, s4, v4
	s_cbranch_scc1 .LBB21_9
; %bb.8:
	v_cvt_f32_i32_e32 v1, v1
	s_sub_f32 s0, s8, s7
	v_div_scale_f32 v6, null, s4, s4, 1.0
	s_delay_alu instid0(SALU_CYCLE_2) | instskip(SKIP_4) | instid1(VALU_DEP_3)
	s_max_num_f32 s1, s0, 0x3a83126f
	v_subrev_f32_e32 v1, s7, v1
	v_rcp_f32_e32 v8, v6
	v_nop
	v_xor_b32_e32 v6, 0x80000000, v6
	v_div_scale_f32 v3, null, s1, s1, v1
	s_delay_alu instid0(TRANS32_DEP_1) | instid1(VALU_DEP_2)
	v_fma_f32 v10, v6, v8, 1.0
	s_delay_alu instid0(VALU_DEP_2) | instskip(SKIP_1) | instid1(TRANS32_DEP_1)
	v_rcp_f32_e32 v7, v3
	v_nop
	v_fma_f32 v9, -v3, v7, 1.0
	s_delay_alu instid0(VALU_DEP_1) | instskip(SKIP_2) | instid1(VALU_DEP_2)
	v_fmac_f32_e32 v7, v9, v7
	v_div_scale_f32 v11, vcc_lo, v1, s1, v1
	v_div_scale_f32 v9, s0, 1.0, s4, 1.0
	v_dual_fmac_f32 v8, v10, v8 :: v_dual_mul_f32 v10, v11, v7
	s_delay_alu instid0(VALU_DEP_1) | instskip(NEXT) | instid1(VALU_DEP_1)
	v_dual_mul_f32 v12, v9, v8 :: v_dual_fma_f32 v13, -v3, v10, v11
	v_dual_fma_f32 v14, v6, v12, v9 :: v_dual_fmac_f32 v10, v13, v7
	s_delay_alu instid0(VALU_DEP_1) | instskip(NEXT) | instid1(VALU_DEP_1)
	v_dual_fmac_f32 v12, v14, v8 :: v_dual_fma_f32 v3, -v3, v10, v11
	v_fmac_f32_e32 v9, v6, v12
	s_delay_alu instid0(VALU_DEP_2) | instskip(SKIP_1) | instid1(VALU_DEP_2)
	v_div_fmas_f32 v3, v3, v7, v10
	s_mov_b32 vcc_lo, s0
	v_div_fmas_f32 v6, v9, v8, v12
	s_delay_alu instid0(VALU_DEP_2) | instskip(NEXT) | instid1(VALU_DEP_2)
	v_div_fixup_f32 v1, v3, s1, v1 clamp
	v_div_fixup_f32 v6, v6, s4, 1.0
	s_delay_alu instid0(VALU_DEP_1) | instskip(SKIP_2) | instid1(SALU_CYCLE_1)
	v_readfirstlane_b32 s0, v6
	s_cmp_lt_f32 s0, 0x800000
	s_cselect_b32 s0, 0x4f800000, 1.0
	v_mul_f32_e32 v6, s0, v6
	s_cselect_b32 s0, 0x41b17218, 0
	s_delay_alu instid0(VALU_DEP_1) | instskip(SKIP_1) | instid1(TRANS32_DEP_1)
	v_log_f32_e32 v6, v6
	v_nop
	v_and_b32_e32 v3, 0x7fffffff, v6
	s_delay_alu instid0(VALU_DEP_1) | instskip(SKIP_2) | instid1(VALU_DEP_1)
	v_cmp_gt_f32_e32 vcc_lo, 0x7f800000, v3
	v_sub_f32_e32 v1, 1.0, v1
	v_mul_f32_e32 v7, 0x3f317217, v6
	v_xor_b32_e32 v7, 0x80000000, v7
	s_delay_alu instid0(VALU_DEP_1) | instskip(NEXT) | instid1(VALU_DEP_1)
	v_fmac_f32_e32 v7, 0x3f317217, v6
	v_fmamk_f32 v7, v6, 0x3377d1cf, v7
	s_delay_alu instid0(VALU_DEP_1) | instskip(NEXT) | instid1(VALU_DEP_1)
	v_fmac_f32_e32 v7, 0x3f317217, v6
	v_dual_cndmask_b32 v3, v6, v7 :: v_dual_mul_f32 v6, s5, v1
	v_fma_f32 v7, -s5, v1, 1.0
	s_delay_alu instid0(VALU_DEP_2) | instskip(NEXT) | instid1(VALU_DEP_2)
	v_dual_mov_b32 v1, 1.0 :: v_dual_subrev_f32 v3, s0, v3
	v_pk_mul_f32 v[4:5], v[6:7], v[4:5]
	s_delay_alu instid0(VALU_DEP_2) | instskip(NEXT) | instid1(VALU_DEP_2)
	v_fmamk_f32 v1, v3, 0x3dcccccd, v1
	v_add_f32_e32 v5, v4, v5
	s_delay_alu instid0(VALU_DEP_2)
	v_mul_f32_e32 v6, s6, v1
	s_branch .LBB21_10
.LBB21_9:
	v_mov_b32_e32 v6, s6
.LBB21_10:
	s_delay_alu instid0(VALU_DEP_2) | instskip(SKIP_1) | instid1(VALU_DEP_2)
	v_and_b32_e32 v1, 0x7fffffff, v5
	v_cmp_ngt_f32_e64 s2, 0x48000000, |v5|
                                        ; implicit-def: $vgpr7
                                        ; implicit-def: $vgpr4
	v_lshrrev_b32_e32 v3, 23, v1
	s_and_saveexec_b32 s0, s2
	s_delay_alu instid0(SALU_CYCLE_1)
	s_xor_b32 s3, exec_lo, s0
	s_cbranch_execz .LBB21_12
; %bb.11:
	s_mov_b32 s0, 0x7fffff
	v_mov_b32_e32 v9, 0
	v_and_or_b32 v8, v1, s0, 0x800000
	s_mov_b64 s[0:1], 0xfe5163ab
	s_delay_alu instid0(VALU_DEP_1) | instid1(SALU_CYCLE_1)
	v_mul_u64_e32 v[10:11], s[0:1], v[8:9]
	s_delay_alu instid0(VALU_DEP_1) | instskip(SKIP_2) | instid1(VALU_DEP_3)
	v_dual_mov_b32 v12, v11 :: v_dual_mov_b32 v13, v9
	v_dual_mov_b32 v15, v9 :: v_dual_mov_b32 v17, v9
	;; [unrolled: 1-line block ×3, first 2 shown]
	v_mad_nc_u64_u32 v[12:13], 0x3c439041, v8, v[12:13]
	s_delay_alu instid0(VALU_DEP_1) | instskip(NEXT) | instid1(VALU_DEP_1)
	v_dual_mov_b32 v23, v9 :: v_dual_mov_b32 v14, v13
	v_mad_nc_u64_u32 v[14:15], 0xdb629599, v8, v[14:15]
	s_delay_alu instid0(VALU_DEP_1) | instskip(NEXT) | instid1(VALU_DEP_1)
	v_mov_b32_e32 v16, v15
	v_mad_nc_u64_u32 v[16:17], 0xf534ddc0, v8, v[16:17]
	s_delay_alu instid0(VALU_DEP_1) | instskip(NEXT) | instid1(VALU_DEP_1)
	v_mov_b32_e32 v18, v17
	v_mad_nc_u64_u32 v[18:19], 0xfc2757d1, v8, v[18:19]
	s_delay_alu instid0(VALU_DEP_1) | instskip(NEXT) | instid1(VALU_DEP_1)
	v_mov_b32_e32 v20, v19
	v_mad_nc_u64_u32 v[20:21], 0x4e441529, v8, v[20:21]
	v_add_nc_u32_e32 v4, 0xffffff88, v3
	s_delay_alu instid0(VALU_DEP_1) | instskip(SKIP_1) | instid1(VALU_DEP_4)
	v_cmp_lt_u32_e32 vcc_lo, 63, v4
	v_cndmask_b32_e64 v7, 0, 0xffffffc0, vcc_lo
	v_dual_cndmask_b32 v11, v20, v16 :: v_dual_mov_b32 v22, v21
	s_delay_alu instid0(VALU_DEP_2) | instskip(NEXT) | instid1(VALU_DEP_2)
	v_dual_cndmask_b32 v13, v18, v14 :: v_dual_add_nc_u32 v4, v7, v4
	v_mad_nc_u64_u32 v[8:9], 0xa2f9836e, v8, v[22:23]
	s_delay_alu instid0(VALU_DEP_2) | instskip(NEXT) | instid1(VALU_DEP_1)
	v_cmp_lt_u32_e64 s0, 31, v4
	v_cndmask_b32_e64 v7, 0, 0xffffffe0, s0
	s_delay_alu instid0(VALU_DEP_3) | instskip(NEXT) | instid1(VALU_DEP_2)
	v_dual_cndmask_b32 v8, v8, v18 :: v_dual_cndmask_b32 v9, v9, v20
	v_add_nc_u32_e32 v4, v7, v4
	s_delay_alu instid0(VALU_DEP_1) | instskip(NEXT) | instid1(VALU_DEP_1)
	v_cmp_lt_u32_e64 s1, 31, v4
	v_cndmask_b32_e64 v7, 0, 0xffffffe0, s1
	s_delay_alu instid0(VALU_DEP_1) | instskip(SKIP_2) | instid1(VALU_DEP_3)
	v_add_nc_u32_e32 v4, v7, v4
	v_cndmask_b32_e32 v7, v16, v12, vcc_lo
	v_dual_cndmask_b32 v12, v8, v11, s0 :: v_dual_cndmask_b32 v8, v9, v8, s0
	v_dual_cndmask_b32 v9, v11, v13, s0 :: v_dual_sub_nc_u32 v11, 32, v4
	s_delay_alu instid0(VALU_DEP_2) | instskip(NEXT) | instid1(VALU_DEP_2)
	v_dual_cndmask_b32 v13, v13, v7, s0 :: v_dual_cndmask_b32 v8, v8, v12, s1
	v_cndmask_b32_e64 v12, v12, v9, s1
	s_delay_alu instid0(VALU_DEP_2) | instskip(NEXT) | instid1(VALU_DEP_2)
	v_cndmask_b32_e64 v9, v9, v13, s1
	v_alignbit_b32 v15, v8, v12, v11
	v_cndmask_b32_e32 v10, v14, v10, vcc_lo
	v_cmp_eq_u32_e32 vcc_lo, 0, v4
	s_delay_alu instid0(VALU_DEP_4) | instskip(NEXT) | instid1(VALU_DEP_4)
	v_alignbit_b32 v14, v12, v9, v11
	v_cndmask_b32_e32 v4, v15, v8, vcc_lo
	s_delay_alu instid0(VALU_DEP_2) | instskip(NEXT) | instid1(VALU_DEP_2)
	v_dual_cndmask_b32 v7, v7, v10, s0 :: v_dual_cndmask_b32 v8, v14, v12, vcc_lo
	v_bfe_u32 v10, v4, 29, 1
	s_delay_alu instid0(VALU_DEP_2) | instskip(NEXT) | instid1(VALU_DEP_3)
	v_cndmask_b32_e64 v7, v13, v7, s1
	v_alignbit_b32 v12, v4, v8, 30
	s_delay_alu instid0(VALU_DEP_3) | instskip(NEXT) | instid1(VALU_DEP_3)
	v_sub_nc_u32_e32 v13, 0, v10
	v_alignbit_b32 v11, v9, v7, v11
	s_delay_alu instid0(VALU_DEP_2) | instskip(NEXT) | instid1(VALU_DEP_2)
	v_xor_b32_e32 v12, v12, v13
	v_cndmask_b32_e32 v9, v11, v9, vcc_lo
	s_delay_alu instid0(VALU_DEP_2) | instskip(NEXT) | instid1(VALU_DEP_2)
	v_clz_i32_u32_e32 v11, v12
	v_alignbit_b32 v8, v8, v9, 30
	v_alignbit_b32 v7, v9, v7, 30
	s_delay_alu instid0(VALU_DEP_3) | instskip(NEXT) | instid1(VALU_DEP_3)
	v_min_u32_e32 v11, 32, v11
	v_xor_b32_e32 v8, v8, v13
	s_delay_alu instid0(VALU_DEP_3) | instskip(NEXT) | instid1(VALU_DEP_3)
	v_dual_lshrrev_b32 v13, 29, v4 :: v_dual_bitop2_b32 v7, v7, v13 bitop3:0x14
	v_dual_sub_nc_u32 v9, 31, v11 :: v_dual_lshlrev_b32 v14, 23, v11
	s_delay_alu instid0(VALU_DEP_1) | instskip(NEXT) | instid1(VALU_DEP_3)
	v_alignbit_b32 v12, v12, v8, v9
	v_alignbit_b32 v7, v8, v7, v9
	s_delay_alu instid0(VALU_DEP_4) | instskip(NEXT) | instid1(VALU_DEP_2)
	v_lshlrev_b32_e32 v8, 31, v13
	v_alignbit_b32 v9, v12, v7, 9
	s_delay_alu instid0(VALU_DEP_2) | instskip(SKIP_2) | instid1(VALU_DEP_4)
	v_or_b32_e32 v13, 0.5, v8
	v_lshrrev_b32_e32 v12, 9, v12
	v_or_b32_e32 v8, 0x33000000, v8
	v_clz_i32_u32_e32 v15, v9
	s_delay_alu instid0(VALU_DEP_4) | instskip(NEXT) | instid1(VALU_DEP_2)
	v_sub_nc_u32_e32 v13, v13, v14
	v_min_u32_e32 v14, 32, v15
	s_delay_alu instid0(VALU_DEP_2) | instskip(NEXT) | instid1(VALU_DEP_2)
	v_or_b32_e32 v12, v12, v13
	v_not_b32_e32 v13, v14
	v_add_lshl_u32 v11, v14, v11, 23
	s_delay_alu instid0(VALU_DEP_2) | instskip(NEXT) | instid1(VALU_DEP_2)
	v_alignbit_b32 v7, v9, v7, v13
	v_sub_nc_u32_e32 v8, v8, v11
	s_delay_alu instid0(VALU_DEP_2) | instskip(SKIP_1) | instid1(VALU_DEP_2)
	v_lshrrev_b32_e32 v7, 9, v7
	v_mul_f32_e32 v15, 0x3fc90fda, v12
	v_or_b32_e32 v7, v8, v7
	s_delay_alu instid0(VALU_DEP_2) | instskip(NEXT) | instid1(VALU_DEP_1)
	v_fma_f32 v9, 0x3fc90fda, v12, -v15
	v_fmamk_f32 v9, v12, 0x33a22168, v9
	s_delay_alu instid0(VALU_DEP_1) | instskip(NEXT) | instid1(VALU_DEP_1)
	v_fmac_f32_e32 v9, 0x3fc90fda, v7
	v_dual_add_f32 v4, v15, v9 :: v_dual_lshrrev_b32 v7, 30, v4
	s_delay_alu instid0(VALU_DEP_1)
	v_add_nc_u32_e32 v7, v10, v7
	s_or_saveexec_b32 s0, s3
	v_mul_f32_e64 v10, 0x3f22f983, |v5|
	s_xor_b32 exec_lo, exec_lo, s0
	s_branch .LBB21_13
.LBB21_12:
	s_or_saveexec_b32 s0, s3
	v_mul_f32_e64 v10, 0x3f22f983, |v5|
	s_xor_b32 exec_lo, exec_lo, s0
.LBB21_13:
	s_delay_alu instid0(VALU_DEP_1) | instskip(NEXT) | instid1(VALU_DEP_1)
	v_rndne_f32_e32 v7, v10
	v_fma_f32 v4, 0xbfc90fda, v7, |v5|
	s_delay_alu instid0(VALU_DEP_1) | instskip(NEXT) | instid1(VALU_DEP_1)
	v_fmamk_f32 v4, v7, 0xb3a22168, v4
	v_fmamk_f32 v4, v7, 0xa7c234c4, v4
	v_cvt_i32_f32_e32 v7, v7
; %bb.14:
	s_or_b32 exec_lo, exec_lo, s0
                                        ; implicit-def: $vgpr9
                                        ; implicit-def: $vgpr8
	s_and_saveexec_b32 s0, s2
	s_delay_alu instid0(SALU_CYCLE_1)
	s_xor_b32 s2, exec_lo, s0
	s_cbranch_execz .LBB21_16
; %bb.15:
	s_mov_b32 s0, 0x7fffff
	v_mov_b32_e32 v9, 0
	v_and_or_b32 v8, v1, s0, 0x800000
	s_mov_b64 s[0:1], 0xfe5163ab
	v_add_nc_u32_e32 v3, 0xffffff88, v3
	s_delay_alu instid0(VALU_DEP_2) | instskip(NEXT) | instid1(VALU_DEP_2)
	v_mul_u64_e32 v[10:11], s[0:1], v[8:9]
	v_cmp_lt_u32_e32 vcc_lo, 63, v3
	s_delay_alu instid0(VALU_DEP_2) | instskip(SKIP_2) | instid1(VALU_DEP_3)
	v_dual_mov_b32 v12, v11 :: v_dual_mov_b32 v13, v9
	v_dual_mov_b32 v15, v9 :: v_dual_mov_b32 v17, v9
	;; [unrolled: 1-line block ×3, first 2 shown]
	v_mad_nc_u64_u32 v[12:13], 0x3c439041, v8, v[12:13]
	v_cndmask_b32_e64 v11, 0, 0xffffffc0, vcc_lo
	s_delay_alu instid0(VALU_DEP_1) | instskip(NEXT) | instid1(VALU_DEP_3)
	v_dual_mov_b32 v23, v9 :: v_dual_add_nc_u32 v3, v11, v3
	v_mov_b32_e32 v14, v13
	s_delay_alu instid0(VALU_DEP_2) | instskip(NEXT) | instid1(VALU_DEP_2)
	v_cmp_lt_u32_e64 s0, 31, v3
	v_mad_nc_u64_u32 v[14:15], 0xdb629599, v8, v[14:15]
	s_delay_alu instid0(VALU_DEP_2) | instskip(NEXT) | instid1(VALU_DEP_1)
	v_cndmask_b32_e64 v11, 0, 0xffffffe0, s0
	v_add_nc_u32_e32 v3, v11, v3
	s_delay_alu instid0(VALU_DEP_3) | instskip(NEXT) | instid1(VALU_DEP_2)
	v_mov_b32_e32 v16, v15
	v_cmp_lt_u32_e64 s1, 31, v3
	v_cndmask_b32_e32 v10, v14, v10, vcc_lo
	s_delay_alu instid0(VALU_DEP_3) | instskip(NEXT) | instid1(VALU_DEP_3)
	v_mad_nc_u64_u32 v[16:17], 0xf534ddc0, v8, v[16:17]
	v_cndmask_b32_e64 v11, 0, 0xffffffe0, s1
	s_delay_alu instid0(VALU_DEP_1) | instskip(NEXT) | instid1(VALU_DEP_3)
	v_dual_add_nc_u32 v3, v11, v3 :: v_dual_cndmask_b32 v11, v16, v12, vcc_lo
	v_mov_b32_e32 v18, v17
	s_delay_alu instid0(VALU_DEP_1) | instskip(NEXT) | instid1(VALU_DEP_1)
	v_mad_nc_u64_u32 v[18:19], 0xfc2757d1, v8, v[18:19]
	v_dual_mov_b32 v20, v19 :: v_dual_cndmask_b32 v15, v18, v14
	s_delay_alu instid0(VALU_DEP_1) | instskip(NEXT) | instid1(VALU_DEP_1)
	v_mad_nc_u64_u32 v[20:21], 0x4e441529, v8, v[20:21]
	v_dual_mov_b32 v22, v21 :: v_dual_cndmask_b32 v13, v20, v16
	s_delay_alu instid0(VALU_DEP_1) | instskip(NEXT) | instid1(VALU_DEP_1)
	v_mad_nc_u64_u32 v[8:9], 0xa2f9836e, v8, v[22:23]
	v_dual_cndmask_b32 v8, v8, v18 :: v_dual_cndmask_b32 v9, v9, v20
	v_cmp_eq_u32_e32 vcc_lo, 0, v3
	s_delay_alu instid0(VALU_DEP_2) | instskip(SKIP_2) | instid1(VALU_DEP_3)
	v_dual_cndmask_b32 v12, v8, v13, s0 :: v_dual_cndmask_b32 v8, v9, v8, s0
	v_cndmask_b32_e64 v9, v13, v15, s0
	v_sub_nc_u32_e32 v13, 32, v3
	v_dual_cndmask_b32 v15, v15, v11, s0 :: v_dual_cndmask_b32 v8, v8, v12, s1
	s_delay_alu instid0(VALU_DEP_3) | instskip(NEXT) | instid1(VALU_DEP_1)
	v_cndmask_b32_e64 v12, v12, v9, s1
	v_alignbit_b32 v16, v8, v12, v13
	s_delay_alu instid0(VALU_DEP_1) | instskip(NEXT) | instid1(VALU_DEP_1)
	v_dual_cndmask_b32 v9, v9, v15, s1 :: v_dual_cndmask_b32 v3, v16, v8, vcc_lo
	v_alignbit_b32 v14, v12, v9, v13
	v_cndmask_b32_e64 v8, v11, v10, s0
	s_delay_alu instid0(VALU_DEP_3) | instskip(NEXT) | instid1(VALU_DEP_3)
	v_bfe_u32 v11, v3, 29, 1
	v_cndmask_b32_e32 v10, v14, v12, vcc_lo
	s_delay_alu instid0(VALU_DEP_2) | instskip(NEXT) | instid1(VALU_DEP_2)
	v_dual_cndmask_b32 v8, v15, v8, s1 :: v_dual_sub_nc_u32 v14, 0, v11
	v_alignbit_b32 v12, v3, v10, 30
	s_delay_alu instid0(VALU_DEP_2) | instskip(NEXT) | instid1(VALU_DEP_1)
	v_alignbit_b32 v13, v9, v8, v13
	v_dual_cndmask_b32 v9, v13, v9, vcc_lo :: v_dual_bitop2_b32 v12, v12, v14 bitop3:0x14
	s_delay_alu instid0(VALU_DEP_1) | instskip(NEXT) | instid1(VALU_DEP_2)
	v_clz_i32_u32_e32 v13, v12
	v_alignbit_b32 v10, v10, v9, 30
	v_alignbit_b32 v8, v9, v8, 30
	s_delay_alu instid0(VALU_DEP_3) | instskip(NEXT) | instid1(VALU_DEP_3)
	v_min_u32_e32 v13, 32, v13
	v_xor_b32_e32 v9, v10, v14
	s_delay_alu instid0(VALU_DEP_3) | instskip(NEXT) | instid1(VALU_DEP_3)
	v_dual_lshrrev_b32 v14, 29, v3 :: v_dual_bitop2_b32 v8, v8, v14 bitop3:0x14
	v_dual_lshrrev_b32 v3, 30, v3 :: v_dual_sub_nc_u32 v10, 31, v13
	v_lshlrev_b32_e32 v15, 23, v13
	s_delay_alu instid0(VALU_DEP_2) | instskip(NEXT) | instid1(VALU_DEP_4)
	v_alignbit_b32 v12, v12, v9, v10
	v_alignbit_b32 v8, v9, v8, v10
	v_lshlrev_b32_e32 v9, 31, v14
	s_delay_alu instid0(VALU_DEP_2) | instskip(NEXT) | instid1(VALU_DEP_2)
	v_alignbit_b32 v10, v12, v8, 9
	v_dual_lshrrev_b32 v12, 9, v12 :: v_dual_bitop2_b32 v14, 0.5, v9 bitop3:0x54
	v_or_b32_e32 v9, 0x33000000, v9
	s_delay_alu instid0(VALU_DEP_3) | instskip(NEXT) | instid1(VALU_DEP_3)
	v_clz_i32_u32_e32 v16, v10
	v_sub_nc_u32_e32 v14, v14, v15
	s_delay_alu instid0(VALU_DEP_2) | instskip(NEXT) | instid1(VALU_DEP_1)
	v_min_u32_e32 v15, 32, v16
	v_add_lshl_u32 v13, v15, v13, 23
	s_delay_alu instid0(VALU_DEP_1) | instskip(SKIP_1) | instid1(VALU_DEP_1)
	v_dual_sub_nc_u32 v9, v9, v13 :: v_dual_bitop2_b32 v12, v12, v14 bitop3:0x54
	v_not_b32_e32 v14, v15
	v_alignbit_b32 v8, v10, v8, v14
	s_delay_alu instid0(VALU_DEP_1) | instskip(NEXT) | instid1(VALU_DEP_4)
	v_lshrrev_b32_e32 v8, 9, v8
	v_mul_f32_e32 v16, 0x3fc90fda, v12
	s_delay_alu instid0(VALU_DEP_2) | instskip(NEXT) | instid1(VALU_DEP_2)
	v_or_b32_e32 v8, v9, v8
	v_fma_f32 v10, 0x3fc90fda, v12, -v16
	s_delay_alu instid0(VALU_DEP_1) | instskip(NEXT) | instid1(VALU_DEP_1)
	v_dual_fmamk_f32 v10, v12, 0x33a22168, v10 :: v_dual_add_nc_u32 v9, v11, v3
	v_fmac_f32_e32 v10, 0x3fc90fda, v8
	s_delay_alu instid0(VALU_DEP_1)
	v_add_f32_e32 v8, v16, v10
                                        ; implicit-def: $vgpr10
	s_and_not1_saveexec_b32 s0, s2
	s_cbranch_execnz .LBB21_17
	s_branch .LBB21_18
.LBB21_16:
	s_and_not1_saveexec_b32 s0, s2
.LBB21_17:
	v_rndne_f32_e32 v3, v10
	s_delay_alu instid0(VALU_DEP_1) | instskip(SKIP_1) | instid1(VALU_DEP_2)
	v_fma_f32 v8, 0xbfc90fda, v3, |v5|
	v_cvt_i32_f32_e32 v9, v3
	v_fmamk_f32 v8, v3, 0xb3a22168, v8
	s_delay_alu instid0(VALU_DEP_1)
	v_fmamk_f32 v8, v3, 0xa7c234c4, v8
.LBB21_18:
	s_or_b32 exec_lo, exec_lo, s0
	v_ashrrev_i32_e32 v3, 31, v2
	s_lshr_b32 s0, s21, 31
	s_mov_b32 s2, 0xb94c1982
	s_add_co_i32 s0, s21, s0
	s_mov_b32 s3, 0x37d75334
	s_ashr_i32 s0, s0, 1
	v_lshl_add_u64 v[10:11], v[2:3], 2, s[12:13]
	s_ashr_i32 s1, s0, 31
	v_mul_f32_e32 v3, v8, v8
	s_lshl_b64 s[0:1], s[0:1], 2
	s_delay_alu instid0(VALU_DEP_2) | instid1(SALU_CYCLE_1)
	v_add_nc_u64_e32 v[10:11], s[0:1], v[10:11]
	s_clause 0x1
	global_load_b32 v12, v[10:11], off
	global_load_b32 v13, v2, s[12:13] scale_offset
	s_wait_xcnt 0x0
	v_dual_mul_f32 v2, v4, v4 :: v_dual_bitop2_b32 v10, 1, v7 bitop3:0x40
	v_fmaak_f32 v15, s2, v3, 0x3c0881c4
	v_lshlrev_b32_e32 v7, 30, v7
	v_fmaak_f32 v16, s3, v3, 0xbab64f3b
	s_delay_alu instid0(VALU_DEP_4) | instskip(SKIP_2) | instid1(VALU_DEP_1)
	v_fmaak_f32 v14, s3, v2, 0xbab64f3b
	v_cmp_eq_u32_e32 vcc_lo, 0, v10
	v_fmaak_f32 v15, v3, v15, 0xbe2aaa9d
	v_dual_fmaak_f32 v14, v2, v14, 0x3d2aabf7 :: v_dual_mul_f32 v15, v3, v15
	s_delay_alu instid0(VALU_DEP_1) | instskip(NEXT) | instid1(VALU_DEP_1)
	v_dual_fmaak_f32 v11, s2, v2, 0x3c0881c4 :: v_dual_fmac_f32 v8, v8, v15
	v_fmaak_f32 v11, v2, v11, 0xbe2aaa9d
	v_dual_lshlrev_b32 v9, 30, v9 :: v_dual_bitop2_b32 v17, 1, v9 bitop3:0x40
	s_delay_alu instid0(VALU_DEP_2) | instskip(SKIP_1) | instid1(VALU_DEP_3)
	v_dual_fmaak_f32 v16, v3, v16, 0x3d2aabf7 :: v_dual_mul_f32 v11, v2, v11
	v_xor_b32_e32 v1, v1, v5
	v_and_b32_e32 v9, 0x80000000, v9
	s_delay_alu instid0(VALU_DEP_3) | instskip(NEXT) | instid1(VALU_DEP_4)
	v_fmaak_f32 v16, v3, v16, 0xbf000004
	v_fmac_f32_e32 v4, v4, v11
	s_delay_alu instid0(VALU_DEP_2) | instskip(SKIP_1) | instid1(VALU_DEP_1)
	v_fma_f32 v3, v3, v16, 1.0
	v_fmaak_f32 v14, v2, v14, 0xbf000004
	v_fma_f32 v2, v2, v14, 1.0
	s_delay_alu instid0(VALU_DEP_1) | instskip(SKIP_1) | instid1(VALU_DEP_2)
	v_cndmask_b32_e64 v2, -v4, v2, vcc_lo
	v_cmp_eq_u32_e32 vcc_lo, 0, v17
	v_bitop3_b32 v2, v7, v2, 0x80000000 bitop3:0x6c
	v_cndmask_b32_e32 v3, v3, v8, vcc_lo
	v_cmp_class_f32_e64 vcc_lo, v5, 0x1f8
	s_delay_alu instid0(VALU_DEP_2) | instskip(NEXT) | instid1(VALU_DEP_4)
	v_xor3_b32 v1, v1, v9, v3
	v_cndmask_b32_e32 v4, 0x7fc00000, v2, vcc_lo
	s_delay_alu instid0(VALU_DEP_2) | instskip(NEXT) | instid1(VALU_DEP_1)
	v_dual_cndmask_b32 v2, 0x7fc00000, v1 :: v_dual_ashrrev_i32 v1, 31, v0
	v_mul_f32_e64 v5, v2, -v6
	s_delay_alu instid0(VALU_DEP_2) | instskip(NEXT) | instid1(VALU_DEP_4)
	v_lshl_add_u64 v[2:3], v[0:1], 2, s[14:15]
	v_mul_f32_e32 v1, v6, v4
	s_delay_alu instid0(VALU_DEP_2) | instskip(SKIP_3) | instid1(VALU_DEP_1)
	v_add_nc_u64_e32 v[2:3], s[0:1], v[2:3]
	s_wait_loadcnt 0x1
	v_mul_f32_e32 v4, v12, v5
	s_wait_loadcnt 0x0
	v_fma_f32 v4, v1, v13, -v4
	v_mul_f32_e32 v5, v13, v5
	s_delay_alu instid0(VALU_DEP_1)
	v_fmac_f32_e32 v5, v1, v12
	s_clause 0x1
	global_store_b32 v0, v4, s[14:15] scale_offset
	global_store_b32 v[2:3], v5, off
.LBB21_19:
	s_endpgm
	.section	.rodata,"a",@progbits
	.p2align	6, 0x0
	.amdhsa_kernel _ZL9rope_neoxILb0ELb1EffEvPKT1_PT2_iiiiiiiiiiPKifff14rope_corr_dimsfPKfPKli
		.amdhsa_group_segment_fixed_size 0
		.amdhsa_private_segment_fixed_size 0
		.amdhsa_kernarg_size 368
		.amdhsa_user_sgpr_count 2
		.amdhsa_user_sgpr_dispatch_ptr 0
		.amdhsa_user_sgpr_queue_ptr 0
		.amdhsa_user_sgpr_kernarg_segment_ptr 1
		.amdhsa_user_sgpr_dispatch_id 0
		.amdhsa_user_sgpr_kernarg_preload_length 0
		.amdhsa_user_sgpr_kernarg_preload_offset 0
		.amdhsa_user_sgpr_private_segment_size 0
		.amdhsa_wavefront_size32 1
		.amdhsa_uses_dynamic_stack 0
		.amdhsa_enable_private_segment 0
		.amdhsa_system_sgpr_workgroup_id_x 1
		.amdhsa_system_sgpr_workgroup_id_y 1
		.amdhsa_system_sgpr_workgroup_id_z 0
		.amdhsa_system_sgpr_workgroup_info 0
		.amdhsa_system_vgpr_workitem_id 1
		.amdhsa_next_free_vgpr 24
		.amdhsa_next_free_sgpr 22
		.amdhsa_named_barrier_count 0
		.amdhsa_reserve_vcc 1
		.amdhsa_float_round_mode_32 0
		.amdhsa_float_round_mode_16_64 0
		.amdhsa_float_denorm_mode_32 3
		.amdhsa_float_denorm_mode_16_64 3
		.amdhsa_fp16_overflow 0
		.amdhsa_memory_ordered 1
		.amdhsa_forward_progress 1
		.amdhsa_inst_pref_size 38
		.amdhsa_round_robin_scheduling 0
		.amdhsa_exception_fp_ieee_invalid_op 0
		.amdhsa_exception_fp_denorm_src 0
		.amdhsa_exception_fp_ieee_div_zero 0
		.amdhsa_exception_fp_ieee_overflow 0
		.amdhsa_exception_fp_ieee_underflow 0
		.amdhsa_exception_fp_ieee_inexact 0
		.amdhsa_exception_int_div_zero 0
	.end_amdhsa_kernel
	.section	.text._ZL9rope_neoxILb0ELb1EffEvPKT1_PT2_iiiiiiiiiiPKifff14rope_corr_dimsfPKfPKli,"axG",@progbits,_ZL9rope_neoxILb0ELb1EffEvPKT1_PT2_iiiiiiiiiiPKifff14rope_corr_dimsfPKfPKli,comdat
.Lfunc_end21:
	.size	_ZL9rope_neoxILb0ELb1EffEvPKT1_PT2_iiiiiiiiiiPKifff14rope_corr_dimsfPKfPKli, .Lfunc_end21-_ZL9rope_neoxILb0ELb1EffEvPKT1_PT2_iiiiiiiiiiPKifff14rope_corr_dimsfPKfPKli
                                        ; -- End function
	.set _ZL9rope_neoxILb0ELb1EffEvPKT1_PT2_iiiiiiiiiiPKifff14rope_corr_dimsfPKfPKli.num_vgpr, 24
	.set _ZL9rope_neoxILb0ELb1EffEvPKT1_PT2_iiiiiiiiiiPKifff14rope_corr_dimsfPKfPKli.num_agpr, 0
	.set _ZL9rope_neoxILb0ELb1EffEvPKT1_PT2_iiiiiiiiiiPKifff14rope_corr_dimsfPKfPKli.numbered_sgpr, 22
	.set _ZL9rope_neoxILb0ELb1EffEvPKT1_PT2_iiiiiiiiiiPKifff14rope_corr_dimsfPKfPKli.num_named_barrier, 0
	.set _ZL9rope_neoxILb0ELb1EffEvPKT1_PT2_iiiiiiiiiiPKifff14rope_corr_dimsfPKfPKli.private_seg_size, 0
	.set _ZL9rope_neoxILb0ELb1EffEvPKT1_PT2_iiiiiiiiiiPKifff14rope_corr_dimsfPKfPKli.uses_vcc, 1
	.set _ZL9rope_neoxILb0ELb1EffEvPKT1_PT2_iiiiiiiiiiPKifff14rope_corr_dimsfPKfPKli.uses_flat_scratch, 0
	.set _ZL9rope_neoxILb0ELb1EffEvPKT1_PT2_iiiiiiiiiiPKifff14rope_corr_dimsfPKfPKli.has_dyn_sized_stack, 0
	.set _ZL9rope_neoxILb0ELb1EffEvPKT1_PT2_iiiiiiiiiiPKifff14rope_corr_dimsfPKfPKli.has_recursion, 0
	.set _ZL9rope_neoxILb0ELb1EffEvPKT1_PT2_iiiiiiiiiiPKifff14rope_corr_dimsfPKfPKli.has_indirect_call, 0
	.section	.AMDGPU.csdata,"",@progbits
; Kernel info:
; codeLenInByte = 4796
; TotalNumSgprs: 24
; NumVgprs: 24
; ScratchSize: 0
; MemoryBound: 0
; FloatMode: 240
; IeeeMode: 1
; LDSByteSize: 0 bytes/workgroup (compile time only)
; SGPRBlocks: 0
; VGPRBlocks: 1
; NumSGPRsForWavesPerEU: 24
; NumVGPRsForWavesPerEU: 24
; NamedBarCnt: 0
; Occupancy: 16
; WaveLimiterHint : 0
; COMPUTE_PGM_RSRC2:SCRATCH_EN: 0
; COMPUTE_PGM_RSRC2:USER_SGPR: 2
; COMPUTE_PGM_RSRC2:TRAP_HANDLER: 0
; COMPUTE_PGM_RSRC2:TGID_X_EN: 1
; COMPUTE_PGM_RSRC2:TGID_Y_EN: 1
; COMPUTE_PGM_RSRC2:TGID_Z_EN: 0
; COMPUTE_PGM_RSRC2:TIDIG_COMP_CNT: 1
	.section	.text._ZL9rope_neoxILb0ELb0Ef6__halfEvPKT1_PT2_iiiiiiiiiiPKifff14rope_corr_dimsfPKfPKli,"axG",@progbits,_ZL9rope_neoxILb0ELb0Ef6__halfEvPKT1_PT2_iiiiiiiiiiPKifff14rope_corr_dimsfPKfPKli,comdat
	.globl	_ZL9rope_neoxILb0ELb0Ef6__halfEvPKT1_PT2_iiiiiiiiiiPKifff14rope_corr_dimsfPKfPKli ; -- Begin function _ZL9rope_neoxILb0ELb0Ef6__halfEvPKT1_PT2_iiiiiiiiiiPKifff14rope_corr_dimsfPKfPKli
	.p2align	8
	.type	_ZL9rope_neoxILb0ELb0Ef6__halfEvPKT1_PT2_iiiiiiiiiiPKifff14rope_corr_dimsfPKfPKli,@function
_ZL9rope_neoxILb0ELb0Ef6__halfEvPKT1_PT2_iiiiiiiiiiPKifff14rope_corr_dimsfPKfPKli: ; @_ZL9rope_neoxILb0ELb0Ef6__halfEvPKT1_PT2_iiiiiiiiiiPKifff14rope_corr_dimsfPKfPKli
; %bb.0:
	s_clause 0x1
	s_load_u16 s3, s[0:1], 0x7e
	s_load_b256 s[4:11], s[0:1], 0x10
	s_bfe_u32 s2, ttmp6, 0x40010
	s_bfe_u32 s13, ttmp6, 0x40004
	s_add_co_i32 s2, s2, 1
	v_bfe_u32 v1, v0, 10, 10
	s_mul_i32 s12, ttmp7, s2
	s_getreg_b32 s2, hwreg(HW_REG_IB_STS2, 6, 4)
	s_add_co_i32 s13, s13, s12
	s_cmp_eq_u32 s2, 0
	s_cselect_b32 s12, ttmp7, s13
	s_wait_kmcnt 0x0
	s_mul_i32 s12, s12, s3
	s_mov_b32 s3, exec_lo
	v_add_lshl_u32 v3, s12, v1, 1
	s_delay_alu instid0(VALU_DEP_1)
	v_cmpx_gt_i32_e64 s4, v3
	s_cbranch_execz .LBB22_19
; %bb.1:
	s_add_nc_u64 s[12:13], s[0:1], 0x70
	s_bfe_u32 s4, ttmp6, 0x4000c
	s_load_b32 s3, s[12:13], 0xc
	s_add_co_i32 s4, s4, 1
	s_wait_xcnt 0x0
	s_and_b32 s12, ttmp6, 15
	s_mul_i32 s4, ttmp9, s4
	v_and_b32_e32 v0, 0x3ff, v0
	s_add_co_i32 s12, s12, s4
	s_load_b64 s[16:17], s[0:1], 0x30
	s_wait_kmcnt 0x0
	s_and_b32 s3, s3, 0xffff
	s_cmp_eq_u32 s2, 0
	s_mul_i32 s2, s6, s5
	s_cselect_b32 s4, ttmp9, s12
	s_abs_i32 s6, s2
	v_mad_u32 v2, s4, s3, v0
	s_cvt_f32_u32 s12, s6
	s_sub_co_i32 s4, 0, s6
	s_delay_alu instid0(SALU_CYCLE_2) | instskip(NEXT) | instid1(VALU_DEP_1)
	v_rcp_iflag_f32_e32 v1, s12
	v_sub_nc_u32_e32 v0, 0, v2
	s_delay_alu instid0(TRANS32_DEP_1) | instskip(NEXT) | instid1(VALU_DEP_2)
	v_readfirstlane_b32 s3, v1
	v_max_i32_e32 v0, v2, v0
	s_mul_f32 s3, s3, 0x4f7ffffe
	s_delay_alu instid0(SALU_CYCLE_3) | instskip(NEXT) | instid1(SALU_CYCLE_3)
	s_cvt_u32_f32 s3, s3
	s_mul_i32 s4, s4, s3
	s_delay_alu instid0(SALU_CYCLE_1) | instskip(NEXT) | instid1(SALU_CYCLE_1)
	s_mul_hi_u32 s4, s3, s4
	s_add_co_i32 s3, s3, s4
	s_delay_alu instid0(SALU_CYCLE_1) | instskip(SKIP_1) | instid1(VALU_DEP_1)
	v_mul_hi_u32 v1, v0, s3
	s_cvt_f32_u32 s3, s5
	v_mul_lo_u32 v4, v1, s6
	s_delay_alu instid0(VALU_DEP_1) | instskip(NEXT) | instid1(VALU_DEP_1)
	v_dual_sub_nc_u32 v0, v0, v4 :: v_dual_add_nc_u32 v4, 1, v1
	v_cmp_le_u32_e32 vcc_lo, s6, v0
	s_delay_alu instid0(VALU_DEP_2) | instskip(SKIP_1) | instid1(VALU_DEP_1)
	v_cndmask_b32_e32 v1, v1, v4, vcc_lo
	v_subrev_nc_u32_e32 v5, s6, v0
	v_dual_cndmask_b32 v0, v0, v5, vcc_lo :: v_dual_bitop2_b32 v4, s2, v2 bitop3:0x14
	s_delay_alu instid0(VALU_DEP_3) | instskip(NEXT) | instid1(VALU_DEP_2)
	v_add_nc_u32_e32 v5, 1, v1
	v_cmp_le_u32_e32 vcc_lo, s6, v0
	s_delay_alu instid0(VALU_DEP_2) | instskip(SKIP_1) | instid1(VALU_DEP_1)
	v_dual_ashrrev_i32 v4, 31, v4 :: v_dual_cndmask_b32 v0, v1, v5, vcc_lo
	v_rcp_iflag_f32_e32 v1, s3
	v_xor_b32_e32 v0, v0, v4
	s_delay_alu instid0(TRANS32_DEP_1) | instskip(NEXT) | instid1(VALU_DEP_2)
	v_readfirstlane_b32 s3, v1
	v_sub_nc_u32_e32 v0, v0, v4
	s_delay_alu instid0(VALU_DEP_1) | instskip(SKIP_2) | instid1(SALU_CYCLE_2)
	v_mul_lo_u32 v1, s2, v0
	s_mul_f32 s2, s3, 0x4f7ffffe
	s_sub_co_i32 s3, 0, s5
	s_cvt_u32_f32 s2, s2
	s_delay_alu instid0(SALU_CYCLE_3) | instskip(NEXT) | instid1(VALU_DEP_1)
	s_mul_i32 s3, s3, s2
	v_sub_nc_u32_e32 v2, v2, v1
	s_mul_hi_u32 s3, s2, s3
	s_delay_alu instid0(SALU_CYCLE_1)
	s_add_co_i32 s2, s2, s3
	s_delay_alu instid0(VALU_DEP_1) | instid1(SALU_CYCLE_1)
	v_mul_hi_u32 v1, v2, s2
	s_load_b32 s2, s[0:1], 0x68
	s_delay_alu instid0(VALU_DEP_1) | instskip(SKIP_2) | instid1(VALU_DEP_1)
	v_mul_lo_u32 v4, v1, s5
	s_wait_kmcnt 0x0
	s_cmp_eq_u32 s2, 0
	v_sub_nc_u32_e32 v4, v2, v4
	s_delay_alu instid0(VALU_DEP_1) | instskip(SKIP_1) | instid1(VALU_DEP_2)
	v_subrev_nc_u32_e32 v6, s5, v4
	v_cmp_le_u32_e32 vcc_lo, s5, v4
	v_dual_cndmask_b32 v4, v4, v6 :: v_dual_add_nc_u32 v5, 1, v1
	s_delay_alu instid0(VALU_DEP_1) | instskip(NEXT) | instid1(VALU_DEP_2)
	v_cndmask_b32_e32 v1, v1, v5, vcc_lo
	v_cmp_le_u32_e32 vcc_lo, s5, v4
	s_delay_alu instid0(VALU_DEP_2) | instskip(NEXT) | instid1(VALU_DEP_1)
	v_add_nc_u32_e32 v5, 1, v1
	v_cndmask_b32_e32 v4, v1, v5, vcc_lo
	s_cbranch_scc1 .LBB22_3
; %bb.2:
	s_load_b64 s[12:13], s[0:1], 0x60
	v_mov_b32_e32 v5, 0
	s_wait_kmcnt 0x0
	s_delay_alu instid0(VALU_DEP_1)
	v_lshl_add_u64 v[6:7], v[4:5], 3, s[12:13]
	global_load_b32 v1, v[6:7], off
	s_wait_loadcnt 0x0
	v_mul_lo_u32 v5, s2, v1
	s_branch .LBB22_4
.LBB22_3:
	v_mul_lo_u32 v1, v0, s16
	s_delay_alu instid0(VALU_DEP_1)
	v_mad_u32 v5, v4, s11, v1
.LBB22_4:
	v_mul_lo_u32 v6, v4, s5
	v_ashrrev_i32_e32 v1, 1, v3
	s_load_b128 s[12:15], s[0:1], 0x0
	s_mov_b32 s2, exec_lo
	s_delay_alu instid0(VALU_DEP_2) | instskip(NEXT) | instid1(VALU_DEP_2)
	v_sub_nc_u32_e32 v2, v2, v6
	v_mad_u32 v0, v0, s9, v1
	s_delay_alu instid0(VALU_DEP_2) | instskip(NEXT) | instid1(VALU_DEP_2)
	v_mul_lo_u32 v6, v2, s10
	v_mad_u32 v0, v4, s8, v0
	s_delay_alu instid0(VALU_DEP_1) | instskip(NEXT) | instid1(VALU_DEP_3)
	v_mad_u32 v2, v2, s7, v0
	v_add3_u32 v0, v6, v1, v5
	v_cmpx_le_i32_e64 s17, v3
	s_xor_b32 s2, exec_lo, s2
	s_cbranch_execz .LBB22_6
; %bb.5:
	s_delay_alu instid0(VALU_DEP_2)
	v_dual_add_nc_u32 v2, v2, v1 :: v_dual_add_nc_u32 v0, v0, v1
                                        ; implicit-def: $vgpr4
	s_wait_kmcnt 0x0
	global_load_b32 v3, v2, s[12:13] scale_offset
	s_wait_loadcnt 0x0
	v_cvt_f16_f32_e32 v3, v3
	global_store_b16 v0, v3, s[14:15] scale_offset
	global_load_b32 v1, v2, s[12:13] offset:4 scale_offset
                                        ; implicit-def: $vgpr2
                                        ; implicit-def: $vgpr3
	s_wait_loadcnt 0x0
	v_cvt_f16_f32_e32 v1, v1
	global_store_b16 v0, v1, s[14:15] offset:2 scale_offset
                                        ; implicit-def: $vgpr0
                                        ; implicit-def: $vgpr1
.LBB22_6:
	s_wait_xcnt 0x0
	s_and_not1_saveexec_b32 s2, s2
	s_cbranch_execz .LBB22_19
; %bb.7:
	s_load_b64 s[6:7], s[0:1], 0x50
	v_cvt_f32_i32_e32 v3, v3
	s_mov_b32 s4, 0x3e76c4e1
	s_clause 0x1
	s_load_b64 s[2:3], s[0:1], 0x38
	s_load_b128 s[8:11], s[0:1], 0x40
	v_mul_f32_e32 v3, 0.5, v3
	s_wait_kmcnt 0x0
	s_cmp_neq_f32 s7, 1.0
	global_load_b32 v22, v4, s[2:3] scale_offset
	s_cselect_b32 vcc_lo, -1, 0
	v_cndmask_b32_e32 v5, 1.0, v3, vcc_lo
	s_delay_alu instid0(VALU_DEP_1) | instskip(SKIP_1) | instid1(VALU_DEP_1)
	v_cmp_neq_f32_e32 vcc_lo, 0, v5
	v_cndmask_b32_e64 v3, 1.0, s7, vcc_lo
	v_frexp_mant_f32_e64 v6, |v3|
	v_cmp_lt_f32_e64 s7, |v3|, 1.0
	v_cmp_class_f32_e64 s0, v3, 0x204
	s_delay_alu instid0(VALU_DEP_3) | instskip(SKIP_1) | instid1(VALU_DEP_1)
	v_cmp_gt_f32_e32 vcc_lo, 0x3f2aaaab, v6
	v_cndmask_b32_e64 v7, 1.0, 2.0, vcc_lo
	v_mul_f32_e32 v6, v6, v7
	s_delay_alu instid0(VALU_DEP_1) | instskip(SKIP_1) | instid1(VALU_DEP_2)
	v_dual_add_f32 v9, 1.0, v6 :: v_dual_add_f32 v7, -1.0, v6
	v_cmp_neq_f32_e64 s5, v5, |v5|
	v_rcp_f32_e32 v12, v9
	v_add_f32_e32 v10, -1.0, v9
	s_xor_b32 s5, s5, s7
	s_delay_alu instid0(TRANS32_DEP_1) | instid1(VALU_DEP_1)
	v_dual_mul_f32 v13, v7, v12 :: v_dual_sub_f32 v6, v6, v10
	s_delay_alu instid0(VALU_DEP_1) | instskip(NEXT) | instid1(VALU_DEP_1)
	v_mul_f32_e32 v8, v9, v13
	v_fma_f32 v10, v13, v9, -v8
	s_delay_alu instid0(VALU_DEP_1) | instskip(NEXT) | instid1(VALU_DEP_1)
	v_fmac_f32_e32 v10, v13, v6
	v_add_f32_e32 v6, v8, v10
	s_delay_alu instid0(VALU_DEP_1) | instskip(NEXT) | instid1(VALU_DEP_1)
	v_dual_sub_f32 v9, v7, v6 :: v_dual_mov_b32 v11, v6
	v_pk_add_f32 v[6:7], v[6:7], v[8:9] neg_lo:[0,1] neg_hi:[0,1]
	s_delay_alu instid0(VALU_DEP_1) | instskip(NEXT) | instid1(VALU_DEP_1)
	v_pk_add_f32 v[6:7], v[6:7], v[10:11] neg_lo:[0,1] neg_hi:[0,1]
	v_add_f32_e32 v6, v6, v7
	s_delay_alu instid0(VALU_DEP_1) | instskip(NEXT) | instid1(VALU_DEP_1)
	v_add_f32_e32 v6, v9, v6
	v_mul_f32_e32 v7, v12, v6
	s_delay_alu instid0(VALU_DEP_1) | instskip(NEXT) | instid1(VALU_DEP_1)
	v_add_f32_e32 v6, v13, v7
	v_sub_f32_e32 v8, v6, v13
	s_delay_alu instid0(VALU_DEP_1) | instskip(NEXT) | instid1(VALU_DEP_1)
	v_sub_f32_e32 v18, v7, v8
	v_add_f32_e32 v8, v18, v18
	v_mul_f32_e32 v9, v6, v6
	s_delay_alu instid0(VALU_DEP_1) | instskip(NEXT) | instid1(VALU_DEP_1)
	v_fma_f32 v7, v6, v6, -v9
	v_fmac_f32_e32 v7, v6, v8
	s_delay_alu instid0(VALU_DEP_1) | instskip(NEXT) | instid1(VALU_DEP_1)
	v_add_f32_e32 v8, v9, v7
	v_dual_fmaak_f32 v10, s4, v8, 0x3e91f4c4 :: v_dual_sub_f32 v9, v8, v9
	v_cmp_eq_f32_e64 s4, 0, v3
	s_delay_alu instid0(VALU_DEP_2) | instskip(SKIP_1) | instid1(VALU_DEP_2)
	v_fmaak_f32 v12, v8, v10, 0x3ecccdef
	v_cvt_f64_f32_e64 v[10:11], |v3|
	v_dual_sub_f32 v16, v7, v9 :: v_dual_mul_f32 v13, v8, v12
	s_delay_alu instid0(VALU_DEP_1) | instskip(NEXT) | instid1(VALU_DEP_1)
	v_fma_f32 v7, v8, v12, -v13
	v_fmac_f32_e32 v7, v16, v12
	s_wait_xcnt 0x0
	s_delay_alu instid0(VALU_DEP_1) | instskip(NEXT) | instid1(VALU_DEP_1)
	v_add_f32_e32 v4, v13, v7
	v_sub_f32_e32 v9, v4, v13
	v_add_f32_e32 v13, 0x3f2aaaaa, v4
	s_delay_alu instid0(VALU_DEP_2) | instskip(NEXT) | instid1(VALU_DEP_2)
	v_sub_f32_e32 v7, v7, v9
	v_add_f32_e32 v9, 0xbf2aaaaa, v13
	v_frexp_exp_i32_f64_e32 v17, v[10:11]
	s_delay_alu instid0(VALU_DEP_3) | instskip(NEXT) | instid1(VALU_DEP_3)
	v_add_f32_e32 v7, 0x31739010, v7
	v_sub_f32_e32 v9, v4, v9
	s_delay_alu instid0(VALU_DEP_1) | instskip(NEXT) | instid1(VALU_DEP_1)
	v_pk_mul_f32 v[10:11], v[6:7], v[8:9]
	v_fma_f32 v12, v8, v6, -v10
	s_delay_alu instid0(VALU_DEP_1) | instskip(NEXT) | instid1(VALU_DEP_1)
	v_fmac_f32_e32 v12, v8, v18
	v_fmac_f32_e32 v12, v16, v6
	v_pk_add_f32 v[14:15], v[6:7], v[8:9]
	s_delay_alu instid0(VALU_DEP_1) | instskip(SKIP_1) | instid1(VALU_DEP_2)
	v_mov_b32_e32 v11, v15
	v_subrev_co_ci_u32_e64 v7, null, 0, v17, vcc_lo
	v_pk_add_f32 v[8:9], v[10:11], v[12:13]
	s_delay_alu instid0(VALU_DEP_1) | instskip(NEXT) | instid1(VALU_DEP_1)
	v_mov_b32_e32 v4, v9
	v_pk_mul_f32 v[16:17], v[8:9], v[4:5]
	v_sub_f32_e32 v11, v13, v9
	v_cvt_f32_i32_e32 v4, v7
	s_delay_alu instid0(VALU_DEP_3) | instskip(NEXT) | instid1(VALU_DEP_2)
	v_dual_sub_f32 v7, v8, v10 :: v_dual_fma_f32 v10, v8, v9, -v16
	v_dual_add_f32 v11, v15, v11 :: v_dual_mul_f32 v14, 0x3f317218, v4
	s_delay_alu instid0(VALU_DEP_2) | instskip(NEXT) | instid1(VALU_DEP_2)
	v_sub_f32_e32 v7, v12, v7
	v_fmac_f32_e32 v10, v8, v11
	s_delay_alu instid0(VALU_DEP_3) | instskip(NEXT) | instid1(VALU_DEP_2)
	v_fma_f32 v8, 0x3f317218, v4, -v14
	v_fmac_f32_e32 v10, v7, v9
	v_ldexp_f32 v9, v6, 1
	s_delay_alu instid0(VALU_DEP_2) | instskip(NEXT) | instid1(VALU_DEP_2)
	v_add_f32_e32 v15, v16, v10
	v_dual_fmamk_f32 v8, v4, 0xb102e308, v8 :: v_dual_mov_b32 v17, v9
	v_ldexp_f32 v4, v18, 1
	s_delay_alu instid0(VALU_DEP_3) | instskip(NEXT) | instid1(VALU_DEP_3)
	v_mov_b32_e32 v11, v15
	v_pk_add_f32 v[6:7], v[14:15], v[8:9]
	s_delay_alu instid0(VALU_DEP_1) | instskip(SKIP_1) | instid1(VALU_DEP_1)
	v_dual_mov_b32 v13, v7 :: v_dual_mov_b32 v9, v6
	v_dual_mov_b32 v12, v15 :: v_dual_mov_b32 v20, v7
	v_pk_add_f32 v[12:13], v[12:13], v[16:17] neg_lo:[0,1] neg_hi:[0,1]
	s_delay_alu instid0(VALU_DEP_1) | instskip(NEXT) | instid1(VALU_DEP_1)
	v_pk_add_f32 v[10:11], v[10:11], v[12:13] neg_lo:[0,1] neg_hi:[0,1]
	v_add_f32_e32 v4, v4, v10
	s_delay_alu instid0(VALU_DEP_1) | instskip(NEXT) | instid1(VALU_DEP_1)
	v_add_f32_e32 v15, v4, v11
	v_pk_add_f32 v[10:11], v[6:7], v[14:15]
	v_pk_add_f32 v[12:13], v[6:7], v[14:15] neg_lo:[0,1] neg_hi:[0,1]
	s_delay_alu instid0(VALU_DEP_2) | instskip(NEXT) | instid1(VALU_DEP_1)
	v_mov_b32_e32 v13, v11
	v_pk_add_f32 v[16:17], v[8:9], v[12:13]
	v_pk_add_f32 v[8:9], v[8:9], v[12:13] neg_lo:[0,1] neg_hi:[0,1]
	s_delay_alu instid0(VALU_DEP_2) | instskip(NEXT) | instid1(VALU_DEP_1)
	v_dual_mov_b32 v4, v17 :: v_dual_mov_b32 v9, v17
	v_pk_add_f32 v[18:19], v[4:5], v[6:7] neg_lo:[0,1] neg_hi:[0,1]
	v_dual_mov_b32 v16, v11 :: v_dual_mov_b32 v7, v6
	s_delay_alu instid0(VALU_DEP_2) | instskip(SKIP_1) | instid1(VALU_DEP_2)
	v_dual_mov_b32 v6, v15 :: v_dual_mov_b32 v21, v18
	v_mov_b32_e32 v15, v18
	v_pk_add_f32 v[12:13], v[16:17], v[20:21] neg_lo:[0,1] neg_hi:[0,1]
	s_delay_alu instid0(VALU_DEP_2) | instskip(SKIP_1) | instid1(VALU_DEP_3)
	v_pk_add_f32 v[10:11], v[10:11], v[14:15] neg_lo:[0,1] neg_hi:[0,1]
	v_mov_b32_e32 v10, v8
	v_pk_add_f32 v[6:7], v[6:7], v[12:13] neg_lo:[0,1] neg_hi:[0,1]
	s_delay_alu instid0(VALU_DEP_1) | instskip(NEXT) | instid1(VALU_DEP_1)
	v_pk_add_f32 v[10:11], v[10:11], v[6:7]
	v_mov_b32_e32 v12, v11
	s_delay_alu instid0(VALU_DEP_1) | instskip(NEXT) | instid1(VALU_DEP_1)
	v_pk_add_f32 v[12:13], v[10:11], v[12:13]
	v_pk_add_f32 v[14:15], v[4:5], v[12:13]
	s_delay_alu instid0(VALU_DEP_1) | instskip(NEXT) | instid1(VALU_DEP_1)
	v_dual_mov_b32 v7, v12 :: v_dual_mov_b32 v11, v14
	v_pk_add_f32 v[16:17], v[10:11], v[8:9] neg_lo:[0,1] neg_hi:[0,1]
	s_delay_alu instid0(VALU_DEP_1) | instskip(NEXT) | instid1(VALU_DEP_2)
	v_sub_f32_e32 v4, v10, v16
	v_pk_add_f32 v[6:7], v[6:7], v[16:17] neg_lo:[0,1] neg_hi:[0,1]
	s_delay_alu instid0(VALU_DEP_2) | instskip(NEXT) | instid1(VALU_DEP_1)
	v_sub_f32_e32 v4, v8, v4
	v_add_f32_e32 v4, v6, v4
	s_delay_alu instid0(VALU_DEP_1) | instskip(NEXT) | instid1(VALU_DEP_1)
	v_add_f32_e32 v4, v4, v7
	v_add_f32_e32 v6, v14, v4
	s_delay_alu instid0(VALU_DEP_1) | instskip(NEXT) | instid1(VALU_DEP_1)
	v_sub_f32_e32 v7, v6, v14
	v_dual_sub_f32 v4, v4, v7 :: v_dual_mul_f32 v8, v5, v6
	s_delay_alu instid0(VALU_DEP_1) | instskip(SKIP_1) | instid1(VALU_DEP_2)
	v_fma_f32 v6, v5, v6, -v8
	v_cmp_class_f32_e64 vcc_lo, v8, 0x204
	v_fmac_f32_e32 v6, v5, v4
	s_delay_alu instid0(VALU_DEP_1) | instskip(NEXT) | instid1(VALU_DEP_1)
	v_add_f32_e32 v4, v8, v6
	v_cndmask_b32_e32 v7, v4, v8, vcc_lo
	s_delay_alu instid0(VALU_DEP_1) | instskip(SKIP_1) | instid1(VALU_DEP_1)
	v_cmp_eq_f32_e32 vcc_lo, 0x42b17218, v7
	v_cndmask_b32_e64 v9, 0, 0x37000000, vcc_lo
	v_sub_f32_e32 v10, v7, v9
	s_delay_alu instid0(VALU_DEP_1) | instskip(NEXT) | instid1(VALU_DEP_1)
	v_mul_f32_e32 v11, 0x3fb8aa3b, v10
	v_fma_f32 v12, 0x3fb8aa3b, v10, -v11
	v_rndne_f32_e32 v13, v11
	s_delay_alu instid0(VALU_DEP_1) | instskip(SKIP_3) | instid1(VALU_DEP_4)
	v_dual_fmamk_f32 v12, v10, 0x32a5705f, v12 :: v_dual_sub_f32 v11, v11, v13
	v_sub_f32_e32 v4, v4, v8
	v_cmp_neq_f32_e64 vcc_lo, 0x7f800000, |v7|
	v_trunc_f32_e32 v7, v5
	v_add_f32_e32 v11, v11, v12
	s_delay_alu instid0(VALU_DEP_4) | instskip(NEXT) | instid1(VALU_DEP_2)
	v_sub_f32_e32 v4, v6, v4
	v_exp_f32_e32 v8, v11
	v_nop
	v_cvt_i32_f32_e32 v11, v13
	s_delay_alu instid0(VALU_DEP_3)
	v_cndmask_b32_e32 v4, 0, v4, vcc_lo
	v_cmp_ngt_f32_e32 vcc_lo, 0xc2ce8ed0, v10
	s_delay_alu instid0(TRANS32_DEP_1) | instid1(VALU_DEP_3)
	v_ldexp_f32 v6, v8, v11
	s_delay_alu instid0(VALU_DEP_1) | instskip(NEXT) | instid1(VALU_DEP_1)
	v_dual_mul_f32 v8, 0.5, v5 :: v_dual_cndmask_b32 v6, 0, v6, vcc_lo
	v_trunc_f32_e32 v11, v8
	v_cmp_nlt_f32_e32 vcc_lo, 0x42b17218, v10
	s_delay_alu instid0(VALU_DEP_2) | instskip(NEXT) | instid1(VALU_DEP_4)
	v_cmp_neq_f32_e64 s2, v11, v8
	v_cndmask_b32_e32 v6, 0x7f800000, v6, vcc_lo
	v_cmp_eq_f32_e32 vcc_lo, v7, v5
	s_delay_alu instid0(VALU_DEP_2) | instskip(SKIP_1) | instid1(SALU_CYCLE_1)
	v_cmp_class_f32_e64 s3, v6, 0x204
	s_and_b32 s2, vcc_lo, s2
	v_dual_add_f32 v4, v9, v4 :: v_dual_cndmask_b32 v9, 0, v3, s2
	s_delay_alu instid0(VALU_DEP_1) | instskip(NEXT) | instid1(VALU_DEP_1)
	v_dual_cndmask_b32 v7, 1.0, v3, s2 :: v_dual_fma_f32 v4, v6, v4, v6
	v_cndmask_b32_e64 v4, v4, v6, s3
	v_cndmask_b32_e64 v6, 0x7f800000, 0, s5
	v_cmp_gt_f32_e64 s3, 0, v5
	s_delay_alu instid0(VALU_DEP_3) | instskip(SKIP_1) | instid1(SALU_CYCLE_1)
	v_bfi_b32 v4, 0x7fffffff, v4, v7
	s_xor_b32 s3, s3, s4
	v_cndmask_b32_e64 v7, 0x7f800000, 0, s3
	s_delay_alu instid0(VALU_DEP_2) | instskip(SKIP_1) | instid1(VALU_DEP_3)
	v_cndmask_b32_e32 v8, 0x7fc00000, v4, vcc_lo
	v_cmp_neq_f32_e64 vcc_lo, |v3|, 1.0
	v_bfi_b32 v7, 0x7fffffff, v7, v9
	v_cndmask_b32_e32 v6, 1.0, v6, vcc_lo
	v_cmp_gt_f32_e32 vcc_lo, 0, v3
	v_cndmask_b32_e32 v4, v4, v8, vcc_lo
	v_cmp_class_f32_e64 vcc_lo, v5, 0x204
	s_wait_loadcnt 0x0
	v_cvt_f32_i32_e32 v5, v22
	s_delay_alu instid0(VALU_DEP_3) | instskip(SKIP_2) | instid1(VALU_DEP_1)
	v_cndmask_b32_e32 v4, v4, v6, vcc_lo
	s_or_b32 vcc_lo, s4, s0
	s_cmp_eq_f32 s9, 0
	v_cndmask_b32_e32 v4, v4, v7, vcc_lo
	v_cmp_o_f32_e32 vcc_lo, v3, v3
	s_delay_alu instid0(VALU_DEP_2) | instskip(NEXT) | instid1(VALU_DEP_1)
	v_cndmask_b32_e32 v3, 0x7fc00000, v4, vcc_lo
	v_mul_f32_e32 v4, v3, v5
	s_delay_alu instid0(VALU_DEP_1)
	v_mul_f32_e32 v5, s8, v4
	s_cbranch_scc1 .LBB22_9
; %bb.8:
	v_cvt_f32_i32_e32 v1, v1
	s_sub_f32 s0, s6, s11
	v_div_scale_f32 v6, null, s8, s8, 1.0
	s_delay_alu instid0(SALU_CYCLE_2) | instskip(SKIP_4) | instid1(VALU_DEP_3)
	s_max_num_f32 s1, s0, 0x3a83126f
	v_subrev_f32_e32 v1, s11, v1
	v_rcp_f32_e32 v8, v6
	v_nop
	v_xor_b32_e32 v6, 0x80000000, v6
	v_div_scale_f32 v3, null, s1, s1, v1
	s_delay_alu instid0(TRANS32_DEP_1) | instid1(VALU_DEP_2)
	v_fma_f32 v10, v6, v8, 1.0
	s_delay_alu instid0(VALU_DEP_2) | instskip(SKIP_1) | instid1(TRANS32_DEP_1)
	v_rcp_f32_e32 v7, v3
	v_nop
	v_fma_f32 v9, -v3, v7, 1.0
	s_delay_alu instid0(VALU_DEP_1) | instskip(SKIP_2) | instid1(VALU_DEP_2)
	v_fmac_f32_e32 v7, v9, v7
	v_div_scale_f32 v11, vcc_lo, v1, s1, v1
	v_div_scale_f32 v9, s0, 1.0, s8, 1.0
	v_dual_fmac_f32 v8, v10, v8 :: v_dual_mul_f32 v10, v11, v7
	s_delay_alu instid0(VALU_DEP_1) | instskip(NEXT) | instid1(VALU_DEP_1)
	v_dual_mul_f32 v12, v9, v8 :: v_dual_fma_f32 v13, -v3, v10, v11
	v_dual_fma_f32 v14, v6, v12, v9 :: v_dual_fmac_f32 v10, v13, v7
	s_delay_alu instid0(VALU_DEP_1) | instskip(NEXT) | instid1(VALU_DEP_1)
	v_dual_fmac_f32 v12, v14, v8 :: v_dual_fma_f32 v3, -v3, v10, v11
	v_fmac_f32_e32 v9, v6, v12
	s_delay_alu instid0(VALU_DEP_2) | instskip(SKIP_1) | instid1(VALU_DEP_2)
	v_div_fmas_f32 v3, v3, v7, v10
	s_mov_b32 vcc_lo, s0
	v_div_fmas_f32 v6, v9, v8, v12
	s_delay_alu instid0(VALU_DEP_2) | instskip(NEXT) | instid1(VALU_DEP_2)
	v_div_fixup_f32 v1, v3, s1, v1 clamp
	v_div_fixup_f32 v6, v6, s8, 1.0
	s_delay_alu instid0(VALU_DEP_1) | instskip(SKIP_2) | instid1(SALU_CYCLE_1)
	v_readfirstlane_b32 s0, v6
	s_cmp_lt_f32 s0, 0x800000
	s_cselect_b32 s0, 0x4f800000, 1.0
	v_mul_f32_e32 v6, s0, v6
	s_cselect_b32 s0, 0x41b17218, 0
	s_delay_alu instid0(VALU_DEP_1) | instskip(SKIP_1) | instid1(TRANS32_DEP_1)
	v_log_f32_e32 v6, v6
	v_nop
	v_and_b32_e32 v3, 0x7fffffff, v6
	s_delay_alu instid0(VALU_DEP_1) | instskip(SKIP_2) | instid1(VALU_DEP_1)
	v_cmp_gt_f32_e32 vcc_lo, 0x7f800000, v3
	v_sub_f32_e32 v1, 1.0, v1
	v_mul_f32_e32 v7, 0x3f317217, v6
	v_xor_b32_e32 v7, 0x80000000, v7
	s_delay_alu instid0(VALU_DEP_1) | instskip(NEXT) | instid1(VALU_DEP_1)
	v_fmac_f32_e32 v7, 0x3f317217, v6
	v_fmamk_f32 v7, v6, 0x3377d1cf, v7
	s_delay_alu instid0(VALU_DEP_1) | instskip(NEXT) | instid1(VALU_DEP_1)
	v_fmac_f32_e32 v7, 0x3f317217, v6
	v_dual_cndmask_b32 v3, v6, v7 :: v_dual_mul_f32 v6, s9, v1
	v_fma_f32 v7, -s9, v1, 1.0
	s_delay_alu instid0(VALU_DEP_2) | instskip(NEXT) | instid1(VALU_DEP_2)
	v_dual_mov_b32 v1, 1.0 :: v_dual_subrev_f32 v3, s0, v3
	v_pk_mul_f32 v[4:5], v[6:7], v[4:5]
	s_delay_alu instid0(VALU_DEP_2) | instskip(NEXT) | instid1(VALU_DEP_2)
	v_fmamk_f32 v1, v3, 0x3dcccccd, v1
	v_add_f32_e32 v5, v4, v5
	s_delay_alu instid0(VALU_DEP_2)
	v_mul_f32_e32 v6, s10, v1
	s_branch .LBB22_10
.LBB22_9:
	v_mov_b32_e32 v6, s10
.LBB22_10:
	s_delay_alu instid0(VALU_DEP_2) | instskip(SKIP_1) | instid1(VALU_DEP_2)
	v_and_b32_e32 v1, 0x7fffffff, v5
	v_cmp_ngt_f32_e64 s2, 0x48000000, |v5|
                                        ; implicit-def: $vgpr7
                                        ; implicit-def: $vgpr4
	v_lshrrev_b32_e32 v3, 23, v1
	s_and_saveexec_b32 s0, s2
	s_delay_alu instid0(SALU_CYCLE_1)
	s_xor_b32 s3, exec_lo, s0
	s_cbranch_execz .LBB22_12
; %bb.11:
	s_mov_b32 s0, 0x7fffff
	v_mov_b32_e32 v9, 0
	v_and_or_b32 v8, v1, s0, 0x800000
	s_mov_b64 s[0:1], 0xfe5163ab
	s_delay_alu instid0(VALU_DEP_1) | instid1(SALU_CYCLE_1)
	v_mul_u64_e32 v[10:11], s[0:1], v[8:9]
	s_delay_alu instid0(VALU_DEP_1) | instskip(SKIP_2) | instid1(VALU_DEP_3)
	v_dual_mov_b32 v12, v11 :: v_dual_mov_b32 v13, v9
	v_dual_mov_b32 v15, v9 :: v_dual_mov_b32 v17, v9
	;; [unrolled: 1-line block ×3, first 2 shown]
	v_mad_nc_u64_u32 v[12:13], 0x3c439041, v8, v[12:13]
	s_delay_alu instid0(VALU_DEP_1) | instskip(NEXT) | instid1(VALU_DEP_1)
	v_dual_mov_b32 v23, v9 :: v_dual_mov_b32 v14, v13
	v_mad_nc_u64_u32 v[14:15], 0xdb629599, v8, v[14:15]
	s_delay_alu instid0(VALU_DEP_1) | instskip(NEXT) | instid1(VALU_DEP_1)
	v_mov_b32_e32 v16, v15
	v_mad_nc_u64_u32 v[16:17], 0xf534ddc0, v8, v[16:17]
	s_delay_alu instid0(VALU_DEP_1) | instskip(NEXT) | instid1(VALU_DEP_1)
	v_mov_b32_e32 v18, v17
	;; [unrolled: 3-line block ×3, first 2 shown]
	v_mad_nc_u64_u32 v[20:21], 0x4e441529, v8, v[20:21]
	v_add_nc_u32_e32 v4, 0xffffff88, v3
	s_delay_alu instid0(VALU_DEP_1) | instskip(SKIP_1) | instid1(VALU_DEP_4)
	v_cmp_lt_u32_e32 vcc_lo, 63, v4
	v_cndmask_b32_e64 v7, 0, 0xffffffc0, vcc_lo
	v_dual_cndmask_b32 v11, v20, v16 :: v_dual_mov_b32 v22, v21
	s_delay_alu instid0(VALU_DEP_2) | instskip(NEXT) | instid1(VALU_DEP_2)
	v_dual_cndmask_b32 v13, v18, v14 :: v_dual_add_nc_u32 v4, v7, v4
	v_mad_nc_u64_u32 v[8:9], 0xa2f9836e, v8, v[22:23]
	s_delay_alu instid0(VALU_DEP_2) | instskip(NEXT) | instid1(VALU_DEP_1)
	v_cmp_lt_u32_e64 s0, 31, v4
	v_cndmask_b32_e64 v7, 0, 0xffffffe0, s0
	s_delay_alu instid0(VALU_DEP_3) | instskip(NEXT) | instid1(VALU_DEP_2)
	v_dual_cndmask_b32 v8, v8, v18 :: v_dual_cndmask_b32 v9, v9, v20
	v_add_nc_u32_e32 v4, v7, v4
	s_delay_alu instid0(VALU_DEP_1) | instskip(NEXT) | instid1(VALU_DEP_1)
	v_cmp_lt_u32_e64 s1, 31, v4
	v_cndmask_b32_e64 v7, 0, 0xffffffe0, s1
	s_delay_alu instid0(VALU_DEP_1) | instskip(SKIP_2) | instid1(VALU_DEP_3)
	v_add_nc_u32_e32 v4, v7, v4
	v_cndmask_b32_e32 v7, v16, v12, vcc_lo
	v_dual_cndmask_b32 v12, v8, v11, s0 :: v_dual_cndmask_b32 v8, v9, v8, s0
	v_dual_cndmask_b32 v9, v11, v13, s0 :: v_dual_sub_nc_u32 v11, 32, v4
	s_delay_alu instid0(VALU_DEP_2) | instskip(NEXT) | instid1(VALU_DEP_2)
	v_dual_cndmask_b32 v13, v13, v7, s0 :: v_dual_cndmask_b32 v8, v8, v12, s1
	v_cndmask_b32_e64 v12, v12, v9, s1
	s_delay_alu instid0(VALU_DEP_2) | instskip(NEXT) | instid1(VALU_DEP_2)
	v_cndmask_b32_e64 v9, v9, v13, s1
	v_alignbit_b32 v15, v8, v12, v11
	v_cndmask_b32_e32 v10, v14, v10, vcc_lo
	v_cmp_eq_u32_e32 vcc_lo, 0, v4
	s_delay_alu instid0(VALU_DEP_4) | instskip(NEXT) | instid1(VALU_DEP_4)
	v_alignbit_b32 v14, v12, v9, v11
	v_cndmask_b32_e32 v4, v15, v8, vcc_lo
	s_delay_alu instid0(VALU_DEP_2) | instskip(NEXT) | instid1(VALU_DEP_2)
	v_dual_cndmask_b32 v7, v7, v10, s0 :: v_dual_cndmask_b32 v8, v14, v12, vcc_lo
	v_bfe_u32 v10, v4, 29, 1
	s_delay_alu instid0(VALU_DEP_2) | instskip(NEXT) | instid1(VALU_DEP_3)
	v_cndmask_b32_e64 v7, v13, v7, s1
	v_alignbit_b32 v12, v4, v8, 30
	s_delay_alu instid0(VALU_DEP_3) | instskip(NEXT) | instid1(VALU_DEP_3)
	v_sub_nc_u32_e32 v13, 0, v10
	v_alignbit_b32 v11, v9, v7, v11
	s_delay_alu instid0(VALU_DEP_2) | instskip(NEXT) | instid1(VALU_DEP_2)
	v_xor_b32_e32 v12, v12, v13
	v_cndmask_b32_e32 v9, v11, v9, vcc_lo
	s_delay_alu instid0(VALU_DEP_2) | instskip(NEXT) | instid1(VALU_DEP_2)
	v_clz_i32_u32_e32 v11, v12
	v_alignbit_b32 v8, v8, v9, 30
	v_alignbit_b32 v7, v9, v7, 30
	s_delay_alu instid0(VALU_DEP_3) | instskip(NEXT) | instid1(VALU_DEP_3)
	v_min_u32_e32 v11, 32, v11
	v_xor_b32_e32 v8, v8, v13
	s_delay_alu instid0(VALU_DEP_3) | instskip(NEXT) | instid1(VALU_DEP_3)
	v_dual_lshrrev_b32 v13, 29, v4 :: v_dual_bitop2_b32 v7, v7, v13 bitop3:0x14
	v_dual_sub_nc_u32 v9, 31, v11 :: v_dual_lshlrev_b32 v14, 23, v11
	s_delay_alu instid0(VALU_DEP_1) | instskip(NEXT) | instid1(VALU_DEP_3)
	v_alignbit_b32 v12, v12, v8, v9
	v_alignbit_b32 v7, v8, v7, v9
	s_delay_alu instid0(VALU_DEP_4) | instskip(NEXT) | instid1(VALU_DEP_2)
	v_lshlrev_b32_e32 v8, 31, v13
	v_alignbit_b32 v9, v12, v7, 9
	s_delay_alu instid0(VALU_DEP_2) | instskip(SKIP_2) | instid1(VALU_DEP_4)
	v_or_b32_e32 v13, 0.5, v8
	v_lshrrev_b32_e32 v12, 9, v12
	v_or_b32_e32 v8, 0x33000000, v8
	v_clz_i32_u32_e32 v15, v9
	s_delay_alu instid0(VALU_DEP_4) | instskip(NEXT) | instid1(VALU_DEP_2)
	v_sub_nc_u32_e32 v13, v13, v14
	v_min_u32_e32 v14, 32, v15
	s_delay_alu instid0(VALU_DEP_2) | instskip(NEXT) | instid1(VALU_DEP_2)
	v_or_b32_e32 v12, v12, v13
	v_not_b32_e32 v13, v14
	v_add_lshl_u32 v11, v14, v11, 23
	s_delay_alu instid0(VALU_DEP_2) | instskip(NEXT) | instid1(VALU_DEP_2)
	v_alignbit_b32 v7, v9, v7, v13
	v_sub_nc_u32_e32 v8, v8, v11
	s_delay_alu instid0(VALU_DEP_2) | instskip(SKIP_1) | instid1(VALU_DEP_2)
	v_lshrrev_b32_e32 v7, 9, v7
	v_mul_f32_e32 v15, 0x3fc90fda, v12
	v_or_b32_e32 v7, v8, v7
	s_delay_alu instid0(VALU_DEP_2) | instskip(NEXT) | instid1(VALU_DEP_1)
	v_fma_f32 v9, 0x3fc90fda, v12, -v15
	v_fmamk_f32 v9, v12, 0x33a22168, v9
	s_delay_alu instid0(VALU_DEP_1) | instskip(NEXT) | instid1(VALU_DEP_1)
	v_fmac_f32_e32 v9, 0x3fc90fda, v7
	v_dual_add_f32 v4, v15, v9 :: v_dual_lshrrev_b32 v7, 30, v4
	s_delay_alu instid0(VALU_DEP_1)
	v_add_nc_u32_e32 v7, v10, v7
	s_or_saveexec_b32 s0, s3
	v_mul_f32_e64 v10, 0x3f22f983, |v5|
	s_xor_b32 exec_lo, exec_lo, s0
	s_branch .LBB22_13
.LBB22_12:
	s_or_saveexec_b32 s0, s3
	v_mul_f32_e64 v10, 0x3f22f983, |v5|
	s_xor_b32 exec_lo, exec_lo, s0
.LBB22_13:
	s_delay_alu instid0(VALU_DEP_1) | instskip(NEXT) | instid1(VALU_DEP_1)
	v_rndne_f32_e32 v7, v10
	v_fma_f32 v4, 0xbfc90fda, v7, |v5|
	s_delay_alu instid0(VALU_DEP_1) | instskip(NEXT) | instid1(VALU_DEP_1)
	v_fmamk_f32 v4, v7, 0xb3a22168, v4
	v_fmamk_f32 v4, v7, 0xa7c234c4, v4
	v_cvt_i32_f32_e32 v7, v7
; %bb.14:
	s_or_b32 exec_lo, exec_lo, s0
                                        ; implicit-def: $vgpr9
                                        ; implicit-def: $vgpr8
	s_and_saveexec_b32 s0, s2
	s_delay_alu instid0(SALU_CYCLE_1)
	s_xor_b32 s2, exec_lo, s0
	s_cbranch_execz .LBB22_16
; %bb.15:
	s_mov_b32 s0, 0x7fffff
	v_mov_b32_e32 v9, 0
	v_and_or_b32 v8, v1, s0, 0x800000
	s_mov_b64 s[0:1], 0xfe5163ab
	v_add_nc_u32_e32 v3, 0xffffff88, v3
	s_delay_alu instid0(VALU_DEP_2) | instskip(NEXT) | instid1(VALU_DEP_2)
	v_mul_u64_e32 v[10:11], s[0:1], v[8:9]
	v_cmp_lt_u32_e32 vcc_lo, 63, v3
	s_delay_alu instid0(VALU_DEP_2) | instskip(SKIP_2) | instid1(VALU_DEP_3)
	v_dual_mov_b32 v12, v11 :: v_dual_mov_b32 v13, v9
	v_dual_mov_b32 v15, v9 :: v_dual_mov_b32 v17, v9
	;; [unrolled: 1-line block ×3, first 2 shown]
	v_mad_nc_u64_u32 v[12:13], 0x3c439041, v8, v[12:13]
	v_cndmask_b32_e64 v11, 0, 0xffffffc0, vcc_lo
	s_delay_alu instid0(VALU_DEP_1) | instskip(NEXT) | instid1(VALU_DEP_3)
	v_dual_mov_b32 v23, v9 :: v_dual_add_nc_u32 v3, v11, v3
	v_mov_b32_e32 v14, v13
	s_delay_alu instid0(VALU_DEP_2) | instskip(NEXT) | instid1(VALU_DEP_2)
	v_cmp_lt_u32_e64 s0, 31, v3
	v_mad_nc_u64_u32 v[14:15], 0xdb629599, v8, v[14:15]
	s_delay_alu instid0(VALU_DEP_2) | instskip(NEXT) | instid1(VALU_DEP_1)
	v_cndmask_b32_e64 v11, 0, 0xffffffe0, s0
	v_add_nc_u32_e32 v3, v11, v3
	s_delay_alu instid0(VALU_DEP_3) | instskip(NEXT) | instid1(VALU_DEP_2)
	v_mov_b32_e32 v16, v15
	v_cmp_lt_u32_e64 s1, 31, v3
	v_cndmask_b32_e32 v10, v14, v10, vcc_lo
	s_delay_alu instid0(VALU_DEP_3) | instskip(NEXT) | instid1(VALU_DEP_3)
	v_mad_nc_u64_u32 v[16:17], 0xf534ddc0, v8, v[16:17]
	v_cndmask_b32_e64 v11, 0, 0xffffffe0, s1
	s_delay_alu instid0(VALU_DEP_1) | instskip(NEXT) | instid1(VALU_DEP_3)
	v_dual_add_nc_u32 v3, v11, v3 :: v_dual_cndmask_b32 v11, v16, v12, vcc_lo
	v_mov_b32_e32 v18, v17
	s_delay_alu instid0(VALU_DEP_1) | instskip(NEXT) | instid1(VALU_DEP_1)
	v_mad_nc_u64_u32 v[18:19], 0xfc2757d1, v8, v[18:19]
	v_dual_mov_b32 v20, v19 :: v_dual_cndmask_b32 v15, v18, v14
	s_delay_alu instid0(VALU_DEP_1) | instskip(NEXT) | instid1(VALU_DEP_1)
	v_mad_nc_u64_u32 v[20:21], 0x4e441529, v8, v[20:21]
	v_dual_mov_b32 v22, v21 :: v_dual_cndmask_b32 v13, v20, v16
	s_delay_alu instid0(VALU_DEP_1) | instskip(NEXT) | instid1(VALU_DEP_1)
	v_mad_nc_u64_u32 v[8:9], 0xa2f9836e, v8, v[22:23]
	v_dual_cndmask_b32 v8, v8, v18 :: v_dual_cndmask_b32 v9, v9, v20
	v_cmp_eq_u32_e32 vcc_lo, 0, v3
	s_delay_alu instid0(VALU_DEP_2) | instskip(SKIP_2) | instid1(VALU_DEP_3)
	v_dual_cndmask_b32 v12, v8, v13, s0 :: v_dual_cndmask_b32 v8, v9, v8, s0
	v_cndmask_b32_e64 v9, v13, v15, s0
	v_sub_nc_u32_e32 v13, 32, v3
	v_dual_cndmask_b32 v15, v15, v11, s0 :: v_dual_cndmask_b32 v8, v8, v12, s1
	s_delay_alu instid0(VALU_DEP_3) | instskip(NEXT) | instid1(VALU_DEP_1)
	v_cndmask_b32_e64 v12, v12, v9, s1
	v_alignbit_b32 v16, v8, v12, v13
	s_delay_alu instid0(VALU_DEP_1) | instskip(NEXT) | instid1(VALU_DEP_1)
	v_dual_cndmask_b32 v9, v9, v15, s1 :: v_dual_cndmask_b32 v3, v16, v8, vcc_lo
	v_alignbit_b32 v14, v12, v9, v13
	v_cndmask_b32_e64 v8, v11, v10, s0
	s_delay_alu instid0(VALU_DEP_3) | instskip(NEXT) | instid1(VALU_DEP_3)
	v_bfe_u32 v11, v3, 29, 1
	v_cndmask_b32_e32 v10, v14, v12, vcc_lo
	s_delay_alu instid0(VALU_DEP_2) | instskip(NEXT) | instid1(VALU_DEP_2)
	v_dual_cndmask_b32 v8, v15, v8, s1 :: v_dual_sub_nc_u32 v14, 0, v11
	v_alignbit_b32 v12, v3, v10, 30
	s_delay_alu instid0(VALU_DEP_2) | instskip(NEXT) | instid1(VALU_DEP_1)
	v_alignbit_b32 v13, v9, v8, v13
	v_dual_cndmask_b32 v9, v13, v9, vcc_lo :: v_dual_bitop2_b32 v12, v12, v14 bitop3:0x14
	s_delay_alu instid0(VALU_DEP_1) | instskip(NEXT) | instid1(VALU_DEP_2)
	v_clz_i32_u32_e32 v13, v12
	v_alignbit_b32 v10, v10, v9, 30
	v_alignbit_b32 v8, v9, v8, 30
	s_delay_alu instid0(VALU_DEP_3) | instskip(NEXT) | instid1(VALU_DEP_3)
	v_min_u32_e32 v13, 32, v13
	v_xor_b32_e32 v9, v10, v14
	s_delay_alu instid0(VALU_DEP_3) | instskip(NEXT) | instid1(VALU_DEP_3)
	v_dual_lshrrev_b32 v14, 29, v3 :: v_dual_bitop2_b32 v8, v8, v14 bitop3:0x14
	v_dual_lshrrev_b32 v3, 30, v3 :: v_dual_sub_nc_u32 v10, 31, v13
	v_lshlrev_b32_e32 v15, 23, v13
	s_delay_alu instid0(VALU_DEP_2) | instskip(NEXT) | instid1(VALU_DEP_4)
	v_alignbit_b32 v12, v12, v9, v10
	v_alignbit_b32 v8, v9, v8, v10
	v_lshlrev_b32_e32 v9, 31, v14
	s_delay_alu instid0(VALU_DEP_2) | instskip(NEXT) | instid1(VALU_DEP_2)
	v_alignbit_b32 v10, v12, v8, 9
	v_dual_lshrrev_b32 v12, 9, v12 :: v_dual_bitop2_b32 v14, 0.5, v9 bitop3:0x54
	v_or_b32_e32 v9, 0x33000000, v9
	s_delay_alu instid0(VALU_DEP_3) | instskip(NEXT) | instid1(VALU_DEP_3)
	v_clz_i32_u32_e32 v16, v10
	v_sub_nc_u32_e32 v14, v14, v15
	s_delay_alu instid0(VALU_DEP_2) | instskip(NEXT) | instid1(VALU_DEP_1)
	v_min_u32_e32 v15, 32, v16
	v_add_lshl_u32 v13, v15, v13, 23
	s_delay_alu instid0(VALU_DEP_1) | instskip(SKIP_1) | instid1(VALU_DEP_1)
	v_dual_sub_nc_u32 v9, v9, v13 :: v_dual_bitop2_b32 v12, v12, v14 bitop3:0x54
	v_not_b32_e32 v14, v15
	v_alignbit_b32 v8, v10, v8, v14
	s_delay_alu instid0(VALU_DEP_1) | instskip(NEXT) | instid1(VALU_DEP_4)
	v_lshrrev_b32_e32 v8, 9, v8
	v_mul_f32_e32 v16, 0x3fc90fda, v12
	s_delay_alu instid0(VALU_DEP_2) | instskip(NEXT) | instid1(VALU_DEP_2)
	v_or_b32_e32 v8, v9, v8
	v_fma_f32 v10, 0x3fc90fda, v12, -v16
	s_delay_alu instid0(VALU_DEP_1) | instskip(NEXT) | instid1(VALU_DEP_1)
	v_dual_fmamk_f32 v10, v12, 0x33a22168, v10 :: v_dual_add_nc_u32 v9, v11, v3
	v_fmac_f32_e32 v10, 0x3fc90fda, v8
	s_delay_alu instid0(VALU_DEP_1)
	v_add_f32_e32 v8, v16, v10
                                        ; implicit-def: $vgpr10
	s_and_not1_saveexec_b32 s0, s2
	s_cbranch_execnz .LBB22_17
	s_branch .LBB22_18
.LBB22_16:
	s_and_not1_saveexec_b32 s0, s2
.LBB22_17:
	v_rndne_f32_e32 v3, v10
	s_delay_alu instid0(VALU_DEP_1) | instskip(SKIP_1) | instid1(VALU_DEP_2)
	v_fma_f32 v8, 0xbfc90fda, v3, |v5|
	v_cvt_i32_f32_e32 v9, v3
	v_fmamk_f32 v8, v3, 0xb3a22168, v8
	s_delay_alu instid0(VALU_DEP_1)
	v_fmamk_f32 v8, v3, 0xa7c234c4, v8
.LBB22_18:
	s_or_b32 exec_lo, exec_lo, s0
	v_ashrrev_i32_e32 v3, 31, v2
	s_lshr_b32 s0, s17, 31
	s_mov_b32 s2, 0xb94c1982
	s_add_co_i32 s0, s17, s0
	s_mov_b32 s3, 0x37d75334
	v_lshl_add_u64 v[10:11], v[2:3], 2, s[12:13]
	s_ashr_i32 s0, s0, 1
	v_mul_f32_e32 v3, v8, v8
	s_ashr_i32 s1, s0, 31
	s_delay_alu instid0(VALU_DEP_2) | instid1(SALU_CYCLE_1)
	v_lshl_add_u64 v[10:11], s[0:1], 2, v[10:11]
	s_clause 0x1
	global_load_b32 v12, v[10:11], off
	global_load_b32 v13, v2, s[12:13] scale_offset
	s_wait_xcnt 0x0
	v_dual_mul_f32 v2, v4, v4 :: v_dual_bitop2_b32 v10, 1, v7 bitop3:0x40
	v_fmaak_f32 v15, s2, v3, 0x3c0881c4
	v_lshlrev_b32_e32 v7, 30, v7
	v_fmaak_f32 v16, s3, v3, 0xbab64f3b
	s_delay_alu instid0(VALU_DEP_4) | instskip(SKIP_2) | instid1(VALU_DEP_1)
	v_fmaak_f32 v14, s3, v2, 0xbab64f3b
	v_cmp_eq_u32_e32 vcc_lo, 0, v10
	v_fmaak_f32 v15, v3, v15, 0xbe2aaa9d
	v_dual_fmaak_f32 v14, v2, v14, 0x3d2aabf7 :: v_dual_mul_f32 v15, v3, v15
	s_delay_alu instid0(VALU_DEP_1) | instskip(NEXT) | instid1(VALU_DEP_1)
	v_dual_fmaak_f32 v11, s2, v2, 0x3c0881c4 :: v_dual_fmac_f32 v8, v8, v15
	v_fmaak_f32 v11, v2, v11, 0xbe2aaa9d
	v_dual_lshlrev_b32 v9, 30, v9 :: v_dual_bitop2_b32 v17, 1, v9 bitop3:0x40
	s_delay_alu instid0(VALU_DEP_2) | instskip(SKIP_1) | instid1(VALU_DEP_3)
	v_dual_fmaak_f32 v16, v3, v16, 0x3d2aabf7 :: v_dual_mul_f32 v11, v2, v11
	v_xor_b32_e32 v1, v1, v5
	v_and_b32_e32 v9, 0x80000000, v9
	s_delay_alu instid0(VALU_DEP_3) | instskip(NEXT) | instid1(VALU_DEP_4)
	v_fmaak_f32 v16, v3, v16, 0xbf000004
	v_fmac_f32_e32 v4, v4, v11
	s_delay_alu instid0(VALU_DEP_2) | instskip(SKIP_1) | instid1(VALU_DEP_1)
	v_fma_f32 v3, v3, v16, 1.0
	v_fmaak_f32 v14, v2, v14, 0xbf000004
	v_fma_f32 v2, v2, v14, 1.0
	s_delay_alu instid0(VALU_DEP_1) | instskip(SKIP_1) | instid1(VALU_DEP_2)
	v_cndmask_b32_e64 v2, -v4, v2, vcc_lo
	v_cmp_eq_u32_e32 vcc_lo, 0, v17
	v_bitop3_b32 v2, v7, v2, 0x80000000 bitop3:0x6c
	v_cndmask_b32_e32 v3, v3, v8, vcc_lo
	v_cmp_class_f32_e64 vcc_lo, v5, 0x1f8
	s_delay_alu instid0(VALU_DEP_2) | instskip(NEXT) | instid1(VALU_DEP_4)
	v_xor3_b32 v1, v1, v9, v3
	v_cndmask_b32_e32 v4, 0x7fc00000, v2, vcc_lo
	s_delay_alu instid0(VALU_DEP_2) | instskip(NEXT) | instid1(VALU_DEP_1)
	v_dual_cndmask_b32 v2, 0x7fc00000, v1 :: v_dual_ashrrev_i32 v1, 31, v0
	v_mul_f32_e64 v5, v2, -v6
	s_delay_alu instid0(VALU_DEP_2) | instskip(NEXT) | instid1(VALU_DEP_4)
	v_lshl_add_u64 v[2:3], v[0:1], 1, s[14:15]
	v_mul_f32_e32 v1, v6, v4
	s_delay_alu instid0(VALU_DEP_2) | instskip(SKIP_2) | instid1(VALU_DEP_1)
	v_lshl_add_u64 v[2:3], s[0:1], 1, v[2:3]
	s_wait_loadcnt 0x0
	v_dual_mul_f32 v4, v12, v5 :: v_dual_mul_f32 v5, v13, v5
	v_fma_mixlo_f16 v4, v1, v13, -v4
	s_delay_alu instid0(VALU_DEP_2)
	v_fma_mixlo_f16 v1, v1, v12, v5
	s_clause 0x1
	global_store_b16 v0, v4, s[14:15] scale_offset
	global_store_b16 v[2:3], v1, off
.LBB22_19:
	s_endpgm
	.section	.rodata,"a",@progbits
	.p2align	6, 0x0
	.amdhsa_kernel _ZL9rope_neoxILb0ELb0Ef6__halfEvPKT1_PT2_iiiiiiiiiiPKifff14rope_corr_dimsfPKfPKli
		.amdhsa_group_segment_fixed_size 0
		.amdhsa_private_segment_fixed_size 0
		.amdhsa_kernarg_size 368
		.amdhsa_user_sgpr_count 2
		.amdhsa_user_sgpr_dispatch_ptr 0
		.amdhsa_user_sgpr_queue_ptr 0
		.amdhsa_user_sgpr_kernarg_segment_ptr 1
		.amdhsa_user_sgpr_dispatch_id 0
		.amdhsa_user_sgpr_kernarg_preload_length 0
		.amdhsa_user_sgpr_kernarg_preload_offset 0
		.amdhsa_user_sgpr_private_segment_size 0
		.amdhsa_wavefront_size32 1
		.amdhsa_uses_dynamic_stack 0
		.amdhsa_enable_private_segment 0
		.amdhsa_system_sgpr_workgroup_id_x 1
		.amdhsa_system_sgpr_workgroup_id_y 1
		.amdhsa_system_sgpr_workgroup_id_z 0
		.amdhsa_system_sgpr_workgroup_info 0
		.amdhsa_system_vgpr_workitem_id 1
		.amdhsa_next_free_vgpr 24
		.amdhsa_next_free_sgpr 18
		.amdhsa_named_barrier_count 0
		.amdhsa_reserve_vcc 1
		.amdhsa_float_round_mode_32 0
		.amdhsa_float_round_mode_16_64 0
		.amdhsa_float_denorm_mode_32 3
		.amdhsa_float_denorm_mode_16_64 3
		.amdhsa_fp16_overflow 0
		.amdhsa_memory_ordered 1
		.amdhsa_forward_progress 1
		.amdhsa_inst_pref_size 37
		.amdhsa_round_robin_scheduling 0
		.amdhsa_exception_fp_ieee_invalid_op 0
		.amdhsa_exception_fp_denorm_src 0
		.amdhsa_exception_fp_ieee_div_zero 0
		.amdhsa_exception_fp_ieee_overflow 0
		.amdhsa_exception_fp_ieee_underflow 0
		.amdhsa_exception_fp_ieee_inexact 0
		.amdhsa_exception_int_div_zero 0
	.end_amdhsa_kernel
	.section	.text._ZL9rope_neoxILb0ELb0Ef6__halfEvPKT1_PT2_iiiiiiiiiiPKifff14rope_corr_dimsfPKfPKli,"axG",@progbits,_ZL9rope_neoxILb0ELb0Ef6__halfEvPKT1_PT2_iiiiiiiiiiPKifff14rope_corr_dimsfPKfPKli,comdat
.Lfunc_end22:
	.size	_ZL9rope_neoxILb0ELb0Ef6__halfEvPKT1_PT2_iiiiiiiiiiPKifff14rope_corr_dimsfPKfPKli, .Lfunc_end22-_ZL9rope_neoxILb0ELb0Ef6__halfEvPKT1_PT2_iiiiiiiiiiPKifff14rope_corr_dimsfPKfPKli
                                        ; -- End function
	.set _ZL9rope_neoxILb0ELb0Ef6__halfEvPKT1_PT2_iiiiiiiiiiPKifff14rope_corr_dimsfPKfPKli.num_vgpr, 24
	.set _ZL9rope_neoxILb0ELb0Ef6__halfEvPKT1_PT2_iiiiiiiiiiPKifff14rope_corr_dimsfPKfPKli.num_agpr, 0
	.set _ZL9rope_neoxILb0ELb0Ef6__halfEvPKT1_PT2_iiiiiiiiiiPKifff14rope_corr_dimsfPKfPKli.numbered_sgpr, 18
	.set _ZL9rope_neoxILb0ELb0Ef6__halfEvPKT1_PT2_iiiiiiiiiiPKifff14rope_corr_dimsfPKfPKli.num_named_barrier, 0
	.set _ZL9rope_neoxILb0ELb0Ef6__halfEvPKT1_PT2_iiiiiiiiiiPKifff14rope_corr_dimsfPKfPKli.private_seg_size, 0
	.set _ZL9rope_neoxILb0ELb0Ef6__halfEvPKT1_PT2_iiiiiiiiiiPKifff14rope_corr_dimsfPKfPKli.uses_vcc, 1
	.set _ZL9rope_neoxILb0ELb0Ef6__halfEvPKT1_PT2_iiiiiiiiiiPKifff14rope_corr_dimsfPKfPKli.uses_flat_scratch, 0
	.set _ZL9rope_neoxILb0ELb0Ef6__halfEvPKT1_PT2_iiiiiiiiiiPKifff14rope_corr_dimsfPKfPKli.has_dyn_sized_stack, 0
	.set _ZL9rope_neoxILb0ELb0Ef6__halfEvPKT1_PT2_iiiiiiiiiiPKifff14rope_corr_dimsfPKfPKli.has_recursion, 0
	.set _ZL9rope_neoxILb0ELb0Ef6__halfEvPKT1_PT2_iiiiiiiiiiPKifff14rope_corr_dimsfPKfPKli.has_indirect_call, 0
	.section	.AMDGPU.csdata,"",@progbits
; Kernel info:
; codeLenInByte = 4704
; TotalNumSgprs: 20
; NumVgprs: 24
; ScratchSize: 0
; MemoryBound: 0
; FloatMode: 240
; IeeeMode: 1
; LDSByteSize: 0 bytes/workgroup (compile time only)
; SGPRBlocks: 0
; VGPRBlocks: 1
; NumSGPRsForWavesPerEU: 20
; NumVGPRsForWavesPerEU: 24
; NamedBarCnt: 0
; Occupancy: 16
; WaveLimiterHint : 0
; COMPUTE_PGM_RSRC2:SCRATCH_EN: 0
; COMPUTE_PGM_RSRC2:USER_SGPR: 2
; COMPUTE_PGM_RSRC2:TRAP_HANDLER: 0
; COMPUTE_PGM_RSRC2:TGID_X_EN: 1
; COMPUTE_PGM_RSRC2:TGID_Y_EN: 1
; COMPUTE_PGM_RSRC2:TGID_Z_EN: 0
; COMPUTE_PGM_RSRC2:TIDIG_COMP_CNT: 1
	.section	.text._ZL9rope_neoxILb0ELb1Ef6__halfEvPKT1_PT2_iiiiiiiiiiPKifff14rope_corr_dimsfPKfPKli,"axG",@progbits,_ZL9rope_neoxILb0ELb1Ef6__halfEvPKT1_PT2_iiiiiiiiiiPKifff14rope_corr_dimsfPKfPKli,comdat
	.globl	_ZL9rope_neoxILb0ELb1Ef6__halfEvPKT1_PT2_iiiiiiiiiiPKifff14rope_corr_dimsfPKfPKli ; -- Begin function _ZL9rope_neoxILb0ELb1Ef6__halfEvPKT1_PT2_iiiiiiiiiiPKifff14rope_corr_dimsfPKfPKli
	.p2align	8
	.type	_ZL9rope_neoxILb0ELb1Ef6__halfEvPKT1_PT2_iiiiiiiiiiPKifff14rope_corr_dimsfPKfPKli,@function
_ZL9rope_neoxILb0ELb1Ef6__halfEvPKT1_PT2_iiiiiiiiiiPKifff14rope_corr_dimsfPKfPKli: ; @_ZL9rope_neoxILb0ELb1Ef6__halfEvPKT1_PT2_iiiiiiiiiiPKifff14rope_corr_dimsfPKfPKli
; %bb.0:
	s_clause 0x1
	s_load_u16 s3, s[0:1], 0x7e
	s_load_b256 s[4:11], s[0:1], 0x10
	s_bfe_u32 s2, ttmp6, 0x40010
	s_bfe_u32 s13, ttmp6, 0x40004
	s_add_co_i32 s2, s2, 1
	v_bfe_u32 v1, v0, 10, 10
	s_mul_i32 s12, ttmp7, s2
	s_getreg_b32 s2, hwreg(HW_REG_IB_STS2, 6, 4)
	s_add_co_i32 s13, s13, s12
	s_cmp_eq_u32 s2, 0
	s_cselect_b32 s12, ttmp7, s13
	s_wait_kmcnt 0x0
	s_mul_i32 s12, s12, s3
	s_mov_b32 s3, exec_lo
	v_add_lshl_u32 v3, s12, v1, 1
	s_delay_alu instid0(VALU_DEP_1)
	v_cmpx_gt_i32_e64 s4, v3
	s_cbranch_execz .LBB23_19
; %bb.1:
	s_add_nc_u64 s[12:13], s[0:1], 0x70
	s_bfe_u32 s4, ttmp6, 0x4000c
	s_load_b32 s3, s[12:13], 0xc
	s_add_co_i32 s4, s4, 1
	s_wait_xcnt 0x0
	s_and_b32 s12, ttmp6, 15
	s_mul_i32 s4, ttmp9, s4
	v_and_b32_e32 v0, 0x3ff, v0
	s_add_co_i32 s12, s12, s4
	s_clause 0x1
	s_load_b64 s[20:21], s[0:1], 0x30
	s_load_b128 s[16:19], s[0:1], 0x58
	s_wait_kmcnt 0x0
	s_and_b32 s3, s3, 0xffff
	s_cmp_eq_u32 s2, 0
	s_mul_i32 s2, s6, s5
	s_cselect_b32 s4, ttmp9, s12
	s_abs_i32 s6, s2
	v_mad_u32 v2, s4, s3, v0
	s_cvt_f32_u32 s12, s6
	s_sub_co_i32 s4, 0, s6
	s_delay_alu instid0(SALU_CYCLE_2) | instskip(NEXT) | instid1(VALU_DEP_1)
	v_rcp_iflag_f32_e32 v1, s12
	v_sub_nc_u32_e32 v0, 0, v2
	s_delay_alu instid0(TRANS32_DEP_1) | instskip(NEXT) | instid1(VALU_DEP_2)
	v_readfirstlane_b32 s3, v1
	v_max_i32_e32 v0, v2, v0
	s_mul_f32 s3, s3, 0x4f7ffffe
	s_delay_alu instid0(SALU_CYCLE_3) | instskip(NEXT) | instid1(SALU_CYCLE_3)
	s_cvt_u32_f32 s3, s3
	s_mul_i32 s4, s4, s3
	s_delay_alu instid0(SALU_CYCLE_1) | instskip(NEXT) | instid1(SALU_CYCLE_1)
	s_mul_hi_u32 s4, s3, s4
	s_add_co_i32 s3, s3, s4
	s_delay_alu instid0(SALU_CYCLE_1) | instskip(SKIP_1) | instid1(VALU_DEP_1)
	v_mul_hi_u32 v1, v0, s3
	s_cvt_f32_u32 s3, s5
	v_mul_lo_u32 v4, v1, s6
	s_delay_alu instid0(VALU_DEP_1) | instskip(NEXT) | instid1(VALU_DEP_1)
	v_dual_sub_nc_u32 v0, v0, v4 :: v_dual_add_nc_u32 v4, 1, v1
	v_cmp_le_u32_e32 vcc_lo, s6, v0
	s_delay_alu instid0(VALU_DEP_2) | instskip(SKIP_1) | instid1(VALU_DEP_1)
	v_cndmask_b32_e32 v1, v1, v4, vcc_lo
	v_subrev_nc_u32_e32 v5, s6, v0
	v_dual_cndmask_b32 v0, v0, v5, vcc_lo :: v_dual_bitop2_b32 v4, s2, v2 bitop3:0x14
	s_delay_alu instid0(VALU_DEP_3) | instskip(NEXT) | instid1(VALU_DEP_2)
	v_add_nc_u32_e32 v5, 1, v1
	v_cmp_le_u32_e32 vcc_lo, s6, v0
	s_delay_alu instid0(VALU_DEP_2) | instskip(SKIP_1) | instid1(VALU_DEP_1)
	v_dual_ashrrev_i32 v4, 31, v4 :: v_dual_cndmask_b32 v0, v1, v5, vcc_lo
	v_rcp_iflag_f32_e32 v1, s3
	v_xor_b32_e32 v0, v0, v4
	s_delay_alu instid0(TRANS32_DEP_1) | instskip(NEXT) | instid1(VALU_DEP_2)
	v_readfirstlane_b32 s3, v1
	v_sub_nc_u32_e32 v0, v0, v4
	s_delay_alu instid0(VALU_DEP_1) | instskip(SKIP_2) | instid1(SALU_CYCLE_2)
	v_mul_lo_u32 v1, s2, v0
	s_mul_f32 s2, s3, 0x4f7ffffe
	s_sub_co_i32 s3, 0, s5
	s_cvt_u32_f32 s2, s2
	s_delay_alu instid0(SALU_CYCLE_3) | instskip(NEXT) | instid1(VALU_DEP_1)
	s_mul_i32 s3, s3, s2
	v_sub_nc_u32_e32 v2, v2, v1
	s_mul_hi_u32 s3, s2, s3
	s_delay_alu instid0(SALU_CYCLE_1)
	s_add_co_i32 s2, s2, s3
	s_delay_alu instid0(VALU_DEP_1) | instid1(SALU_CYCLE_1)
	v_mul_hi_u32 v1, v2, s2
	s_load_b32 s2, s[0:1], 0x68
	s_delay_alu instid0(VALU_DEP_1) | instskip(SKIP_2) | instid1(VALU_DEP_1)
	v_mul_lo_u32 v4, v1, s5
	s_wait_kmcnt 0x0
	s_cmp_eq_u32 s2, 0
	v_sub_nc_u32_e32 v4, v2, v4
	s_delay_alu instid0(VALU_DEP_1) | instskip(SKIP_1) | instid1(VALU_DEP_2)
	v_subrev_nc_u32_e32 v6, s5, v4
	v_cmp_le_u32_e32 vcc_lo, s5, v4
	v_dual_cndmask_b32 v4, v4, v6 :: v_dual_add_nc_u32 v5, 1, v1
	s_delay_alu instid0(VALU_DEP_1) | instskip(NEXT) | instid1(VALU_DEP_2)
	v_cndmask_b32_e32 v1, v1, v5, vcc_lo
	v_cmp_le_u32_e32 vcc_lo, s5, v4
	s_delay_alu instid0(VALU_DEP_2) | instskip(NEXT) | instid1(VALU_DEP_1)
	v_add_nc_u32_e32 v5, 1, v1
	v_cndmask_b32_e32 v8, v1, v5, vcc_lo
	s_cbranch_scc1 .LBB23_3
; %bb.2:
	v_mov_b32_e32 v9, 0
	s_delay_alu instid0(VALU_DEP_1)
	v_lshl_add_u64 v[4:5], v[8:9], 3, s[18:19]
	global_load_b32 v1, v[4:5], off
	s_wait_loadcnt 0x0
	v_mul_lo_u32 v4, s2, v1
	s_branch .LBB23_4
.LBB23_3:
	v_mul_lo_u32 v1, v0, s20
	s_delay_alu instid0(VALU_DEP_1)
	v_mad_u32 v4, v8, s11, v1
.LBB23_4:
	v_mul_lo_u32 v5, v8, s5
	v_ashrrev_i32_e32 v1, 1, v3
	s_load_b128 s[12:15], s[0:1], 0x0
	s_mov_b32 s2, exec_lo
	s_delay_alu instid0(VALU_DEP_2) | instskip(NEXT) | instid1(VALU_DEP_2)
	v_sub_nc_u32_e32 v2, v2, v5
	v_mad_u32 v0, v0, s9, v1
	s_delay_alu instid0(VALU_DEP_2) | instskip(NEXT) | instid1(VALU_DEP_2)
	v_mul_lo_u32 v5, v2, s10
	v_mad_u32 v0, v8, s8, v0
	s_delay_alu instid0(VALU_DEP_1) | instskip(NEXT) | instid1(VALU_DEP_3)
	v_mad_u32 v2, v2, s7, v0
	v_add3_u32 v0, v5, v1, v4
	v_cmpx_le_i32_e64 s21, v3
	s_xor_b32 s2, exec_lo, s2
	s_cbranch_execz .LBB23_6
; %bb.5:
	s_delay_alu instid0(VALU_DEP_2)
	v_dual_add_nc_u32 v2, v2, v1 :: v_dual_add_nc_u32 v0, v0, v1
                                        ; implicit-def: $vgpr8
	s_wait_kmcnt 0x0
	global_load_b32 v3, v2, s[12:13] scale_offset
	s_wait_loadcnt 0x0
	v_cvt_f16_f32_e32 v3, v3
	global_store_b16 v0, v3, s[14:15] scale_offset
	global_load_b32 v1, v2, s[12:13] offset:4 scale_offset
                                        ; implicit-def: $vgpr2
                                        ; implicit-def: $vgpr3
	s_wait_loadcnt 0x0
	v_cvt_f16_f32_e32 v1, v1
	global_store_b16 v0, v1, s[14:15] offset:2 scale_offset
                                        ; implicit-def: $vgpr0
                                        ; implicit-def: $vgpr1
.LBB23_6:
	s_wait_xcnt 0x0
	s_and_not1_saveexec_b32 s2, s2
	s_cbranch_execz .LBB23_19
; %bb.7:
	s_clause 0x1
	s_load_b64 s[8:9], s[0:1], 0x50
	s_load_b64 s[2:3], s[0:1], 0x38
	v_cvt_f32_i32_e32 v3, v3
	s_mov_b32 s4, 0x3e76c4e1
	global_load_b32 v22, v1, s[16:17] scale_offset
	v_mul_f32_e32 v3, 0.5, v3
	s_wait_kmcnt 0x0
	s_cmp_neq_f32 s9, 1.0
	global_load_b32 v8, v8, s[2:3] scale_offset
	s_cselect_b32 vcc_lo, -1, 0
	v_cndmask_b32_e32 v9, 1.0, v3, vcc_lo
	s_delay_alu instid0(VALU_DEP_1) | instskip(SKIP_1) | instid1(VALU_DEP_1)
	v_cmp_neq_f32_e32 vcc_lo, 0, v9
	v_cndmask_b32_e64 v3, 1.0, s9, vcc_lo
	v_frexp_mant_f32_e64 v4, |v3|
	v_cmp_lt_f32_e64 s6, |v3|, 1.0
	s_delay_alu instid0(VALU_DEP_2) | instskip(SKIP_1) | instid1(VALU_DEP_1)
	v_cmp_gt_f32_e32 vcc_lo, 0x3f2aaaab, v4
	v_cndmask_b32_e64 v5, 1.0, 2.0, vcc_lo
	v_mul_f32_e32 v4, v4, v5
	s_delay_alu instid0(VALU_DEP_1) | instskip(SKIP_1) | instid1(VALU_DEP_2)
	v_dual_add_f32 v7, 1.0, v4 :: v_dual_add_f32 v5, -1.0, v4
	v_cmp_neq_f32_e64 s5, v9, |v9|
	v_rcp_f32_e32 v12, v7
	v_add_f32_e32 v10, -1.0, v7
	s_xor_b32 s5, s5, s6
	s_delay_alu instid0(TRANS32_DEP_1) | instid1(VALU_DEP_1)
	v_dual_sub_f32 v4, v4, v10 :: v_dual_mul_f32 v13, v5, v12
	s_delay_alu instid0(VALU_DEP_1) | instskip(NEXT) | instid1(VALU_DEP_1)
	v_mul_f32_e32 v6, v7, v13
	v_fma_f32 v10, v13, v7, -v6
	s_delay_alu instid0(VALU_DEP_1) | instskip(NEXT) | instid1(VALU_DEP_1)
	v_fmac_f32_e32 v10, v13, v4
	v_add_f32_e32 v4, v6, v10
	s_delay_alu instid0(VALU_DEP_1) | instskip(NEXT) | instid1(VALU_DEP_1)
	v_dual_sub_f32 v7, v5, v4 :: v_dual_mov_b32 v11, v4
	v_pk_add_f32 v[4:5], v[4:5], v[6:7] neg_lo:[0,1] neg_hi:[0,1]
	s_delay_alu instid0(VALU_DEP_1) | instskip(NEXT) | instid1(VALU_DEP_1)
	v_pk_add_f32 v[4:5], v[4:5], v[10:11] neg_lo:[0,1] neg_hi:[0,1]
	v_add_f32_e32 v4, v4, v5
	s_delay_alu instid0(VALU_DEP_1) | instskip(NEXT) | instid1(VALU_DEP_1)
	v_add_f32_e32 v4, v7, v4
	v_mul_f32_e32 v5, v12, v4
	s_delay_alu instid0(VALU_DEP_1) | instskip(NEXT) | instid1(VALU_DEP_1)
	v_add_f32_e32 v4, v13, v5
	v_dual_sub_f32 v6, v4, v13 :: v_dual_mul_f32 v7, v4, v4
	s_delay_alu instid0(VALU_DEP_1) | instskip(NEXT) | instid1(VALU_DEP_1)
	v_dual_sub_f32 v18, v5, v6 :: v_dual_fma_f32 v5, v4, v4, -v7
	v_add_f32_e32 v6, v18, v18
	s_delay_alu instid0(VALU_DEP_1) | instskip(NEXT) | instid1(VALU_DEP_1)
	v_fmac_f32_e32 v5, v4, v6
	v_add_f32_e32 v6, v7, v5
	s_delay_alu instid0(VALU_DEP_1) | instskip(SKIP_1) | instid1(VALU_DEP_2)
	v_dual_fmaak_f32 v10, s4, v6, 0x3e91f4c4 :: v_dual_sub_f32 v7, v6, v7
	v_cmp_eq_f32_e64 s4, 0, v3
	v_fmaak_f32 v12, v6, v10, 0x3ecccdef
	v_cvt_f64_f32_e64 v[10:11], |v3|
	s_delay_alu instid0(VALU_DEP_2) | instskip(NEXT) | instid1(VALU_DEP_1)
	v_dual_sub_f32 v16, v5, v7 :: v_dual_mul_f32 v13, v6, v12
	v_fma_f32 v5, v6, v12, -v13
	s_delay_alu instid0(VALU_DEP_1) | instskip(NEXT) | instid1(VALU_DEP_1)
	v_fmac_f32_e32 v5, v16, v12
	v_add_f32_e32 v7, v13, v5
	s_delay_alu instid0(VALU_DEP_1) | instskip(NEXT) | instid1(VALU_DEP_1)
	v_dual_sub_f32 v12, v7, v13 :: v_dual_add_f32 v13, 0x3f2aaaaa, v7
	v_dual_sub_f32 v5, v5, v12 :: v_dual_add_f32 v12, 0xbf2aaaaa, v13
	v_frexp_exp_i32_f64_e32 v17, v[10:11]
	s_delay_alu instid0(VALU_DEP_2) | instskip(NEXT) | instid1(VALU_DEP_3)
	v_add_f32_e32 v5, 0x31739010, v5
	v_sub_f32_e32 v7, v7, v12
	s_delay_alu instid0(VALU_DEP_1) | instskip(NEXT) | instid1(VALU_DEP_1)
	v_pk_mul_f32 v[10:11], v[4:5], v[6:7]
	v_fma_f32 v12, v6, v4, -v10
	s_delay_alu instid0(VALU_DEP_1) | instskip(NEXT) | instid1(VALU_DEP_1)
	v_fmac_f32_e32 v12, v6, v18
	v_fmac_f32_e32 v12, v16, v4
	v_pk_add_f32 v[14:15], v[4:5], v[6:7]
	s_delay_alu instid0(VALU_DEP_1) | instskip(SKIP_1) | instid1(VALU_DEP_2)
	v_mov_b32_e32 v11, v15
	v_subrev_co_ci_u32_e64 v5, null, 0, v17, vcc_lo
	v_pk_add_f32 v[6:7], v[10:11], v[12:13]
	s_delay_alu instid0(VALU_DEP_2) | instskip(NEXT) | instid1(VALU_DEP_2)
	v_cvt_f32_i32_e32 v5, v5
	v_dual_mov_b32 v14, v7 :: v_dual_sub_f32 v11, v13, v7
	s_delay_alu instid0(VALU_DEP_3) | instskip(NEXT) | instid1(VALU_DEP_2)
	v_sub_f32_e32 v13, v6, v10
	v_pk_mul_f32 v[16:17], v[6:7], v[14:15]
	s_delay_alu instid0(VALU_DEP_3) | instskip(NEXT) | instid1(VALU_DEP_2)
	v_dual_add_f32 v11, v15, v11 :: v_dual_mul_f32 v14, 0x3f317218, v5
	v_dual_sub_f32 v12, v12, v13 :: v_dual_fma_f32 v10, v6, v7, -v16
	s_delay_alu instid0(VALU_DEP_1) | instskip(NEXT) | instid1(VALU_DEP_3)
	v_fmac_f32_e32 v10, v6, v11
	v_fma_f32 v6, 0x3f317218, v5, -v14
	s_delay_alu instid0(VALU_DEP_2) | instskip(NEXT) | instid1(VALU_DEP_2)
	v_fmac_f32_e32 v10, v12, v7
	v_fmamk_f32 v6, v5, 0xb102e308, v6
	v_ldexp_f32 v7, v4, 1
	s_delay_alu instid0(VALU_DEP_1) | instskip(NEXT) | instid1(VALU_DEP_1)
	v_dual_add_f32 v15, v16, v10 :: v_dual_mov_b32 v17, v7
	v_pk_add_f32 v[4:5], v[14:15], v[6:7]
	v_mov_b32_e32 v12, v15
	v_ldexp_f32 v7, v18, 1
	s_delay_alu instid0(VALU_DEP_3) | instskip(SKIP_1) | instid1(VALU_DEP_2)
	v_dual_mov_b32 v11, v15 :: v_dual_mov_b32 v13, v5
	v_mov_b32_e32 v20, v5
	v_pk_add_f32 v[12:13], v[12:13], v[16:17] neg_lo:[0,1] neg_hi:[0,1]
	s_delay_alu instid0(VALU_DEP_1) | instskip(NEXT) | instid1(VALU_DEP_1)
	v_pk_add_f32 v[10:11], v[10:11], v[12:13] neg_lo:[0,1] neg_hi:[0,1]
	v_add_f32_e32 v7, v7, v10
	s_delay_alu instid0(VALU_DEP_1) | instskip(NEXT) | instid1(VALU_DEP_1)
	v_dual_add_f32 v15, v7, v11 :: v_dual_mov_b32 v7, v4
	v_pk_add_f32 v[10:11], v[4:5], v[14:15]
	v_pk_add_f32 v[12:13], v[4:5], v[14:15] neg_lo:[0,1] neg_hi:[0,1]
	s_delay_alu instid0(VALU_DEP_2) | instskip(NEXT) | instid1(VALU_DEP_1)
	v_mov_b32_e32 v13, v11
	v_pk_add_f32 v[16:17], v[6:7], v[12:13]
	v_pk_add_f32 v[6:7], v[6:7], v[12:13] neg_lo:[0,1] neg_hi:[0,1]
	s_delay_alu instid0(VALU_DEP_2) | instskip(NEXT) | instid1(VALU_DEP_1)
	v_dual_mov_b32 v14, v17 :: v_dual_mov_b32 v7, v17
	v_pk_add_f32 v[18:19], v[14:15], v[4:5] neg_lo:[0,1] neg_hi:[0,1]
	v_dual_mov_b32 v16, v11 :: v_dual_mov_b32 v5, v4
	s_delay_alu instid0(VALU_DEP_2) | instskip(SKIP_1) | instid1(VALU_DEP_2)
	v_dual_mov_b32 v4, v15 :: v_dual_mov_b32 v21, v18
	v_mov_b32_e32 v15, v18
	v_pk_add_f32 v[12:13], v[16:17], v[20:21] neg_lo:[0,1] neg_hi:[0,1]
	s_delay_alu instid0(VALU_DEP_2) | instskip(SKIP_1) | instid1(VALU_DEP_3)
	v_pk_add_f32 v[10:11], v[10:11], v[14:15] neg_lo:[0,1] neg_hi:[0,1]
	v_mov_b32_e32 v10, v6
	v_pk_add_f32 v[4:5], v[4:5], v[12:13] neg_lo:[0,1] neg_hi:[0,1]
	s_delay_alu instid0(VALU_DEP_1) | instskip(NEXT) | instid1(VALU_DEP_1)
	v_pk_add_f32 v[10:11], v[10:11], v[4:5]
	v_mov_b32_e32 v12, v11
	s_delay_alu instid0(VALU_DEP_1) | instskip(NEXT) | instid1(VALU_DEP_1)
	v_pk_add_f32 v[12:13], v[10:11], v[12:13]
	v_pk_add_f32 v[14:15], v[14:15], v[12:13]
	s_delay_alu instid0(VALU_DEP_1) | instskip(NEXT) | instid1(VALU_DEP_1)
	v_dual_mov_b32 v5, v12 :: v_dual_mov_b32 v11, v14
	v_pk_add_f32 v[16:17], v[10:11], v[6:7] neg_lo:[0,1] neg_hi:[0,1]
	s_delay_alu instid0(VALU_DEP_1) | instskip(SKIP_1) | instid1(VALU_DEP_1)
	v_pk_add_f32 v[4:5], v[4:5], v[16:17] neg_lo:[0,1] neg_hi:[0,1]
	v_sub_f32_e32 v7, v10, v16
	v_sub_f32_e32 v6, v6, v7
	s_delay_alu instid0(VALU_DEP_1) | instskip(NEXT) | instid1(VALU_DEP_1)
	v_add_f32_e32 v4, v4, v6
	v_add_f32_e32 v4, v4, v5
	s_delay_alu instid0(VALU_DEP_1) | instskip(NEXT) | instid1(VALU_DEP_1)
	v_add_f32_e32 v5, v14, v4
	v_sub_f32_e32 v6, v5, v14
	s_delay_alu instid0(VALU_DEP_1) | instskip(NEXT) | instid1(VALU_DEP_1)
	v_dual_sub_f32 v4, v4, v6 :: v_dual_mul_f32 v7, v9, v5
	v_fma_f32 v5, v9, v5, -v7
	s_delay_alu instid0(VALU_DEP_1) | instskip(SKIP_1) | instid1(VALU_DEP_2)
	v_fmac_f32_e32 v5, v9, v4
	v_cmp_class_f32_e64 vcc_lo, v7, 0x204
	v_add_f32_e32 v4, v7, v5
	s_delay_alu instid0(VALU_DEP_1) | instskip(NEXT) | instid1(VALU_DEP_1)
	v_dual_cndmask_b32 v6, v4, v7, vcc_lo :: v_dual_sub_f32 v4, v4, v7
	v_cmp_eq_f32_e32 vcc_lo, 0x42b17218, v6
	s_delay_alu instid0(VALU_DEP_2) | instskip(SKIP_2) | instid1(VALU_DEP_2)
	v_sub_f32_e32 v4, v5, v4
	v_cndmask_b32_e64 v10, 0, 0x37000000, vcc_lo
	v_cmp_neq_f32_e64 vcc_lo, 0x7f800000, |v6|
	v_dual_sub_f32 v11, v6, v10 :: v_dual_cndmask_b32 v4, 0, v4
	v_trunc_f32_e32 v6, v9
	s_delay_alu instid0(VALU_DEP_2) | instskip(NEXT) | instid1(VALU_DEP_1)
	v_mul_f32_e32 v12, 0x3fb8aa3b, v11
	v_fma_f32 v13, 0x3fb8aa3b, v11, -v12
	v_rndne_f32_e32 v14, v12
	s_delay_alu instid0(VALU_DEP_1) | instskip(NEXT) | instid1(VALU_DEP_1)
	v_dual_fmamk_f32 v13, v11, 0x32a5705f, v13 :: v_dual_sub_f32 v12, v12, v14
	v_add_f32_e32 v12, v12, v13
	v_cmp_ngt_f32_e32 vcc_lo, 0xc2ce8ed0, v11
	s_delay_alu instid0(VALU_DEP_2)
	v_exp_f32_e32 v7, v12
	v_nop
	v_cvt_i32_f32_e32 v12, v14
	s_delay_alu instid0(TRANS32_DEP_1) | instid1(VALU_DEP_1)
	v_ldexp_f32 v5, v7, v12
	v_mul_f32_e32 v7, 0.5, v9
	s_delay_alu instid0(VALU_DEP_2) | instskip(NEXT) | instid1(VALU_DEP_2)
	v_cndmask_b32_e32 v5, 0, v5, vcc_lo
	v_trunc_f32_e32 v12, v7
	v_cmp_nlt_f32_e32 vcc_lo, 0x42b17218, v11
	s_wait_xcnt 0x0
	s_delay_alu instid0(VALU_DEP_2) | instskip(SKIP_2) | instid1(VALU_DEP_2)
	v_cmp_neq_f32_e64 s2, v12, v7
	v_cndmask_b32_e32 v5, 0x7f800000, v5, vcc_lo
	v_cmp_eq_f32_e32 vcc_lo, v6, v9
	v_cmp_class_f32_e64 s3, v5, 0x204
	s_and_b32 s2, vcc_lo, s2
	s_delay_alu instid0(SALU_CYCLE_1) | instskip(SKIP_2) | instid1(VALU_DEP_3)
	v_dual_cndmask_b32 v6, 1.0, v3, s2 :: v_dual_add_f32 v4, v10, v4
	v_cndmask_b32_e64 v10, 0, v3, s2
	v_cmp_class_f32_e64 s2, v3, 0x204
	v_fma_f32 v4, v5, v4, v5
	s_delay_alu instid0(VALU_DEP_1) | instskip(SKIP_2) | instid1(VALU_DEP_3)
	v_cndmask_b32_e64 v4, v4, v5, s3
	v_cndmask_b32_e64 v5, 0x7f800000, 0, s5
	v_cmp_gt_f32_e64 s3, 0, v9
	v_bfi_b32 v4, 0x7fffffff, v4, v6
	s_xor_b32 s3, s3, s4
	s_delay_alu instid0(SALU_CYCLE_1) | instskip(NEXT) | instid1(VALU_DEP_2)
	v_cndmask_b32_e64 v6, 0x7f800000, 0, s3
	v_cndmask_b32_e32 v7, 0x7fc00000, v4, vcc_lo
	v_cmp_neq_f32_e64 vcc_lo, |v3|, 1.0
	s_delay_alu instid0(VALU_DEP_3) | instskip(SKIP_4) | instid1(VALU_DEP_2)
	v_bfi_b32 v6, 0x7fffffff, v6, v10
	v_cndmask_b32_e32 v5, 1.0, v5, vcc_lo
	v_cmp_gt_f32_e32 vcc_lo, 0, v3
	v_cndmask_b32_e32 v4, v4, v7, vcc_lo
	v_cmp_class_f32_e64 vcc_lo, v9, 0x204
	v_cndmask_b32_e32 v4, v4, v5, vcc_lo
	s_or_b32 vcc_lo, s4, s2
	s_wait_loadcnt 0x0
	v_cvt_f32_i32_e32 v5, v8
	s_load_b128 s[4:7], s[0:1], 0x40
	v_cndmask_b32_e32 v4, v4, v6, vcc_lo
	v_cmp_o_f32_e32 vcc_lo, v3, v3
	s_delay_alu instid0(VALU_DEP_2) | instskip(NEXT) | instid1(VALU_DEP_1)
	v_cndmask_b32_e32 v3, 0x7fc00000, v4, vcc_lo
	v_mul_f32_e32 v3, v3, v5
	s_delay_alu instid0(VALU_DEP_1) | instskip(SKIP_3) | instid1(VALU_DEP_2)
	v_div_scale_f32 v4, null, v22, v22, v3
	v_div_scale_f32 v7, vcc_lo, v3, v22, v3
	s_wait_kmcnt 0x0
	s_cmp_eq_f32 s5, 0
	v_rcp_f32_e32 v5, v4
	v_nop
	s_delay_alu instid0(TRANS32_DEP_1) | instskip(NEXT) | instid1(VALU_DEP_1)
	v_fma_f32 v6, -v4, v5, 1.0
	v_fmac_f32_e32 v5, v6, v5
	s_delay_alu instid0(VALU_DEP_1) | instskip(NEXT) | instid1(VALU_DEP_1)
	v_mul_f32_e32 v6, v7, v5
	v_fma_f32 v8, -v4, v6, v7
	s_delay_alu instid0(VALU_DEP_1) | instskip(NEXT) | instid1(VALU_DEP_1)
	v_fmac_f32_e32 v6, v8, v5
	v_fma_f32 v4, -v4, v6, v7
	s_delay_alu instid0(VALU_DEP_1) | instskip(NEXT) | instid1(VALU_DEP_1)
	v_div_fmas_f32 v4, v4, v5, v6
	v_div_fixup_f32 v4, v4, v22, v3
	s_delay_alu instid0(VALU_DEP_1)
	v_mul_f32_e32 v5, s4, v4
	s_cbranch_scc1 .LBB23_9
; %bb.8:
	v_cvt_f32_i32_e32 v1, v1
	s_sub_f32 s0, s8, s7
	v_div_scale_f32 v6, null, s4, s4, 1.0
	s_delay_alu instid0(SALU_CYCLE_2) | instskip(SKIP_4) | instid1(VALU_DEP_3)
	s_max_num_f32 s1, s0, 0x3a83126f
	v_subrev_f32_e32 v1, s7, v1
	v_rcp_f32_e32 v8, v6
	v_nop
	v_xor_b32_e32 v6, 0x80000000, v6
	v_div_scale_f32 v3, null, s1, s1, v1
	s_delay_alu instid0(TRANS32_DEP_1) | instid1(VALU_DEP_2)
	v_fma_f32 v10, v6, v8, 1.0
	s_delay_alu instid0(VALU_DEP_2) | instskip(SKIP_1) | instid1(TRANS32_DEP_1)
	v_rcp_f32_e32 v7, v3
	v_nop
	v_fma_f32 v9, -v3, v7, 1.0
	s_delay_alu instid0(VALU_DEP_1) | instskip(SKIP_2) | instid1(VALU_DEP_2)
	v_fmac_f32_e32 v7, v9, v7
	v_div_scale_f32 v11, vcc_lo, v1, s1, v1
	v_div_scale_f32 v9, s0, 1.0, s4, 1.0
	v_dual_fmac_f32 v8, v10, v8 :: v_dual_mul_f32 v10, v11, v7
	s_delay_alu instid0(VALU_DEP_1) | instskip(NEXT) | instid1(VALU_DEP_1)
	v_dual_mul_f32 v12, v9, v8 :: v_dual_fma_f32 v13, -v3, v10, v11
	v_dual_fma_f32 v14, v6, v12, v9 :: v_dual_fmac_f32 v10, v13, v7
	s_delay_alu instid0(VALU_DEP_1) | instskip(NEXT) | instid1(VALU_DEP_1)
	v_dual_fmac_f32 v12, v14, v8 :: v_dual_fma_f32 v3, -v3, v10, v11
	v_fmac_f32_e32 v9, v6, v12
	s_delay_alu instid0(VALU_DEP_2) | instskip(SKIP_1) | instid1(VALU_DEP_2)
	v_div_fmas_f32 v3, v3, v7, v10
	s_mov_b32 vcc_lo, s0
	v_div_fmas_f32 v6, v9, v8, v12
	s_delay_alu instid0(VALU_DEP_2) | instskip(NEXT) | instid1(VALU_DEP_2)
	v_div_fixup_f32 v1, v3, s1, v1 clamp
	v_div_fixup_f32 v6, v6, s4, 1.0
	s_delay_alu instid0(VALU_DEP_1) | instskip(SKIP_2) | instid1(SALU_CYCLE_1)
	v_readfirstlane_b32 s0, v6
	s_cmp_lt_f32 s0, 0x800000
	s_cselect_b32 s0, 0x4f800000, 1.0
	v_mul_f32_e32 v6, s0, v6
	s_cselect_b32 s0, 0x41b17218, 0
	s_delay_alu instid0(VALU_DEP_1) | instskip(SKIP_1) | instid1(TRANS32_DEP_1)
	v_log_f32_e32 v6, v6
	v_nop
	v_and_b32_e32 v3, 0x7fffffff, v6
	s_delay_alu instid0(VALU_DEP_1) | instskip(SKIP_2) | instid1(VALU_DEP_1)
	v_cmp_gt_f32_e32 vcc_lo, 0x7f800000, v3
	v_sub_f32_e32 v1, 1.0, v1
	v_mul_f32_e32 v7, 0x3f317217, v6
	v_xor_b32_e32 v7, 0x80000000, v7
	s_delay_alu instid0(VALU_DEP_1) | instskip(NEXT) | instid1(VALU_DEP_1)
	v_fmac_f32_e32 v7, 0x3f317217, v6
	v_fmamk_f32 v7, v6, 0x3377d1cf, v7
	s_delay_alu instid0(VALU_DEP_1) | instskip(NEXT) | instid1(VALU_DEP_1)
	v_fmac_f32_e32 v7, 0x3f317217, v6
	v_dual_cndmask_b32 v3, v6, v7 :: v_dual_mul_f32 v6, s5, v1
	v_fma_f32 v7, -s5, v1, 1.0
	s_delay_alu instid0(VALU_DEP_2) | instskip(NEXT) | instid1(VALU_DEP_2)
	v_dual_mov_b32 v1, 1.0 :: v_dual_subrev_f32 v3, s0, v3
	v_pk_mul_f32 v[4:5], v[6:7], v[4:5]
	s_delay_alu instid0(VALU_DEP_2) | instskip(NEXT) | instid1(VALU_DEP_2)
	v_fmamk_f32 v1, v3, 0x3dcccccd, v1
	v_add_f32_e32 v5, v4, v5
	s_delay_alu instid0(VALU_DEP_2)
	v_mul_f32_e32 v6, s6, v1
	s_branch .LBB23_10
.LBB23_9:
	v_mov_b32_e32 v6, s6
.LBB23_10:
	s_delay_alu instid0(VALU_DEP_2) | instskip(SKIP_1) | instid1(VALU_DEP_2)
	v_and_b32_e32 v1, 0x7fffffff, v5
	v_cmp_ngt_f32_e64 s2, 0x48000000, |v5|
                                        ; implicit-def: $vgpr7
                                        ; implicit-def: $vgpr4
	v_lshrrev_b32_e32 v3, 23, v1
	s_and_saveexec_b32 s0, s2
	s_delay_alu instid0(SALU_CYCLE_1)
	s_xor_b32 s3, exec_lo, s0
	s_cbranch_execz .LBB23_12
; %bb.11:
	s_mov_b32 s0, 0x7fffff
	v_mov_b32_e32 v9, 0
	v_and_or_b32 v8, v1, s0, 0x800000
	s_mov_b64 s[0:1], 0xfe5163ab
	s_delay_alu instid0(VALU_DEP_1) | instid1(SALU_CYCLE_1)
	v_mul_u64_e32 v[10:11], s[0:1], v[8:9]
	s_delay_alu instid0(VALU_DEP_1) | instskip(SKIP_2) | instid1(VALU_DEP_3)
	v_dual_mov_b32 v12, v11 :: v_dual_mov_b32 v13, v9
	v_dual_mov_b32 v15, v9 :: v_dual_mov_b32 v17, v9
	;; [unrolled: 1-line block ×3, first 2 shown]
	v_mad_nc_u64_u32 v[12:13], 0x3c439041, v8, v[12:13]
	s_delay_alu instid0(VALU_DEP_1) | instskip(NEXT) | instid1(VALU_DEP_1)
	v_dual_mov_b32 v23, v9 :: v_dual_mov_b32 v14, v13
	v_mad_nc_u64_u32 v[14:15], 0xdb629599, v8, v[14:15]
	s_delay_alu instid0(VALU_DEP_1) | instskip(NEXT) | instid1(VALU_DEP_1)
	v_mov_b32_e32 v16, v15
	v_mad_nc_u64_u32 v[16:17], 0xf534ddc0, v8, v[16:17]
	s_delay_alu instid0(VALU_DEP_1) | instskip(NEXT) | instid1(VALU_DEP_1)
	v_mov_b32_e32 v18, v17
	;; [unrolled: 3-line block ×3, first 2 shown]
	v_mad_nc_u64_u32 v[20:21], 0x4e441529, v8, v[20:21]
	v_add_nc_u32_e32 v4, 0xffffff88, v3
	s_delay_alu instid0(VALU_DEP_1) | instskip(SKIP_1) | instid1(VALU_DEP_4)
	v_cmp_lt_u32_e32 vcc_lo, 63, v4
	v_cndmask_b32_e64 v7, 0, 0xffffffc0, vcc_lo
	v_dual_cndmask_b32 v11, v20, v16 :: v_dual_mov_b32 v22, v21
	s_delay_alu instid0(VALU_DEP_2) | instskip(NEXT) | instid1(VALU_DEP_2)
	v_dual_cndmask_b32 v13, v18, v14 :: v_dual_add_nc_u32 v4, v7, v4
	v_mad_nc_u64_u32 v[8:9], 0xa2f9836e, v8, v[22:23]
	s_delay_alu instid0(VALU_DEP_2) | instskip(NEXT) | instid1(VALU_DEP_1)
	v_cmp_lt_u32_e64 s0, 31, v4
	v_cndmask_b32_e64 v7, 0, 0xffffffe0, s0
	s_delay_alu instid0(VALU_DEP_3) | instskip(NEXT) | instid1(VALU_DEP_2)
	v_dual_cndmask_b32 v8, v8, v18 :: v_dual_cndmask_b32 v9, v9, v20
	v_add_nc_u32_e32 v4, v7, v4
	s_delay_alu instid0(VALU_DEP_1) | instskip(NEXT) | instid1(VALU_DEP_1)
	v_cmp_lt_u32_e64 s1, 31, v4
	v_cndmask_b32_e64 v7, 0, 0xffffffe0, s1
	s_delay_alu instid0(VALU_DEP_1) | instskip(SKIP_2) | instid1(VALU_DEP_3)
	v_add_nc_u32_e32 v4, v7, v4
	v_cndmask_b32_e32 v7, v16, v12, vcc_lo
	v_dual_cndmask_b32 v12, v8, v11, s0 :: v_dual_cndmask_b32 v8, v9, v8, s0
	v_dual_cndmask_b32 v9, v11, v13, s0 :: v_dual_sub_nc_u32 v11, 32, v4
	s_delay_alu instid0(VALU_DEP_2) | instskip(NEXT) | instid1(VALU_DEP_2)
	v_dual_cndmask_b32 v13, v13, v7, s0 :: v_dual_cndmask_b32 v8, v8, v12, s1
	v_cndmask_b32_e64 v12, v12, v9, s1
	s_delay_alu instid0(VALU_DEP_2) | instskip(NEXT) | instid1(VALU_DEP_2)
	v_cndmask_b32_e64 v9, v9, v13, s1
	v_alignbit_b32 v15, v8, v12, v11
	v_cndmask_b32_e32 v10, v14, v10, vcc_lo
	v_cmp_eq_u32_e32 vcc_lo, 0, v4
	s_delay_alu instid0(VALU_DEP_4) | instskip(NEXT) | instid1(VALU_DEP_4)
	v_alignbit_b32 v14, v12, v9, v11
	v_cndmask_b32_e32 v4, v15, v8, vcc_lo
	s_delay_alu instid0(VALU_DEP_2) | instskip(NEXT) | instid1(VALU_DEP_2)
	v_dual_cndmask_b32 v7, v7, v10, s0 :: v_dual_cndmask_b32 v8, v14, v12, vcc_lo
	v_bfe_u32 v10, v4, 29, 1
	s_delay_alu instid0(VALU_DEP_2) | instskip(NEXT) | instid1(VALU_DEP_3)
	v_cndmask_b32_e64 v7, v13, v7, s1
	v_alignbit_b32 v12, v4, v8, 30
	s_delay_alu instid0(VALU_DEP_3) | instskip(NEXT) | instid1(VALU_DEP_3)
	v_sub_nc_u32_e32 v13, 0, v10
	v_alignbit_b32 v11, v9, v7, v11
	s_delay_alu instid0(VALU_DEP_2) | instskip(NEXT) | instid1(VALU_DEP_2)
	v_xor_b32_e32 v12, v12, v13
	v_cndmask_b32_e32 v9, v11, v9, vcc_lo
	s_delay_alu instid0(VALU_DEP_2) | instskip(NEXT) | instid1(VALU_DEP_2)
	v_clz_i32_u32_e32 v11, v12
	v_alignbit_b32 v8, v8, v9, 30
	v_alignbit_b32 v7, v9, v7, 30
	s_delay_alu instid0(VALU_DEP_3) | instskip(NEXT) | instid1(VALU_DEP_3)
	v_min_u32_e32 v11, 32, v11
	v_xor_b32_e32 v8, v8, v13
	s_delay_alu instid0(VALU_DEP_3) | instskip(NEXT) | instid1(VALU_DEP_3)
	v_dual_lshrrev_b32 v13, 29, v4 :: v_dual_bitop2_b32 v7, v7, v13 bitop3:0x14
	v_dual_sub_nc_u32 v9, 31, v11 :: v_dual_lshlrev_b32 v14, 23, v11
	s_delay_alu instid0(VALU_DEP_1) | instskip(NEXT) | instid1(VALU_DEP_3)
	v_alignbit_b32 v12, v12, v8, v9
	v_alignbit_b32 v7, v8, v7, v9
	s_delay_alu instid0(VALU_DEP_4) | instskip(NEXT) | instid1(VALU_DEP_2)
	v_lshlrev_b32_e32 v8, 31, v13
	v_alignbit_b32 v9, v12, v7, 9
	s_delay_alu instid0(VALU_DEP_2) | instskip(SKIP_2) | instid1(VALU_DEP_4)
	v_or_b32_e32 v13, 0.5, v8
	v_lshrrev_b32_e32 v12, 9, v12
	v_or_b32_e32 v8, 0x33000000, v8
	v_clz_i32_u32_e32 v15, v9
	s_delay_alu instid0(VALU_DEP_4) | instskip(NEXT) | instid1(VALU_DEP_2)
	v_sub_nc_u32_e32 v13, v13, v14
	v_min_u32_e32 v14, 32, v15
	s_delay_alu instid0(VALU_DEP_2) | instskip(NEXT) | instid1(VALU_DEP_2)
	v_or_b32_e32 v12, v12, v13
	v_not_b32_e32 v13, v14
	v_add_lshl_u32 v11, v14, v11, 23
	s_delay_alu instid0(VALU_DEP_2) | instskip(NEXT) | instid1(VALU_DEP_2)
	v_alignbit_b32 v7, v9, v7, v13
	v_sub_nc_u32_e32 v8, v8, v11
	s_delay_alu instid0(VALU_DEP_2) | instskip(SKIP_1) | instid1(VALU_DEP_2)
	v_lshrrev_b32_e32 v7, 9, v7
	v_mul_f32_e32 v15, 0x3fc90fda, v12
	v_or_b32_e32 v7, v8, v7
	s_delay_alu instid0(VALU_DEP_2) | instskip(NEXT) | instid1(VALU_DEP_1)
	v_fma_f32 v9, 0x3fc90fda, v12, -v15
	v_fmamk_f32 v9, v12, 0x33a22168, v9
	s_delay_alu instid0(VALU_DEP_1) | instskip(NEXT) | instid1(VALU_DEP_1)
	v_fmac_f32_e32 v9, 0x3fc90fda, v7
	v_dual_add_f32 v4, v15, v9 :: v_dual_lshrrev_b32 v7, 30, v4
	s_delay_alu instid0(VALU_DEP_1)
	v_add_nc_u32_e32 v7, v10, v7
	s_or_saveexec_b32 s0, s3
	v_mul_f32_e64 v10, 0x3f22f983, |v5|
	s_xor_b32 exec_lo, exec_lo, s0
	s_branch .LBB23_13
.LBB23_12:
	s_or_saveexec_b32 s0, s3
	v_mul_f32_e64 v10, 0x3f22f983, |v5|
	s_xor_b32 exec_lo, exec_lo, s0
.LBB23_13:
	s_delay_alu instid0(VALU_DEP_1) | instskip(NEXT) | instid1(VALU_DEP_1)
	v_rndne_f32_e32 v7, v10
	v_fma_f32 v4, 0xbfc90fda, v7, |v5|
	s_delay_alu instid0(VALU_DEP_1) | instskip(NEXT) | instid1(VALU_DEP_1)
	v_fmamk_f32 v4, v7, 0xb3a22168, v4
	v_fmamk_f32 v4, v7, 0xa7c234c4, v4
	v_cvt_i32_f32_e32 v7, v7
; %bb.14:
	s_or_b32 exec_lo, exec_lo, s0
                                        ; implicit-def: $vgpr9
                                        ; implicit-def: $vgpr8
	s_and_saveexec_b32 s0, s2
	s_delay_alu instid0(SALU_CYCLE_1)
	s_xor_b32 s2, exec_lo, s0
	s_cbranch_execz .LBB23_16
; %bb.15:
	s_mov_b32 s0, 0x7fffff
	v_mov_b32_e32 v9, 0
	v_and_or_b32 v8, v1, s0, 0x800000
	s_mov_b64 s[0:1], 0xfe5163ab
	v_add_nc_u32_e32 v3, 0xffffff88, v3
	s_delay_alu instid0(VALU_DEP_2) | instskip(NEXT) | instid1(VALU_DEP_2)
	v_mul_u64_e32 v[10:11], s[0:1], v[8:9]
	v_cmp_lt_u32_e32 vcc_lo, 63, v3
	s_delay_alu instid0(VALU_DEP_2) | instskip(SKIP_2) | instid1(VALU_DEP_3)
	v_dual_mov_b32 v12, v11 :: v_dual_mov_b32 v13, v9
	v_dual_mov_b32 v15, v9 :: v_dual_mov_b32 v17, v9
	;; [unrolled: 1-line block ×3, first 2 shown]
	v_mad_nc_u64_u32 v[12:13], 0x3c439041, v8, v[12:13]
	v_cndmask_b32_e64 v11, 0, 0xffffffc0, vcc_lo
	s_delay_alu instid0(VALU_DEP_1) | instskip(NEXT) | instid1(VALU_DEP_3)
	v_dual_mov_b32 v23, v9 :: v_dual_add_nc_u32 v3, v11, v3
	v_mov_b32_e32 v14, v13
	s_delay_alu instid0(VALU_DEP_2) | instskip(NEXT) | instid1(VALU_DEP_2)
	v_cmp_lt_u32_e64 s0, 31, v3
	v_mad_nc_u64_u32 v[14:15], 0xdb629599, v8, v[14:15]
	s_delay_alu instid0(VALU_DEP_2) | instskip(NEXT) | instid1(VALU_DEP_1)
	v_cndmask_b32_e64 v11, 0, 0xffffffe0, s0
	v_add_nc_u32_e32 v3, v11, v3
	s_delay_alu instid0(VALU_DEP_3) | instskip(NEXT) | instid1(VALU_DEP_2)
	v_mov_b32_e32 v16, v15
	v_cmp_lt_u32_e64 s1, 31, v3
	v_cndmask_b32_e32 v10, v14, v10, vcc_lo
	s_delay_alu instid0(VALU_DEP_3) | instskip(NEXT) | instid1(VALU_DEP_3)
	v_mad_nc_u64_u32 v[16:17], 0xf534ddc0, v8, v[16:17]
	v_cndmask_b32_e64 v11, 0, 0xffffffe0, s1
	s_delay_alu instid0(VALU_DEP_1) | instskip(NEXT) | instid1(VALU_DEP_3)
	v_dual_add_nc_u32 v3, v11, v3 :: v_dual_cndmask_b32 v11, v16, v12, vcc_lo
	v_mov_b32_e32 v18, v17
	s_delay_alu instid0(VALU_DEP_1) | instskip(NEXT) | instid1(VALU_DEP_1)
	v_mad_nc_u64_u32 v[18:19], 0xfc2757d1, v8, v[18:19]
	v_dual_mov_b32 v20, v19 :: v_dual_cndmask_b32 v15, v18, v14
	s_delay_alu instid0(VALU_DEP_1) | instskip(NEXT) | instid1(VALU_DEP_1)
	v_mad_nc_u64_u32 v[20:21], 0x4e441529, v8, v[20:21]
	v_dual_mov_b32 v22, v21 :: v_dual_cndmask_b32 v13, v20, v16
	s_delay_alu instid0(VALU_DEP_1) | instskip(NEXT) | instid1(VALU_DEP_1)
	v_mad_nc_u64_u32 v[8:9], 0xa2f9836e, v8, v[22:23]
	v_dual_cndmask_b32 v8, v8, v18 :: v_dual_cndmask_b32 v9, v9, v20
	v_cmp_eq_u32_e32 vcc_lo, 0, v3
	s_delay_alu instid0(VALU_DEP_2) | instskip(SKIP_2) | instid1(VALU_DEP_3)
	v_dual_cndmask_b32 v12, v8, v13, s0 :: v_dual_cndmask_b32 v8, v9, v8, s0
	v_cndmask_b32_e64 v9, v13, v15, s0
	v_sub_nc_u32_e32 v13, 32, v3
	v_dual_cndmask_b32 v15, v15, v11, s0 :: v_dual_cndmask_b32 v8, v8, v12, s1
	s_delay_alu instid0(VALU_DEP_3) | instskip(NEXT) | instid1(VALU_DEP_1)
	v_cndmask_b32_e64 v12, v12, v9, s1
	v_alignbit_b32 v16, v8, v12, v13
	s_delay_alu instid0(VALU_DEP_1) | instskip(NEXT) | instid1(VALU_DEP_1)
	v_dual_cndmask_b32 v9, v9, v15, s1 :: v_dual_cndmask_b32 v3, v16, v8, vcc_lo
	v_alignbit_b32 v14, v12, v9, v13
	v_cndmask_b32_e64 v8, v11, v10, s0
	s_delay_alu instid0(VALU_DEP_3) | instskip(NEXT) | instid1(VALU_DEP_3)
	v_bfe_u32 v11, v3, 29, 1
	v_cndmask_b32_e32 v10, v14, v12, vcc_lo
	s_delay_alu instid0(VALU_DEP_2) | instskip(NEXT) | instid1(VALU_DEP_2)
	v_dual_cndmask_b32 v8, v15, v8, s1 :: v_dual_sub_nc_u32 v14, 0, v11
	v_alignbit_b32 v12, v3, v10, 30
	s_delay_alu instid0(VALU_DEP_2) | instskip(NEXT) | instid1(VALU_DEP_1)
	v_alignbit_b32 v13, v9, v8, v13
	v_dual_cndmask_b32 v9, v13, v9, vcc_lo :: v_dual_bitop2_b32 v12, v12, v14 bitop3:0x14
	s_delay_alu instid0(VALU_DEP_1) | instskip(NEXT) | instid1(VALU_DEP_2)
	v_clz_i32_u32_e32 v13, v12
	v_alignbit_b32 v10, v10, v9, 30
	v_alignbit_b32 v8, v9, v8, 30
	s_delay_alu instid0(VALU_DEP_3) | instskip(NEXT) | instid1(VALU_DEP_3)
	v_min_u32_e32 v13, 32, v13
	v_xor_b32_e32 v9, v10, v14
	s_delay_alu instid0(VALU_DEP_3) | instskip(NEXT) | instid1(VALU_DEP_3)
	v_dual_lshrrev_b32 v14, 29, v3 :: v_dual_bitop2_b32 v8, v8, v14 bitop3:0x14
	v_dual_lshrrev_b32 v3, 30, v3 :: v_dual_sub_nc_u32 v10, 31, v13
	v_lshlrev_b32_e32 v15, 23, v13
	s_delay_alu instid0(VALU_DEP_2) | instskip(NEXT) | instid1(VALU_DEP_4)
	v_alignbit_b32 v12, v12, v9, v10
	v_alignbit_b32 v8, v9, v8, v10
	v_lshlrev_b32_e32 v9, 31, v14
	s_delay_alu instid0(VALU_DEP_2) | instskip(NEXT) | instid1(VALU_DEP_2)
	v_alignbit_b32 v10, v12, v8, 9
	v_dual_lshrrev_b32 v12, 9, v12 :: v_dual_bitop2_b32 v14, 0.5, v9 bitop3:0x54
	v_or_b32_e32 v9, 0x33000000, v9
	s_delay_alu instid0(VALU_DEP_3) | instskip(NEXT) | instid1(VALU_DEP_3)
	v_clz_i32_u32_e32 v16, v10
	v_sub_nc_u32_e32 v14, v14, v15
	s_delay_alu instid0(VALU_DEP_2) | instskip(NEXT) | instid1(VALU_DEP_1)
	v_min_u32_e32 v15, 32, v16
	v_add_lshl_u32 v13, v15, v13, 23
	s_delay_alu instid0(VALU_DEP_1) | instskip(SKIP_1) | instid1(VALU_DEP_1)
	v_dual_sub_nc_u32 v9, v9, v13 :: v_dual_bitop2_b32 v12, v12, v14 bitop3:0x54
	v_not_b32_e32 v14, v15
	v_alignbit_b32 v8, v10, v8, v14
	s_delay_alu instid0(VALU_DEP_1) | instskip(NEXT) | instid1(VALU_DEP_4)
	v_lshrrev_b32_e32 v8, 9, v8
	v_mul_f32_e32 v16, 0x3fc90fda, v12
	s_delay_alu instid0(VALU_DEP_2) | instskip(NEXT) | instid1(VALU_DEP_2)
	v_or_b32_e32 v8, v9, v8
	v_fma_f32 v10, 0x3fc90fda, v12, -v16
	s_delay_alu instid0(VALU_DEP_1) | instskip(NEXT) | instid1(VALU_DEP_1)
	v_dual_fmamk_f32 v10, v12, 0x33a22168, v10 :: v_dual_add_nc_u32 v9, v11, v3
	v_fmac_f32_e32 v10, 0x3fc90fda, v8
	s_delay_alu instid0(VALU_DEP_1)
	v_add_f32_e32 v8, v16, v10
                                        ; implicit-def: $vgpr10
	s_and_not1_saveexec_b32 s0, s2
	s_cbranch_execnz .LBB23_17
	s_branch .LBB23_18
.LBB23_16:
	s_and_not1_saveexec_b32 s0, s2
.LBB23_17:
	v_rndne_f32_e32 v3, v10
	s_delay_alu instid0(VALU_DEP_1) | instskip(SKIP_1) | instid1(VALU_DEP_2)
	v_fma_f32 v8, 0xbfc90fda, v3, |v5|
	v_cvt_i32_f32_e32 v9, v3
	v_fmamk_f32 v8, v3, 0xb3a22168, v8
	s_delay_alu instid0(VALU_DEP_1)
	v_fmamk_f32 v8, v3, 0xa7c234c4, v8
.LBB23_18:
	s_or_b32 exec_lo, exec_lo, s0
	v_ashrrev_i32_e32 v3, 31, v2
	s_lshr_b32 s0, s21, 31
	s_mov_b32 s2, 0xb94c1982
	s_add_co_i32 s0, s21, s0
	s_mov_b32 s3, 0x37d75334
	v_lshl_add_u64 v[10:11], v[2:3], 2, s[12:13]
	s_ashr_i32 s0, s0, 1
	v_mul_f32_e32 v3, v8, v8
	s_ashr_i32 s1, s0, 31
	s_delay_alu instid0(VALU_DEP_2) | instid1(SALU_CYCLE_1)
	v_lshl_add_u64 v[10:11], s[0:1], 2, v[10:11]
	s_clause 0x1
	global_load_b32 v12, v[10:11], off
	global_load_b32 v13, v2, s[12:13] scale_offset
	s_wait_xcnt 0x0
	v_dual_mul_f32 v2, v4, v4 :: v_dual_bitop2_b32 v10, 1, v7 bitop3:0x40
	v_fmaak_f32 v15, s2, v3, 0x3c0881c4
	v_lshlrev_b32_e32 v7, 30, v7
	v_fmaak_f32 v16, s3, v3, 0xbab64f3b
	s_delay_alu instid0(VALU_DEP_4) | instskip(SKIP_2) | instid1(VALU_DEP_1)
	v_fmaak_f32 v14, s3, v2, 0xbab64f3b
	v_cmp_eq_u32_e32 vcc_lo, 0, v10
	v_fmaak_f32 v15, v3, v15, 0xbe2aaa9d
	v_dual_fmaak_f32 v14, v2, v14, 0x3d2aabf7 :: v_dual_mul_f32 v15, v3, v15
	s_delay_alu instid0(VALU_DEP_1) | instskip(NEXT) | instid1(VALU_DEP_1)
	v_dual_fmaak_f32 v11, s2, v2, 0x3c0881c4 :: v_dual_fmac_f32 v8, v8, v15
	v_fmaak_f32 v11, v2, v11, 0xbe2aaa9d
	v_dual_lshlrev_b32 v9, 30, v9 :: v_dual_bitop2_b32 v17, 1, v9 bitop3:0x40
	s_delay_alu instid0(VALU_DEP_2) | instskip(SKIP_1) | instid1(VALU_DEP_3)
	v_dual_fmaak_f32 v16, v3, v16, 0x3d2aabf7 :: v_dual_mul_f32 v11, v2, v11
	v_xor_b32_e32 v1, v1, v5
	v_and_b32_e32 v9, 0x80000000, v9
	s_delay_alu instid0(VALU_DEP_3) | instskip(NEXT) | instid1(VALU_DEP_4)
	v_fmaak_f32 v16, v3, v16, 0xbf000004
	v_fmac_f32_e32 v4, v4, v11
	s_delay_alu instid0(VALU_DEP_2) | instskip(SKIP_1) | instid1(VALU_DEP_1)
	v_fma_f32 v3, v3, v16, 1.0
	v_fmaak_f32 v14, v2, v14, 0xbf000004
	v_fma_f32 v2, v2, v14, 1.0
	s_delay_alu instid0(VALU_DEP_1) | instskip(SKIP_1) | instid1(VALU_DEP_2)
	v_cndmask_b32_e64 v2, -v4, v2, vcc_lo
	v_cmp_eq_u32_e32 vcc_lo, 0, v17
	v_bitop3_b32 v2, v7, v2, 0x80000000 bitop3:0x6c
	v_cndmask_b32_e32 v3, v3, v8, vcc_lo
	v_cmp_class_f32_e64 vcc_lo, v5, 0x1f8
	s_delay_alu instid0(VALU_DEP_2) | instskip(NEXT) | instid1(VALU_DEP_4)
	v_xor3_b32 v1, v1, v9, v3
	v_cndmask_b32_e32 v4, 0x7fc00000, v2, vcc_lo
	s_delay_alu instid0(VALU_DEP_2) | instskip(NEXT) | instid1(VALU_DEP_1)
	v_dual_cndmask_b32 v2, 0x7fc00000, v1 :: v_dual_ashrrev_i32 v1, 31, v0
	v_mul_f32_e64 v5, v2, -v6
	s_delay_alu instid0(VALU_DEP_2) | instskip(NEXT) | instid1(VALU_DEP_4)
	v_lshl_add_u64 v[2:3], v[0:1], 1, s[14:15]
	v_mul_f32_e32 v1, v6, v4
	s_delay_alu instid0(VALU_DEP_2) | instskip(SKIP_2) | instid1(VALU_DEP_1)
	v_lshl_add_u64 v[2:3], s[0:1], 1, v[2:3]
	s_wait_loadcnt 0x0
	v_dual_mul_f32 v4, v12, v5 :: v_dual_mul_f32 v5, v13, v5
	v_fma_mixlo_f16 v4, v1, v13, -v4
	s_delay_alu instid0(VALU_DEP_2)
	v_fma_mixlo_f16 v1, v1, v12, v5
	s_clause 0x1
	global_store_b16 v0, v4, s[14:15] scale_offset
	global_store_b16 v[2:3], v1, off
.LBB23_19:
	s_endpgm
	.section	.rodata,"a",@progbits
	.p2align	6, 0x0
	.amdhsa_kernel _ZL9rope_neoxILb0ELb1Ef6__halfEvPKT1_PT2_iiiiiiiiiiPKifff14rope_corr_dimsfPKfPKli
		.amdhsa_group_segment_fixed_size 0
		.amdhsa_private_segment_fixed_size 0
		.amdhsa_kernarg_size 368
		.amdhsa_user_sgpr_count 2
		.amdhsa_user_sgpr_dispatch_ptr 0
		.amdhsa_user_sgpr_queue_ptr 0
		.amdhsa_user_sgpr_kernarg_segment_ptr 1
		.amdhsa_user_sgpr_dispatch_id 0
		.amdhsa_user_sgpr_kernarg_preload_length 0
		.amdhsa_user_sgpr_kernarg_preload_offset 0
		.amdhsa_user_sgpr_private_segment_size 0
		.amdhsa_wavefront_size32 1
		.amdhsa_uses_dynamic_stack 0
		.amdhsa_enable_private_segment 0
		.amdhsa_system_sgpr_workgroup_id_x 1
		.amdhsa_system_sgpr_workgroup_id_y 1
		.amdhsa_system_sgpr_workgroup_id_z 0
		.amdhsa_system_sgpr_workgroup_info 0
		.amdhsa_system_vgpr_workitem_id 1
		.amdhsa_next_free_vgpr 24
		.amdhsa_next_free_sgpr 22
		.amdhsa_named_barrier_count 0
		.amdhsa_reserve_vcc 1
		.amdhsa_float_round_mode_32 0
		.amdhsa_float_round_mode_16_64 0
		.amdhsa_float_denorm_mode_32 3
		.amdhsa_float_denorm_mode_16_64 3
		.amdhsa_fp16_overflow 0
		.amdhsa_memory_ordered 1
		.amdhsa_forward_progress 1
		.amdhsa_inst_pref_size 38
		.amdhsa_round_robin_scheduling 0
		.amdhsa_exception_fp_ieee_invalid_op 0
		.amdhsa_exception_fp_denorm_src 0
		.amdhsa_exception_fp_ieee_div_zero 0
		.amdhsa_exception_fp_ieee_overflow 0
		.amdhsa_exception_fp_ieee_underflow 0
		.amdhsa_exception_fp_ieee_inexact 0
		.amdhsa_exception_int_div_zero 0
	.end_amdhsa_kernel
	.section	.text._ZL9rope_neoxILb0ELb1Ef6__halfEvPKT1_PT2_iiiiiiiiiiPKifff14rope_corr_dimsfPKfPKli,"axG",@progbits,_ZL9rope_neoxILb0ELb1Ef6__halfEvPKT1_PT2_iiiiiiiiiiPKifff14rope_corr_dimsfPKfPKli,comdat
.Lfunc_end23:
	.size	_ZL9rope_neoxILb0ELb1Ef6__halfEvPKT1_PT2_iiiiiiiiiiPKifff14rope_corr_dimsfPKfPKli, .Lfunc_end23-_ZL9rope_neoxILb0ELb1Ef6__halfEvPKT1_PT2_iiiiiiiiiiPKifff14rope_corr_dimsfPKfPKli
                                        ; -- End function
	.set _ZL9rope_neoxILb0ELb1Ef6__halfEvPKT1_PT2_iiiiiiiiiiPKifff14rope_corr_dimsfPKfPKli.num_vgpr, 24
	.set _ZL9rope_neoxILb0ELb1Ef6__halfEvPKT1_PT2_iiiiiiiiiiPKifff14rope_corr_dimsfPKfPKli.num_agpr, 0
	.set _ZL9rope_neoxILb0ELb1Ef6__halfEvPKT1_PT2_iiiiiiiiiiPKifff14rope_corr_dimsfPKfPKli.numbered_sgpr, 22
	.set _ZL9rope_neoxILb0ELb1Ef6__halfEvPKT1_PT2_iiiiiiiiiiPKifff14rope_corr_dimsfPKfPKli.num_named_barrier, 0
	.set _ZL9rope_neoxILb0ELb1Ef6__halfEvPKT1_PT2_iiiiiiiiiiPKifff14rope_corr_dimsfPKfPKli.private_seg_size, 0
	.set _ZL9rope_neoxILb0ELb1Ef6__halfEvPKT1_PT2_iiiiiiiiiiPKifff14rope_corr_dimsfPKfPKli.uses_vcc, 1
	.set _ZL9rope_neoxILb0ELb1Ef6__halfEvPKT1_PT2_iiiiiiiiiiPKifff14rope_corr_dimsfPKfPKli.uses_flat_scratch, 0
	.set _ZL9rope_neoxILb0ELb1Ef6__halfEvPKT1_PT2_iiiiiiiiiiPKifff14rope_corr_dimsfPKfPKli.has_dyn_sized_stack, 0
	.set _ZL9rope_neoxILb0ELb1Ef6__halfEvPKT1_PT2_iiiiiiiiiiPKifff14rope_corr_dimsfPKfPKli.has_recursion, 0
	.set _ZL9rope_neoxILb0ELb1Ef6__halfEvPKT1_PT2_iiiiiiiiiiPKifff14rope_corr_dimsfPKfPKli.has_indirect_call, 0
	.section	.AMDGPU.csdata,"",@progbits
; Kernel info:
; codeLenInByte = 4808
; TotalNumSgprs: 24
; NumVgprs: 24
; ScratchSize: 0
; MemoryBound: 0
; FloatMode: 240
; IeeeMode: 1
; LDSByteSize: 0 bytes/workgroup (compile time only)
; SGPRBlocks: 0
; VGPRBlocks: 1
; NumSGPRsForWavesPerEU: 24
; NumVGPRsForWavesPerEU: 24
; NamedBarCnt: 0
; Occupancy: 16
; WaveLimiterHint : 0
; COMPUTE_PGM_RSRC2:SCRATCH_EN: 0
; COMPUTE_PGM_RSRC2:USER_SGPR: 2
; COMPUTE_PGM_RSRC2:TRAP_HANDLER: 0
; COMPUTE_PGM_RSRC2:TGID_X_EN: 1
; COMPUTE_PGM_RSRC2:TGID_Y_EN: 1
; COMPUTE_PGM_RSRC2:TGID_Z_EN: 0
; COMPUTE_PGM_RSRC2:TIDIG_COMP_CNT: 1
	.section	.text._ZL9rope_neoxILb0ELb0E6__halfS0_EvPKT1_PT2_iiiiiiiiiiPKifff14rope_corr_dimsfPKfPKli,"axG",@progbits,_ZL9rope_neoxILb0ELb0E6__halfS0_EvPKT1_PT2_iiiiiiiiiiPKifff14rope_corr_dimsfPKfPKli,comdat
	.globl	_ZL9rope_neoxILb0ELb0E6__halfS0_EvPKT1_PT2_iiiiiiiiiiPKifff14rope_corr_dimsfPKfPKli ; -- Begin function _ZL9rope_neoxILb0ELb0E6__halfS0_EvPKT1_PT2_iiiiiiiiiiPKifff14rope_corr_dimsfPKfPKli
	.p2align	8
	.type	_ZL9rope_neoxILb0ELb0E6__halfS0_EvPKT1_PT2_iiiiiiiiiiPKifff14rope_corr_dimsfPKfPKli,@function
_ZL9rope_neoxILb0ELb0E6__halfS0_EvPKT1_PT2_iiiiiiiiiiPKifff14rope_corr_dimsfPKfPKli: ; @_ZL9rope_neoxILb0ELb0E6__halfS0_EvPKT1_PT2_iiiiiiiiiiPKifff14rope_corr_dimsfPKfPKli
; %bb.0:
	s_clause 0x1
	s_load_u16 s3, s[0:1], 0x7e
	s_load_b256 s[4:11], s[0:1], 0x10
	s_bfe_u32 s2, ttmp6, 0x40010
	s_bfe_u32 s13, ttmp6, 0x40004
	s_add_co_i32 s2, s2, 1
	v_bfe_u32 v1, v0, 10, 10
	s_mul_i32 s12, ttmp7, s2
	s_getreg_b32 s2, hwreg(HW_REG_IB_STS2, 6, 4)
	s_add_co_i32 s13, s13, s12
	s_cmp_eq_u32 s2, 0
	s_cselect_b32 s12, ttmp7, s13
	s_wait_kmcnt 0x0
	s_mul_i32 s12, s12, s3
	s_mov_b32 s3, exec_lo
	v_add_lshl_u32 v3, s12, v1, 1
	s_delay_alu instid0(VALU_DEP_1)
	v_cmpx_gt_i32_e64 s4, v3
	s_cbranch_execz .LBB24_19
; %bb.1:
	s_add_nc_u64 s[12:13], s[0:1], 0x70
	s_bfe_u32 s4, ttmp6, 0x4000c
	s_load_b32 s3, s[12:13], 0xc
	s_add_co_i32 s4, s4, 1
	s_wait_xcnt 0x0
	s_and_b32 s12, ttmp6, 15
	s_mul_i32 s4, ttmp9, s4
	v_and_b32_e32 v0, 0x3ff, v0
	s_add_co_i32 s12, s12, s4
	s_load_b64 s[16:17], s[0:1], 0x30
	s_wait_kmcnt 0x0
	s_and_b32 s3, s3, 0xffff
	s_cmp_eq_u32 s2, 0
	s_mul_i32 s2, s6, s5
	s_cselect_b32 s4, ttmp9, s12
	s_abs_i32 s6, s2
	v_mad_u32 v2, s4, s3, v0
	s_cvt_f32_u32 s12, s6
	s_sub_co_i32 s4, 0, s6
	s_delay_alu instid0(SALU_CYCLE_2) | instskip(NEXT) | instid1(VALU_DEP_1)
	v_rcp_iflag_f32_e32 v1, s12
	v_sub_nc_u32_e32 v0, 0, v2
	s_delay_alu instid0(TRANS32_DEP_1) | instskip(NEXT) | instid1(VALU_DEP_2)
	v_readfirstlane_b32 s3, v1
	v_max_i32_e32 v0, v2, v0
	s_mul_f32 s3, s3, 0x4f7ffffe
	s_delay_alu instid0(SALU_CYCLE_3) | instskip(NEXT) | instid1(SALU_CYCLE_3)
	s_cvt_u32_f32 s3, s3
	s_mul_i32 s4, s4, s3
	s_delay_alu instid0(SALU_CYCLE_1) | instskip(NEXT) | instid1(SALU_CYCLE_1)
	s_mul_hi_u32 s4, s3, s4
	s_add_co_i32 s3, s3, s4
	s_delay_alu instid0(SALU_CYCLE_1) | instskip(SKIP_1) | instid1(VALU_DEP_1)
	v_mul_hi_u32 v1, v0, s3
	s_cvt_f32_u32 s3, s5
	v_mul_lo_u32 v4, v1, s6
	s_delay_alu instid0(VALU_DEP_1) | instskip(NEXT) | instid1(VALU_DEP_1)
	v_dual_sub_nc_u32 v0, v0, v4 :: v_dual_add_nc_u32 v4, 1, v1
	v_cmp_le_u32_e32 vcc_lo, s6, v0
	s_delay_alu instid0(VALU_DEP_2) | instskip(SKIP_1) | instid1(VALU_DEP_1)
	v_cndmask_b32_e32 v1, v1, v4, vcc_lo
	v_subrev_nc_u32_e32 v5, s6, v0
	v_dual_cndmask_b32 v0, v0, v5, vcc_lo :: v_dual_bitop2_b32 v4, s2, v2 bitop3:0x14
	s_delay_alu instid0(VALU_DEP_3) | instskip(NEXT) | instid1(VALU_DEP_2)
	v_add_nc_u32_e32 v5, 1, v1
	v_cmp_le_u32_e32 vcc_lo, s6, v0
	s_delay_alu instid0(VALU_DEP_2) | instskip(SKIP_1) | instid1(VALU_DEP_1)
	v_dual_ashrrev_i32 v4, 31, v4 :: v_dual_cndmask_b32 v0, v1, v5, vcc_lo
	v_rcp_iflag_f32_e32 v1, s3
	v_xor_b32_e32 v0, v0, v4
	s_delay_alu instid0(TRANS32_DEP_1) | instskip(NEXT) | instid1(VALU_DEP_2)
	v_readfirstlane_b32 s3, v1
	v_sub_nc_u32_e32 v0, v0, v4
	s_delay_alu instid0(VALU_DEP_1) | instskip(SKIP_2) | instid1(SALU_CYCLE_2)
	v_mul_lo_u32 v1, s2, v0
	s_mul_f32 s2, s3, 0x4f7ffffe
	s_sub_co_i32 s3, 0, s5
	s_cvt_u32_f32 s2, s2
	s_delay_alu instid0(SALU_CYCLE_3) | instskip(NEXT) | instid1(VALU_DEP_1)
	s_mul_i32 s3, s3, s2
	v_sub_nc_u32_e32 v2, v2, v1
	s_mul_hi_u32 s3, s2, s3
	s_delay_alu instid0(SALU_CYCLE_1)
	s_add_co_i32 s2, s2, s3
	s_delay_alu instid0(VALU_DEP_1) | instid1(SALU_CYCLE_1)
	v_mul_hi_u32 v1, v2, s2
	s_load_b32 s2, s[0:1], 0x68
	s_delay_alu instid0(VALU_DEP_1) | instskip(SKIP_2) | instid1(VALU_DEP_1)
	v_mul_lo_u32 v4, v1, s5
	s_wait_kmcnt 0x0
	s_cmp_eq_u32 s2, 0
	v_sub_nc_u32_e32 v4, v2, v4
	s_delay_alu instid0(VALU_DEP_1) | instskip(SKIP_1) | instid1(VALU_DEP_2)
	v_subrev_nc_u32_e32 v6, s5, v4
	v_cmp_le_u32_e32 vcc_lo, s5, v4
	v_dual_cndmask_b32 v4, v4, v6 :: v_dual_add_nc_u32 v5, 1, v1
	s_delay_alu instid0(VALU_DEP_1) | instskip(NEXT) | instid1(VALU_DEP_2)
	v_cndmask_b32_e32 v1, v1, v5, vcc_lo
	v_cmp_le_u32_e32 vcc_lo, s5, v4
	s_delay_alu instid0(VALU_DEP_2) | instskip(NEXT) | instid1(VALU_DEP_1)
	v_add_nc_u32_e32 v5, 1, v1
	v_cndmask_b32_e32 v4, v1, v5, vcc_lo
	s_cbranch_scc1 .LBB24_3
; %bb.2:
	s_load_b64 s[12:13], s[0:1], 0x60
	v_mov_b32_e32 v5, 0
	s_wait_kmcnt 0x0
	s_delay_alu instid0(VALU_DEP_1)
	v_lshl_add_u64 v[6:7], v[4:5], 3, s[12:13]
	global_load_b32 v1, v[6:7], off
	s_wait_loadcnt 0x0
	v_mul_lo_u32 v5, s2, v1
	s_branch .LBB24_4
.LBB24_3:
	v_mul_lo_u32 v1, v0, s16
	s_delay_alu instid0(VALU_DEP_1)
	v_mad_u32 v5, v4, s11, v1
.LBB24_4:
	v_mul_lo_u32 v6, v4, s5
	v_ashrrev_i32_e32 v1, 1, v3
	s_load_b128 s[12:15], s[0:1], 0x0
	s_mov_b32 s2, exec_lo
	s_delay_alu instid0(VALU_DEP_2) | instskip(NEXT) | instid1(VALU_DEP_2)
	v_sub_nc_u32_e32 v2, v2, v6
	v_mad_u32 v0, v0, s9, v1
	s_delay_alu instid0(VALU_DEP_2) | instskip(NEXT) | instid1(VALU_DEP_2)
	v_mul_lo_u32 v6, v2, s10
	v_mad_u32 v0, v4, s8, v0
	s_delay_alu instid0(VALU_DEP_1) | instskip(NEXT) | instid1(VALU_DEP_3)
	v_mad_u32 v2, v2, s7, v0
	v_add3_u32 v0, v6, v1, v5
	v_cmpx_le_i32_e64 s17, v3
	s_xor_b32 s2, exec_lo, s2
	s_cbranch_execz .LBB24_6
; %bb.5:
	s_delay_alu instid0(VALU_DEP_2)
	v_dual_add_nc_u32 v2, v2, v1 :: v_dual_add_nc_u32 v0, v0, v1
                                        ; implicit-def: $vgpr4
	s_wait_kmcnt 0x0
	global_load_u16 v3, v2, s[12:13] scale_offset
	s_wait_loadcnt 0x0
	global_store_b16 v0, v3, s[14:15] scale_offset
	global_load_u16 v1, v2, s[12:13] offset:2 scale_offset
                                        ; implicit-def: $vgpr2
                                        ; implicit-def: $vgpr3
	s_wait_loadcnt 0x0
	global_store_b16 v0, v1, s[14:15] offset:2 scale_offset
                                        ; implicit-def: $vgpr0
                                        ; implicit-def: $vgpr1
.LBB24_6:
	s_wait_xcnt 0x0
	s_and_not1_saveexec_b32 s2, s2
	s_cbranch_execz .LBB24_19
; %bb.7:
	s_load_b64 s[6:7], s[0:1], 0x50
	v_cvt_f32_i32_e32 v3, v3
	s_mov_b32 s4, 0x3e76c4e1
	s_clause 0x1
	s_load_b64 s[2:3], s[0:1], 0x38
	s_load_b128 s[8:11], s[0:1], 0x40
	v_mul_f32_e32 v3, 0.5, v3
	s_wait_kmcnt 0x0
	s_cmp_neq_f32 s7, 1.0
	global_load_b32 v22, v4, s[2:3] scale_offset
	s_cselect_b32 vcc_lo, -1, 0
	v_cndmask_b32_e32 v5, 1.0, v3, vcc_lo
	s_delay_alu instid0(VALU_DEP_1) | instskip(SKIP_1) | instid1(VALU_DEP_1)
	v_cmp_neq_f32_e32 vcc_lo, 0, v5
	v_cndmask_b32_e64 v3, 1.0, s7, vcc_lo
	v_frexp_mant_f32_e64 v6, |v3|
	v_cmp_lt_f32_e64 s7, |v3|, 1.0
	v_cmp_class_f32_e64 s0, v3, 0x204
	s_delay_alu instid0(VALU_DEP_3) | instskip(SKIP_1) | instid1(VALU_DEP_1)
	v_cmp_gt_f32_e32 vcc_lo, 0x3f2aaaab, v6
	v_cndmask_b32_e64 v7, 1.0, 2.0, vcc_lo
	v_mul_f32_e32 v6, v6, v7
	s_delay_alu instid0(VALU_DEP_1) | instskip(SKIP_1) | instid1(VALU_DEP_2)
	v_dual_add_f32 v9, 1.0, v6 :: v_dual_add_f32 v7, -1.0, v6
	v_cmp_neq_f32_e64 s5, v5, |v5|
	v_rcp_f32_e32 v12, v9
	v_add_f32_e32 v10, -1.0, v9
	s_xor_b32 s5, s5, s7
	s_delay_alu instid0(TRANS32_DEP_1) | instid1(VALU_DEP_1)
	v_dual_mul_f32 v13, v7, v12 :: v_dual_sub_f32 v6, v6, v10
	s_delay_alu instid0(VALU_DEP_1) | instskip(NEXT) | instid1(VALU_DEP_1)
	v_mul_f32_e32 v8, v9, v13
	v_fma_f32 v10, v13, v9, -v8
	s_delay_alu instid0(VALU_DEP_1) | instskip(NEXT) | instid1(VALU_DEP_1)
	v_fmac_f32_e32 v10, v13, v6
	v_add_f32_e32 v6, v8, v10
	s_delay_alu instid0(VALU_DEP_1) | instskip(NEXT) | instid1(VALU_DEP_1)
	v_dual_sub_f32 v9, v7, v6 :: v_dual_mov_b32 v11, v6
	v_pk_add_f32 v[6:7], v[6:7], v[8:9] neg_lo:[0,1] neg_hi:[0,1]
	s_delay_alu instid0(VALU_DEP_1) | instskip(NEXT) | instid1(VALU_DEP_1)
	v_pk_add_f32 v[6:7], v[6:7], v[10:11] neg_lo:[0,1] neg_hi:[0,1]
	v_add_f32_e32 v6, v6, v7
	s_delay_alu instid0(VALU_DEP_1) | instskip(NEXT) | instid1(VALU_DEP_1)
	v_add_f32_e32 v6, v9, v6
	v_mul_f32_e32 v7, v12, v6
	s_delay_alu instid0(VALU_DEP_1) | instskip(NEXT) | instid1(VALU_DEP_1)
	v_add_f32_e32 v6, v13, v7
	v_sub_f32_e32 v8, v6, v13
	s_delay_alu instid0(VALU_DEP_1) | instskip(NEXT) | instid1(VALU_DEP_1)
	v_sub_f32_e32 v18, v7, v8
	v_add_f32_e32 v8, v18, v18
	v_mul_f32_e32 v9, v6, v6
	s_delay_alu instid0(VALU_DEP_1) | instskip(NEXT) | instid1(VALU_DEP_1)
	v_fma_f32 v7, v6, v6, -v9
	v_fmac_f32_e32 v7, v6, v8
	s_delay_alu instid0(VALU_DEP_1) | instskip(NEXT) | instid1(VALU_DEP_1)
	v_add_f32_e32 v8, v9, v7
	v_dual_fmaak_f32 v10, s4, v8, 0x3e91f4c4 :: v_dual_sub_f32 v9, v8, v9
	v_cmp_eq_f32_e64 s4, 0, v3
	s_delay_alu instid0(VALU_DEP_2) | instskip(SKIP_1) | instid1(VALU_DEP_2)
	v_fmaak_f32 v12, v8, v10, 0x3ecccdef
	v_cvt_f64_f32_e64 v[10:11], |v3|
	v_dual_sub_f32 v16, v7, v9 :: v_dual_mul_f32 v13, v8, v12
	s_delay_alu instid0(VALU_DEP_1) | instskip(NEXT) | instid1(VALU_DEP_1)
	v_fma_f32 v7, v8, v12, -v13
	v_fmac_f32_e32 v7, v16, v12
	s_wait_xcnt 0x0
	s_delay_alu instid0(VALU_DEP_1) | instskip(NEXT) | instid1(VALU_DEP_1)
	v_add_f32_e32 v4, v13, v7
	v_sub_f32_e32 v9, v4, v13
	v_add_f32_e32 v13, 0x3f2aaaaa, v4
	s_delay_alu instid0(VALU_DEP_2) | instskip(NEXT) | instid1(VALU_DEP_2)
	v_sub_f32_e32 v7, v7, v9
	v_add_f32_e32 v9, 0xbf2aaaaa, v13
	v_frexp_exp_i32_f64_e32 v17, v[10:11]
	s_delay_alu instid0(VALU_DEP_3) | instskip(NEXT) | instid1(VALU_DEP_3)
	v_add_f32_e32 v7, 0x31739010, v7
	v_sub_f32_e32 v9, v4, v9
	s_delay_alu instid0(VALU_DEP_1) | instskip(NEXT) | instid1(VALU_DEP_1)
	v_pk_mul_f32 v[10:11], v[6:7], v[8:9]
	v_fma_f32 v12, v8, v6, -v10
	s_delay_alu instid0(VALU_DEP_1) | instskip(NEXT) | instid1(VALU_DEP_1)
	v_fmac_f32_e32 v12, v8, v18
	v_fmac_f32_e32 v12, v16, v6
	v_pk_add_f32 v[14:15], v[6:7], v[8:9]
	s_delay_alu instid0(VALU_DEP_1) | instskip(SKIP_1) | instid1(VALU_DEP_2)
	v_mov_b32_e32 v11, v15
	v_subrev_co_ci_u32_e64 v7, null, 0, v17, vcc_lo
	v_pk_add_f32 v[8:9], v[10:11], v[12:13]
	s_delay_alu instid0(VALU_DEP_1) | instskip(NEXT) | instid1(VALU_DEP_1)
	v_mov_b32_e32 v4, v9
	v_pk_mul_f32 v[16:17], v[8:9], v[4:5]
	v_sub_f32_e32 v11, v13, v9
	v_cvt_f32_i32_e32 v4, v7
	s_delay_alu instid0(VALU_DEP_3) | instskip(NEXT) | instid1(VALU_DEP_2)
	v_dual_sub_f32 v7, v8, v10 :: v_dual_fma_f32 v10, v8, v9, -v16
	v_dual_add_f32 v11, v15, v11 :: v_dual_mul_f32 v14, 0x3f317218, v4
	s_delay_alu instid0(VALU_DEP_2) | instskip(NEXT) | instid1(VALU_DEP_2)
	v_sub_f32_e32 v7, v12, v7
	v_fmac_f32_e32 v10, v8, v11
	s_delay_alu instid0(VALU_DEP_3) | instskip(NEXT) | instid1(VALU_DEP_2)
	v_fma_f32 v8, 0x3f317218, v4, -v14
	v_fmac_f32_e32 v10, v7, v9
	v_ldexp_f32 v9, v6, 1
	s_delay_alu instid0(VALU_DEP_2) | instskip(NEXT) | instid1(VALU_DEP_2)
	v_add_f32_e32 v15, v16, v10
	v_dual_fmamk_f32 v8, v4, 0xb102e308, v8 :: v_dual_mov_b32 v17, v9
	v_ldexp_f32 v4, v18, 1
	s_delay_alu instid0(VALU_DEP_3) | instskip(NEXT) | instid1(VALU_DEP_3)
	v_mov_b32_e32 v11, v15
	v_pk_add_f32 v[6:7], v[14:15], v[8:9]
	s_delay_alu instid0(VALU_DEP_1) | instskip(SKIP_1) | instid1(VALU_DEP_1)
	v_dual_mov_b32 v13, v7 :: v_dual_mov_b32 v9, v6
	v_dual_mov_b32 v12, v15 :: v_dual_mov_b32 v20, v7
	v_pk_add_f32 v[12:13], v[12:13], v[16:17] neg_lo:[0,1] neg_hi:[0,1]
	s_delay_alu instid0(VALU_DEP_1) | instskip(NEXT) | instid1(VALU_DEP_1)
	v_pk_add_f32 v[10:11], v[10:11], v[12:13] neg_lo:[0,1] neg_hi:[0,1]
	v_add_f32_e32 v4, v4, v10
	s_delay_alu instid0(VALU_DEP_1) | instskip(NEXT) | instid1(VALU_DEP_1)
	v_add_f32_e32 v15, v4, v11
	v_pk_add_f32 v[10:11], v[6:7], v[14:15]
	v_pk_add_f32 v[12:13], v[6:7], v[14:15] neg_lo:[0,1] neg_hi:[0,1]
	s_delay_alu instid0(VALU_DEP_2) | instskip(NEXT) | instid1(VALU_DEP_1)
	v_mov_b32_e32 v13, v11
	v_pk_add_f32 v[16:17], v[8:9], v[12:13]
	v_pk_add_f32 v[8:9], v[8:9], v[12:13] neg_lo:[0,1] neg_hi:[0,1]
	s_delay_alu instid0(VALU_DEP_2) | instskip(NEXT) | instid1(VALU_DEP_1)
	v_dual_mov_b32 v4, v17 :: v_dual_mov_b32 v9, v17
	v_pk_add_f32 v[18:19], v[4:5], v[6:7] neg_lo:[0,1] neg_hi:[0,1]
	v_dual_mov_b32 v16, v11 :: v_dual_mov_b32 v7, v6
	s_delay_alu instid0(VALU_DEP_2) | instskip(SKIP_1) | instid1(VALU_DEP_2)
	v_dual_mov_b32 v6, v15 :: v_dual_mov_b32 v21, v18
	v_mov_b32_e32 v15, v18
	v_pk_add_f32 v[12:13], v[16:17], v[20:21] neg_lo:[0,1] neg_hi:[0,1]
	s_delay_alu instid0(VALU_DEP_2) | instskip(SKIP_1) | instid1(VALU_DEP_3)
	v_pk_add_f32 v[10:11], v[10:11], v[14:15] neg_lo:[0,1] neg_hi:[0,1]
	v_mov_b32_e32 v10, v8
	v_pk_add_f32 v[6:7], v[6:7], v[12:13] neg_lo:[0,1] neg_hi:[0,1]
	s_delay_alu instid0(VALU_DEP_1) | instskip(NEXT) | instid1(VALU_DEP_1)
	v_pk_add_f32 v[10:11], v[10:11], v[6:7]
	v_mov_b32_e32 v12, v11
	s_delay_alu instid0(VALU_DEP_1) | instskip(NEXT) | instid1(VALU_DEP_1)
	v_pk_add_f32 v[12:13], v[10:11], v[12:13]
	v_pk_add_f32 v[14:15], v[4:5], v[12:13]
	s_delay_alu instid0(VALU_DEP_1) | instskip(NEXT) | instid1(VALU_DEP_1)
	v_dual_mov_b32 v7, v12 :: v_dual_mov_b32 v11, v14
	v_pk_add_f32 v[16:17], v[10:11], v[8:9] neg_lo:[0,1] neg_hi:[0,1]
	s_delay_alu instid0(VALU_DEP_1) | instskip(NEXT) | instid1(VALU_DEP_2)
	v_sub_f32_e32 v4, v10, v16
	v_pk_add_f32 v[6:7], v[6:7], v[16:17] neg_lo:[0,1] neg_hi:[0,1]
	s_delay_alu instid0(VALU_DEP_2) | instskip(NEXT) | instid1(VALU_DEP_1)
	v_sub_f32_e32 v4, v8, v4
	v_add_f32_e32 v4, v6, v4
	s_delay_alu instid0(VALU_DEP_1) | instskip(NEXT) | instid1(VALU_DEP_1)
	v_add_f32_e32 v4, v4, v7
	v_add_f32_e32 v6, v14, v4
	s_delay_alu instid0(VALU_DEP_1) | instskip(NEXT) | instid1(VALU_DEP_1)
	v_sub_f32_e32 v7, v6, v14
	v_dual_sub_f32 v4, v4, v7 :: v_dual_mul_f32 v8, v5, v6
	s_delay_alu instid0(VALU_DEP_1) | instskip(SKIP_1) | instid1(VALU_DEP_2)
	v_fma_f32 v6, v5, v6, -v8
	v_cmp_class_f32_e64 vcc_lo, v8, 0x204
	v_fmac_f32_e32 v6, v5, v4
	s_delay_alu instid0(VALU_DEP_1) | instskip(NEXT) | instid1(VALU_DEP_1)
	v_add_f32_e32 v4, v8, v6
	v_cndmask_b32_e32 v7, v4, v8, vcc_lo
	s_delay_alu instid0(VALU_DEP_1) | instskip(SKIP_1) | instid1(VALU_DEP_1)
	v_cmp_eq_f32_e32 vcc_lo, 0x42b17218, v7
	v_cndmask_b32_e64 v9, 0, 0x37000000, vcc_lo
	v_sub_f32_e32 v10, v7, v9
	s_delay_alu instid0(VALU_DEP_1) | instskip(NEXT) | instid1(VALU_DEP_1)
	v_mul_f32_e32 v11, 0x3fb8aa3b, v10
	v_fma_f32 v12, 0x3fb8aa3b, v10, -v11
	v_rndne_f32_e32 v13, v11
	s_delay_alu instid0(VALU_DEP_1) | instskip(SKIP_3) | instid1(VALU_DEP_4)
	v_dual_fmamk_f32 v12, v10, 0x32a5705f, v12 :: v_dual_sub_f32 v11, v11, v13
	v_sub_f32_e32 v4, v4, v8
	v_cmp_neq_f32_e64 vcc_lo, 0x7f800000, |v7|
	v_trunc_f32_e32 v7, v5
	v_add_f32_e32 v11, v11, v12
	s_delay_alu instid0(VALU_DEP_4) | instskip(NEXT) | instid1(VALU_DEP_2)
	v_sub_f32_e32 v4, v6, v4
	v_exp_f32_e32 v8, v11
	v_nop
	v_cvt_i32_f32_e32 v11, v13
	s_delay_alu instid0(VALU_DEP_3)
	v_cndmask_b32_e32 v4, 0, v4, vcc_lo
	v_cmp_ngt_f32_e32 vcc_lo, 0xc2ce8ed0, v10
	s_delay_alu instid0(TRANS32_DEP_1) | instid1(VALU_DEP_3)
	v_ldexp_f32 v6, v8, v11
	s_delay_alu instid0(VALU_DEP_1) | instskip(NEXT) | instid1(VALU_DEP_1)
	v_dual_mul_f32 v8, 0.5, v5 :: v_dual_cndmask_b32 v6, 0, v6, vcc_lo
	v_trunc_f32_e32 v11, v8
	v_cmp_nlt_f32_e32 vcc_lo, 0x42b17218, v10
	s_delay_alu instid0(VALU_DEP_2) | instskip(NEXT) | instid1(VALU_DEP_4)
	v_cmp_neq_f32_e64 s2, v11, v8
	v_cndmask_b32_e32 v6, 0x7f800000, v6, vcc_lo
	v_cmp_eq_f32_e32 vcc_lo, v7, v5
	s_delay_alu instid0(VALU_DEP_2) | instskip(SKIP_1) | instid1(SALU_CYCLE_1)
	v_cmp_class_f32_e64 s3, v6, 0x204
	s_and_b32 s2, vcc_lo, s2
	v_dual_add_f32 v4, v9, v4 :: v_dual_cndmask_b32 v9, 0, v3, s2
	s_delay_alu instid0(VALU_DEP_1) | instskip(NEXT) | instid1(VALU_DEP_1)
	v_dual_cndmask_b32 v7, 1.0, v3, s2 :: v_dual_fma_f32 v4, v6, v4, v6
	v_cndmask_b32_e64 v4, v4, v6, s3
	v_cndmask_b32_e64 v6, 0x7f800000, 0, s5
	v_cmp_gt_f32_e64 s3, 0, v5
	s_delay_alu instid0(VALU_DEP_3) | instskip(SKIP_1) | instid1(SALU_CYCLE_1)
	v_bfi_b32 v4, 0x7fffffff, v4, v7
	s_xor_b32 s3, s3, s4
	v_cndmask_b32_e64 v7, 0x7f800000, 0, s3
	s_delay_alu instid0(VALU_DEP_2) | instskip(SKIP_1) | instid1(VALU_DEP_3)
	v_cndmask_b32_e32 v8, 0x7fc00000, v4, vcc_lo
	v_cmp_neq_f32_e64 vcc_lo, |v3|, 1.0
	v_bfi_b32 v7, 0x7fffffff, v7, v9
	v_cndmask_b32_e32 v6, 1.0, v6, vcc_lo
	v_cmp_gt_f32_e32 vcc_lo, 0, v3
	v_cndmask_b32_e32 v4, v4, v8, vcc_lo
	v_cmp_class_f32_e64 vcc_lo, v5, 0x204
	s_wait_loadcnt 0x0
	v_cvt_f32_i32_e32 v5, v22
	s_delay_alu instid0(VALU_DEP_3) | instskip(SKIP_2) | instid1(VALU_DEP_1)
	v_cndmask_b32_e32 v4, v4, v6, vcc_lo
	s_or_b32 vcc_lo, s4, s0
	s_cmp_eq_f32 s9, 0
	v_cndmask_b32_e32 v4, v4, v7, vcc_lo
	v_cmp_o_f32_e32 vcc_lo, v3, v3
	s_delay_alu instid0(VALU_DEP_2) | instskip(NEXT) | instid1(VALU_DEP_1)
	v_cndmask_b32_e32 v3, 0x7fc00000, v4, vcc_lo
	v_mul_f32_e32 v4, v3, v5
	s_delay_alu instid0(VALU_DEP_1)
	v_mul_f32_e32 v5, s8, v4
	s_cbranch_scc1 .LBB24_9
; %bb.8:
	v_cvt_f32_i32_e32 v1, v1
	s_sub_f32 s0, s6, s11
	v_div_scale_f32 v6, null, s8, s8, 1.0
	s_delay_alu instid0(SALU_CYCLE_2) | instskip(SKIP_4) | instid1(VALU_DEP_3)
	s_max_num_f32 s1, s0, 0x3a83126f
	v_subrev_f32_e32 v1, s11, v1
	v_rcp_f32_e32 v8, v6
	v_nop
	v_xor_b32_e32 v6, 0x80000000, v6
	v_div_scale_f32 v3, null, s1, s1, v1
	s_delay_alu instid0(TRANS32_DEP_1) | instid1(VALU_DEP_2)
	v_fma_f32 v10, v6, v8, 1.0
	s_delay_alu instid0(VALU_DEP_2) | instskip(SKIP_1) | instid1(TRANS32_DEP_1)
	v_rcp_f32_e32 v7, v3
	v_nop
	v_fma_f32 v9, -v3, v7, 1.0
	s_delay_alu instid0(VALU_DEP_1) | instskip(SKIP_2) | instid1(VALU_DEP_2)
	v_fmac_f32_e32 v7, v9, v7
	v_div_scale_f32 v11, vcc_lo, v1, s1, v1
	v_div_scale_f32 v9, s0, 1.0, s8, 1.0
	v_dual_fmac_f32 v8, v10, v8 :: v_dual_mul_f32 v10, v11, v7
	s_delay_alu instid0(VALU_DEP_1) | instskip(NEXT) | instid1(VALU_DEP_1)
	v_dual_mul_f32 v12, v9, v8 :: v_dual_fma_f32 v13, -v3, v10, v11
	v_dual_fma_f32 v14, v6, v12, v9 :: v_dual_fmac_f32 v10, v13, v7
	s_delay_alu instid0(VALU_DEP_1) | instskip(NEXT) | instid1(VALU_DEP_1)
	v_dual_fmac_f32 v12, v14, v8 :: v_dual_fma_f32 v3, -v3, v10, v11
	v_fmac_f32_e32 v9, v6, v12
	s_delay_alu instid0(VALU_DEP_2) | instskip(SKIP_1) | instid1(VALU_DEP_2)
	v_div_fmas_f32 v3, v3, v7, v10
	s_mov_b32 vcc_lo, s0
	v_div_fmas_f32 v6, v9, v8, v12
	s_delay_alu instid0(VALU_DEP_2) | instskip(NEXT) | instid1(VALU_DEP_2)
	v_div_fixup_f32 v1, v3, s1, v1 clamp
	v_div_fixup_f32 v6, v6, s8, 1.0
	s_delay_alu instid0(VALU_DEP_1) | instskip(SKIP_2) | instid1(SALU_CYCLE_1)
	v_readfirstlane_b32 s0, v6
	s_cmp_lt_f32 s0, 0x800000
	s_cselect_b32 s0, 0x4f800000, 1.0
	v_mul_f32_e32 v6, s0, v6
	s_cselect_b32 s0, 0x41b17218, 0
	s_delay_alu instid0(VALU_DEP_1) | instskip(SKIP_1) | instid1(TRANS32_DEP_1)
	v_log_f32_e32 v6, v6
	v_nop
	v_and_b32_e32 v3, 0x7fffffff, v6
	s_delay_alu instid0(VALU_DEP_1) | instskip(SKIP_2) | instid1(VALU_DEP_1)
	v_cmp_gt_f32_e32 vcc_lo, 0x7f800000, v3
	v_sub_f32_e32 v1, 1.0, v1
	v_mul_f32_e32 v7, 0x3f317217, v6
	v_xor_b32_e32 v7, 0x80000000, v7
	s_delay_alu instid0(VALU_DEP_1) | instskip(NEXT) | instid1(VALU_DEP_1)
	v_fmac_f32_e32 v7, 0x3f317217, v6
	v_fmamk_f32 v7, v6, 0x3377d1cf, v7
	s_delay_alu instid0(VALU_DEP_1) | instskip(NEXT) | instid1(VALU_DEP_1)
	v_fmac_f32_e32 v7, 0x3f317217, v6
	v_dual_cndmask_b32 v3, v6, v7 :: v_dual_mul_f32 v6, s9, v1
	v_fma_f32 v7, -s9, v1, 1.0
	s_delay_alu instid0(VALU_DEP_2) | instskip(NEXT) | instid1(VALU_DEP_2)
	v_dual_mov_b32 v1, 1.0 :: v_dual_subrev_f32 v3, s0, v3
	v_pk_mul_f32 v[4:5], v[6:7], v[4:5]
	s_delay_alu instid0(VALU_DEP_2) | instskip(NEXT) | instid1(VALU_DEP_2)
	v_fmamk_f32 v1, v3, 0x3dcccccd, v1
	v_add_f32_e32 v5, v4, v5
	s_delay_alu instid0(VALU_DEP_2)
	v_mul_f32_e32 v6, s10, v1
	s_branch .LBB24_10
.LBB24_9:
	v_mov_b32_e32 v6, s10
.LBB24_10:
	s_delay_alu instid0(VALU_DEP_2) | instskip(SKIP_1) | instid1(VALU_DEP_2)
	v_and_b32_e32 v1, 0x7fffffff, v5
	v_cmp_ngt_f32_e64 s2, 0x48000000, |v5|
                                        ; implicit-def: $vgpr7
                                        ; implicit-def: $vgpr4
	v_lshrrev_b32_e32 v3, 23, v1
	s_and_saveexec_b32 s0, s2
	s_delay_alu instid0(SALU_CYCLE_1)
	s_xor_b32 s3, exec_lo, s0
	s_cbranch_execz .LBB24_12
; %bb.11:
	s_mov_b32 s0, 0x7fffff
	v_mov_b32_e32 v9, 0
	v_and_or_b32 v8, v1, s0, 0x800000
	s_mov_b64 s[0:1], 0xfe5163ab
	s_delay_alu instid0(VALU_DEP_1) | instid1(SALU_CYCLE_1)
	v_mul_u64_e32 v[10:11], s[0:1], v[8:9]
	s_delay_alu instid0(VALU_DEP_1) | instskip(SKIP_2) | instid1(VALU_DEP_3)
	v_dual_mov_b32 v12, v11 :: v_dual_mov_b32 v13, v9
	v_dual_mov_b32 v15, v9 :: v_dual_mov_b32 v17, v9
	;; [unrolled: 1-line block ×3, first 2 shown]
	v_mad_nc_u64_u32 v[12:13], 0x3c439041, v8, v[12:13]
	s_delay_alu instid0(VALU_DEP_1) | instskip(NEXT) | instid1(VALU_DEP_1)
	v_dual_mov_b32 v23, v9 :: v_dual_mov_b32 v14, v13
	v_mad_nc_u64_u32 v[14:15], 0xdb629599, v8, v[14:15]
	s_delay_alu instid0(VALU_DEP_1) | instskip(NEXT) | instid1(VALU_DEP_1)
	v_mov_b32_e32 v16, v15
	v_mad_nc_u64_u32 v[16:17], 0xf534ddc0, v8, v[16:17]
	s_delay_alu instid0(VALU_DEP_1) | instskip(NEXT) | instid1(VALU_DEP_1)
	v_mov_b32_e32 v18, v17
	;; [unrolled: 3-line block ×3, first 2 shown]
	v_mad_nc_u64_u32 v[20:21], 0x4e441529, v8, v[20:21]
	v_add_nc_u32_e32 v4, 0xffffff88, v3
	s_delay_alu instid0(VALU_DEP_1) | instskip(SKIP_1) | instid1(VALU_DEP_4)
	v_cmp_lt_u32_e32 vcc_lo, 63, v4
	v_cndmask_b32_e64 v7, 0, 0xffffffc0, vcc_lo
	v_dual_cndmask_b32 v11, v20, v16 :: v_dual_mov_b32 v22, v21
	s_delay_alu instid0(VALU_DEP_2) | instskip(NEXT) | instid1(VALU_DEP_2)
	v_dual_cndmask_b32 v13, v18, v14 :: v_dual_add_nc_u32 v4, v7, v4
	v_mad_nc_u64_u32 v[8:9], 0xa2f9836e, v8, v[22:23]
	s_delay_alu instid0(VALU_DEP_2) | instskip(NEXT) | instid1(VALU_DEP_1)
	v_cmp_lt_u32_e64 s0, 31, v4
	v_cndmask_b32_e64 v7, 0, 0xffffffe0, s0
	s_delay_alu instid0(VALU_DEP_3) | instskip(NEXT) | instid1(VALU_DEP_2)
	v_dual_cndmask_b32 v8, v8, v18 :: v_dual_cndmask_b32 v9, v9, v20
	v_add_nc_u32_e32 v4, v7, v4
	s_delay_alu instid0(VALU_DEP_1) | instskip(NEXT) | instid1(VALU_DEP_1)
	v_cmp_lt_u32_e64 s1, 31, v4
	v_cndmask_b32_e64 v7, 0, 0xffffffe0, s1
	s_delay_alu instid0(VALU_DEP_1) | instskip(SKIP_2) | instid1(VALU_DEP_3)
	v_add_nc_u32_e32 v4, v7, v4
	v_cndmask_b32_e32 v7, v16, v12, vcc_lo
	v_dual_cndmask_b32 v12, v8, v11, s0 :: v_dual_cndmask_b32 v8, v9, v8, s0
	v_dual_cndmask_b32 v9, v11, v13, s0 :: v_dual_sub_nc_u32 v11, 32, v4
	s_delay_alu instid0(VALU_DEP_2) | instskip(NEXT) | instid1(VALU_DEP_2)
	v_dual_cndmask_b32 v13, v13, v7, s0 :: v_dual_cndmask_b32 v8, v8, v12, s1
	v_cndmask_b32_e64 v12, v12, v9, s1
	s_delay_alu instid0(VALU_DEP_2) | instskip(NEXT) | instid1(VALU_DEP_2)
	v_cndmask_b32_e64 v9, v9, v13, s1
	v_alignbit_b32 v15, v8, v12, v11
	v_cndmask_b32_e32 v10, v14, v10, vcc_lo
	v_cmp_eq_u32_e32 vcc_lo, 0, v4
	s_delay_alu instid0(VALU_DEP_4) | instskip(NEXT) | instid1(VALU_DEP_4)
	v_alignbit_b32 v14, v12, v9, v11
	v_cndmask_b32_e32 v4, v15, v8, vcc_lo
	s_delay_alu instid0(VALU_DEP_2) | instskip(NEXT) | instid1(VALU_DEP_2)
	v_dual_cndmask_b32 v7, v7, v10, s0 :: v_dual_cndmask_b32 v8, v14, v12, vcc_lo
	v_bfe_u32 v10, v4, 29, 1
	s_delay_alu instid0(VALU_DEP_2) | instskip(NEXT) | instid1(VALU_DEP_3)
	v_cndmask_b32_e64 v7, v13, v7, s1
	v_alignbit_b32 v12, v4, v8, 30
	s_delay_alu instid0(VALU_DEP_3) | instskip(NEXT) | instid1(VALU_DEP_3)
	v_sub_nc_u32_e32 v13, 0, v10
	v_alignbit_b32 v11, v9, v7, v11
	s_delay_alu instid0(VALU_DEP_2) | instskip(NEXT) | instid1(VALU_DEP_2)
	v_xor_b32_e32 v12, v12, v13
	v_cndmask_b32_e32 v9, v11, v9, vcc_lo
	s_delay_alu instid0(VALU_DEP_2) | instskip(NEXT) | instid1(VALU_DEP_2)
	v_clz_i32_u32_e32 v11, v12
	v_alignbit_b32 v8, v8, v9, 30
	v_alignbit_b32 v7, v9, v7, 30
	s_delay_alu instid0(VALU_DEP_3) | instskip(NEXT) | instid1(VALU_DEP_3)
	v_min_u32_e32 v11, 32, v11
	v_xor_b32_e32 v8, v8, v13
	s_delay_alu instid0(VALU_DEP_3) | instskip(NEXT) | instid1(VALU_DEP_3)
	v_dual_lshrrev_b32 v13, 29, v4 :: v_dual_bitop2_b32 v7, v7, v13 bitop3:0x14
	v_dual_sub_nc_u32 v9, 31, v11 :: v_dual_lshlrev_b32 v14, 23, v11
	s_delay_alu instid0(VALU_DEP_1) | instskip(NEXT) | instid1(VALU_DEP_3)
	v_alignbit_b32 v12, v12, v8, v9
	v_alignbit_b32 v7, v8, v7, v9
	s_delay_alu instid0(VALU_DEP_4) | instskip(NEXT) | instid1(VALU_DEP_2)
	v_lshlrev_b32_e32 v8, 31, v13
	v_alignbit_b32 v9, v12, v7, 9
	s_delay_alu instid0(VALU_DEP_2) | instskip(SKIP_2) | instid1(VALU_DEP_4)
	v_or_b32_e32 v13, 0.5, v8
	v_lshrrev_b32_e32 v12, 9, v12
	v_or_b32_e32 v8, 0x33000000, v8
	v_clz_i32_u32_e32 v15, v9
	s_delay_alu instid0(VALU_DEP_4) | instskip(NEXT) | instid1(VALU_DEP_2)
	v_sub_nc_u32_e32 v13, v13, v14
	v_min_u32_e32 v14, 32, v15
	s_delay_alu instid0(VALU_DEP_2) | instskip(NEXT) | instid1(VALU_DEP_2)
	v_or_b32_e32 v12, v12, v13
	v_not_b32_e32 v13, v14
	v_add_lshl_u32 v11, v14, v11, 23
	s_delay_alu instid0(VALU_DEP_2) | instskip(NEXT) | instid1(VALU_DEP_2)
	v_alignbit_b32 v7, v9, v7, v13
	v_sub_nc_u32_e32 v8, v8, v11
	s_delay_alu instid0(VALU_DEP_2) | instskip(SKIP_1) | instid1(VALU_DEP_2)
	v_lshrrev_b32_e32 v7, 9, v7
	v_mul_f32_e32 v15, 0x3fc90fda, v12
	v_or_b32_e32 v7, v8, v7
	s_delay_alu instid0(VALU_DEP_2) | instskip(NEXT) | instid1(VALU_DEP_1)
	v_fma_f32 v9, 0x3fc90fda, v12, -v15
	v_fmamk_f32 v9, v12, 0x33a22168, v9
	s_delay_alu instid0(VALU_DEP_1) | instskip(NEXT) | instid1(VALU_DEP_1)
	v_fmac_f32_e32 v9, 0x3fc90fda, v7
	v_dual_add_f32 v4, v15, v9 :: v_dual_lshrrev_b32 v7, 30, v4
	s_delay_alu instid0(VALU_DEP_1)
	v_add_nc_u32_e32 v7, v10, v7
	s_or_saveexec_b32 s0, s3
	v_mul_f32_e64 v10, 0x3f22f983, |v5|
	s_xor_b32 exec_lo, exec_lo, s0
	s_branch .LBB24_13
.LBB24_12:
	s_or_saveexec_b32 s0, s3
	v_mul_f32_e64 v10, 0x3f22f983, |v5|
	s_xor_b32 exec_lo, exec_lo, s0
.LBB24_13:
	s_delay_alu instid0(VALU_DEP_1) | instskip(NEXT) | instid1(VALU_DEP_1)
	v_rndne_f32_e32 v7, v10
	v_fma_f32 v4, 0xbfc90fda, v7, |v5|
	s_delay_alu instid0(VALU_DEP_1) | instskip(NEXT) | instid1(VALU_DEP_1)
	v_fmamk_f32 v4, v7, 0xb3a22168, v4
	v_fmamk_f32 v4, v7, 0xa7c234c4, v4
	v_cvt_i32_f32_e32 v7, v7
; %bb.14:
	s_or_b32 exec_lo, exec_lo, s0
                                        ; implicit-def: $vgpr9
                                        ; implicit-def: $vgpr8
	s_and_saveexec_b32 s0, s2
	s_delay_alu instid0(SALU_CYCLE_1)
	s_xor_b32 s2, exec_lo, s0
	s_cbranch_execz .LBB24_16
; %bb.15:
	s_mov_b32 s0, 0x7fffff
	v_mov_b32_e32 v9, 0
	v_and_or_b32 v8, v1, s0, 0x800000
	s_mov_b64 s[0:1], 0xfe5163ab
	v_add_nc_u32_e32 v3, 0xffffff88, v3
	s_delay_alu instid0(VALU_DEP_2) | instskip(NEXT) | instid1(VALU_DEP_2)
	v_mul_u64_e32 v[10:11], s[0:1], v[8:9]
	v_cmp_lt_u32_e32 vcc_lo, 63, v3
	s_delay_alu instid0(VALU_DEP_2) | instskip(SKIP_2) | instid1(VALU_DEP_3)
	v_dual_mov_b32 v12, v11 :: v_dual_mov_b32 v13, v9
	v_dual_mov_b32 v15, v9 :: v_dual_mov_b32 v17, v9
	v_dual_mov_b32 v19, v9 :: v_dual_mov_b32 v21, v9
	v_mad_nc_u64_u32 v[12:13], 0x3c439041, v8, v[12:13]
	v_cndmask_b32_e64 v11, 0, 0xffffffc0, vcc_lo
	s_delay_alu instid0(VALU_DEP_1) | instskip(NEXT) | instid1(VALU_DEP_3)
	v_dual_mov_b32 v23, v9 :: v_dual_add_nc_u32 v3, v11, v3
	v_mov_b32_e32 v14, v13
	s_delay_alu instid0(VALU_DEP_2) | instskip(NEXT) | instid1(VALU_DEP_2)
	v_cmp_lt_u32_e64 s0, 31, v3
	v_mad_nc_u64_u32 v[14:15], 0xdb629599, v8, v[14:15]
	s_delay_alu instid0(VALU_DEP_2) | instskip(NEXT) | instid1(VALU_DEP_1)
	v_cndmask_b32_e64 v11, 0, 0xffffffe0, s0
	v_add_nc_u32_e32 v3, v11, v3
	s_delay_alu instid0(VALU_DEP_3) | instskip(NEXT) | instid1(VALU_DEP_2)
	v_mov_b32_e32 v16, v15
	v_cmp_lt_u32_e64 s1, 31, v3
	v_cndmask_b32_e32 v10, v14, v10, vcc_lo
	s_delay_alu instid0(VALU_DEP_3) | instskip(NEXT) | instid1(VALU_DEP_3)
	v_mad_nc_u64_u32 v[16:17], 0xf534ddc0, v8, v[16:17]
	v_cndmask_b32_e64 v11, 0, 0xffffffe0, s1
	s_delay_alu instid0(VALU_DEP_1) | instskip(NEXT) | instid1(VALU_DEP_3)
	v_dual_add_nc_u32 v3, v11, v3 :: v_dual_cndmask_b32 v11, v16, v12, vcc_lo
	v_mov_b32_e32 v18, v17
	s_delay_alu instid0(VALU_DEP_1) | instskip(NEXT) | instid1(VALU_DEP_1)
	v_mad_nc_u64_u32 v[18:19], 0xfc2757d1, v8, v[18:19]
	v_dual_mov_b32 v20, v19 :: v_dual_cndmask_b32 v15, v18, v14
	s_delay_alu instid0(VALU_DEP_1) | instskip(NEXT) | instid1(VALU_DEP_1)
	v_mad_nc_u64_u32 v[20:21], 0x4e441529, v8, v[20:21]
	v_dual_mov_b32 v22, v21 :: v_dual_cndmask_b32 v13, v20, v16
	s_delay_alu instid0(VALU_DEP_1) | instskip(NEXT) | instid1(VALU_DEP_1)
	v_mad_nc_u64_u32 v[8:9], 0xa2f9836e, v8, v[22:23]
	v_dual_cndmask_b32 v8, v8, v18 :: v_dual_cndmask_b32 v9, v9, v20
	v_cmp_eq_u32_e32 vcc_lo, 0, v3
	s_delay_alu instid0(VALU_DEP_2) | instskip(SKIP_2) | instid1(VALU_DEP_3)
	v_dual_cndmask_b32 v12, v8, v13, s0 :: v_dual_cndmask_b32 v8, v9, v8, s0
	v_cndmask_b32_e64 v9, v13, v15, s0
	v_sub_nc_u32_e32 v13, 32, v3
	v_dual_cndmask_b32 v15, v15, v11, s0 :: v_dual_cndmask_b32 v8, v8, v12, s1
	s_delay_alu instid0(VALU_DEP_3) | instskip(NEXT) | instid1(VALU_DEP_1)
	v_cndmask_b32_e64 v12, v12, v9, s1
	v_alignbit_b32 v16, v8, v12, v13
	s_delay_alu instid0(VALU_DEP_1) | instskip(NEXT) | instid1(VALU_DEP_1)
	v_dual_cndmask_b32 v9, v9, v15, s1 :: v_dual_cndmask_b32 v3, v16, v8, vcc_lo
	v_alignbit_b32 v14, v12, v9, v13
	v_cndmask_b32_e64 v8, v11, v10, s0
	s_delay_alu instid0(VALU_DEP_3) | instskip(NEXT) | instid1(VALU_DEP_3)
	v_bfe_u32 v11, v3, 29, 1
	v_cndmask_b32_e32 v10, v14, v12, vcc_lo
	s_delay_alu instid0(VALU_DEP_2) | instskip(NEXT) | instid1(VALU_DEP_2)
	v_dual_cndmask_b32 v8, v15, v8, s1 :: v_dual_sub_nc_u32 v14, 0, v11
	v_alignbit_b32 v12, v3, v10, 30
	s_delay_alu instid0(VALU_DEP_2) | instskip(NEXT) | instid1(VALU_DEP_1)
	v_alignbit_b32 v13, v9, v8, v13
	v_dual_cndmask_b32 v9, v13, v9, vcc_lo :: v_dual_bitop2_b32 v12, v12, v14 bitop3:0x14
	s_delay_alu instid0(VALU_DEP_1) | instskip(NEXT) | instid1(VALU_DEP_2)
	v_clz_i32_u32_e32 v13, v12
	v_alignbit_b32 v10, v10, v9, 30
	v_alignbit_b32 v8, v9, v8, 30
	s_delay_alu instid0(VALU_DEP_3) | instskip(NEXT) | instid1(VALU_DEP_3)
	v_min_u32_e32 v13, 32, v13
	v_xor_b32_e32 v9, v10, v14
	s_delay_alu instid0(VALU_DEP_3) | instskip(NEXT) | instid1(VALU_DEP_3)
	v_dual_lshrrev_b32 v14, 29, v3 :: v_dual_bitop2_b32 v8, v8, v14 bitop3:0x14
	v_dual_lshrrev_b32 v3, 30, v3 :: v_dual_sub_nc_u32 v10, 31, v13
	v_lshlrev_b32_e32 v15, 23, v13
	s_delay_alu instid0(VALU_DEP_2) | instskip(NEXT) | instid1(VALU_DEP_4)
	v_alignbit_b32 v12, v12, v9, v10
	v_alignbit_b32 v8, v9, v8, v10
	v_lshlrev_b32_e32 v9, 31, v14
	s_delay_alu instid0(VALU_DEP_2) | instskip(NEXT) | instid1(VALU_DEP_2)
	v_alignbit_b32 v10, v12, v8, 9
	v_dual_lshrrev_b32 v12, 9, v12 :: v_dual_bitop2_b32 v14, 0.5, v9 bitop3:0x54
	v_or_b32_e32 v9, 0x33000000, v9
	s_delay_alu instid0(VALU_DEP_3) | instskip(NEXT) | instid1(VALU_DEP_3)
	v_clz_i32_u32_e32 v16, v10
	v_sub_nc_u32_e32 v14, v14, v15
	s_delay_alu instid0(VALU_DEP_2) | instskip(NEXT) | instid1(VALU_DEP_1)
	v_min_u32_e32 v15, 32, v16
	v_add_lshl_u32 v13, v15, v13, 23
	s_delay_alu instid0(VALU_DEP_1) | instskip(SKIP_1) | instid1(VALU_DEP_1)
	v_dual_sub_nc_u32 v9, v9, v13 :: v_dual_bitop2_b32 v12, v12, v14 bitop3:0x54
	v_not_b32_e32 v14, v15
	v_alignbit_b32 v8, v10, v8, v14
	s_delay_alu instid0(VALU_DEP_1) | instskip(NEXT) | instid1(VALU_DEP_4)
	v_lshrrev_b32_e32 v8, 9, v8
	v_mul_f32_e32 v16, 0x3fc90fda, v12
	s_delay_alu instid0(VALU_DEP_2) | instskip(NEXT) | instid1(VALU_DEP_2)
	v_or_b32_e32 v8, v9, v8
	v_fma_f32 v10, 0x3fc90fda, v12, -v16
	s_delay_alu instid0(VALU_DEP_1) | instskip(NEXT) | instid1(VALU_DEP_1)
	v_dual_fmamk_f32 v10, v12, 0x33a22168, v10 :: v_dual_add_nc_u32 v9, v11, v3
	v_fmac_f32_e32 v10, 0x3fc90fda, v8
	s_delay_alu instid0(VALU_DEP_1)
	v_add_f32_e32 v8, v16, v10
                                        ; implicit-def: $vgpr10
	s_and_not1_saveexec_b32 s0, s2
	s_cbranch_execnz .LBB24_17
	s_branch .LBB24_18
.LBB24_16:
	s_and_not1_saveexec_b32 s0, s2
.LBB24_17:
	v_rndne_f32_e32 v3, v10
	s_delay_alu instid0(VALU_DEP_1) | instskip(SKIP_1) | instid1(VALU_DEP_2)
	v_fma_f32 v8, 0xbfc90fda, v3, |v5|
	v_cvt_i32_f32_e32 v9, v3
	v_fmamk_f32 v8, v3, 0xb3a22168, v8
	s_delay_alu instid0(VALU_DEP_1)
	v_fmamk_f32 v8, v3, 0xa7c234c4, v8
.LBB24_18:
	s_or_b32 exec_lo, exec_lo, s0
	v_ashrrev_i32_e32 v3, 31, v2
	s_lshr_b32 s0, s17, 31
	s_mov_b32 s2, 0xb94c1982
	s_add_co_i32 s0, s17, s0
	s_mov_b32 s3, 0x37d75334
	s_ashr_i32 s0, s0, 1
	v_lshl_add_u64 v[10:11], v[2:3], 1, s[12:13]
	s_ashr_i32 s1, s0, 31
	v_mul_f32_e32 v3, v8, v8
	s_lshl_b64 s[0:1], s[0:1], 1
	s_delay_alu instid0(VALU_DEP_2) | instid1(SALU_CYCLE_1)
	v_add_nc_u64_e32 v[10:11], s[0:1], v[10:11]
	s_clause 0x1
	global_load_u16 v12, v[10:11], off
	global_load_u16 v13, v2, s[12:13] scale_offset
	s_wait_xcnt 0x0
	v_dual_mul_f32 v2, v4, v4 :: v_dual_bitop2_b32 v10, 1, v7 bitop3:0x40
	v_fmaak_f32 v15, s2, v3, 0x3c0881c4
	v_lshlrev_b32_e32 v7, 30, v7
	v_fmaak_f32 v16, s3, v3, 0xbab64f3b
	s_delay_alu instid0(VALU_DEP_4) | instskip(SKIP_2) | instid1(VALU_DEP_1)
	v_fmaak_f32 v14, s3, v2, 0xbab64f3b
	v_cmp_eq_u32_e32 vcc_lo, 0, v10
	v_fmaak_f32 v15, v3, v15, 0xbe2aaa9d
	v_dual_fmaak_f32 v14, v2, v14, 0x3d2aabf7 :: v_dual_mul_f32 v15, v3, v15
	s_delay_alu instid0(VALU_DEP_1) | instskip(NEXT) | instid1(VALU_DEP_1)
	v_dual_fmaak_f32 v11, s2, v2, 0x3c0881c4 :: v_dual_fmac_f32 v8, v8, v15
	v_fmaak_f32 v11, v2, v11, 0xbe2aaa9d
	v_dual_lshlrev_b32 v9, 30, v9 :: v_dual_bitop2_b32 v17, 1, v9 bitop3:0x40
	s_delay_alu instid0(VALU_DEP_2) | instskip(SKIP_1) | instid1(VALU_DEP_3)
	v_dual_fmaak_f32 v16, v3, v16, 0x3d2aabf7 :: v_dual_mul_f32 v11, v2, v11
	v_xor_b32_e32 v1, v1, v5
	v_and_b32_e32 v9, 0x80000000, v9
	s_delay_alu instid0(VALU_DEP_3) | instskip(NEXT) | instid1(VALU_DEP_4)
	v_fmaak_f32 v16, v3, v16, 0xbf000004
	v_fmac_f32_e32 v4, v4, v11
	s_delay_alu instid0(VALU_DEP_2) | instskip(SKIP_1) | instid1(VALU_DEP_1)
	v_fma_f32 v3, v3, v16, 1.0
	v_fmaak_f32 v14, v2, v14, 0xbf000004
	v_fma_f32 v2, v2, v14, 1.0
	s_delay_alu instid0(VALU_DEP_1) | instskip(SKIP_1) | instid1(VALU_DEP_2)
	v_cndmask_b32_e64 v2, -v4, v2, vcc_lo
	v_cmp_eq_u32_e32 vcc_lo, 0, v17
	v_bitop3_b32 v2, v7, v2, 0x80000000 bitop3:0x6c
	v_cndmask_b32_e32 v3, v3, v8, vcc_lo
	v_cmp_class_f32_e64 vcc_lo, v5, 0x1f8
	s_delay_alu instid0(VALU_DEP_2)
	v_xor3_b32 v1, v1, v9, v3
	s_wait_loadcnt 0x1
	v_cvt_f32_f16_e32 v7, v12
	s_wait_loadcnt 0x0
	v_cvt_f32_f16_e32 v8, v13
	v_cndmask_b32_e32 v4, 0x7fc00000, v2, vcc_lo
	v_dual_cndmask_b32 v2, 0x7fc00000, v1 :: v_dual_ashrrev_i32 v1, 31, v0
	s_delay_alu instid0(VALU_DEP_1) | instskip(NEXT) | instid1(VALU_DEP_2)
	v_mul_f32_e64 v5, v2, -v6
	v_lshl_add_u64 v[2:3], v[0:1], 1, s[14:15]
	s_delay_alu instid0(VALU_DEP_2) | instskip(SKIP_1) | instid1(VALU_DEP_3)
	v_dual_mul_f32 v1, v6, v4 :: v_dual_mul_f32 v4, v5, v7
	v_mul_f32_e32 v5, v5, v8
	v_add_nc_u64_e32 v[2:3], s[0:1], v[2:3]
	s_delay_alu instid0(VALU_DEP_3) | instskip(NEXT) | instid1(VALU_DEP_3)
	v_fma_mixlo_f16 v4, v1, v13, -v4 op_sel_hi:[0,1,0]
	v_fma_mixlo_f16 v1, v1, v12, v5 op_sel_hi:[0,1,0]
	s_clause 0x1
	global_store_b16 v0, v4, s[14:15] scale_offset
	global_store_b16 v[2:3], v1, off
.LBB24_19:
	s_endpgm
	.section	.rodata,"a",@progbits
	.p2align	6, 0x0
	.amdhsa_kernel _ZL9rope_neoxILb0ELb0E6__halfS0_EvPKT1_PT2_iiiiiiiiiiPKifff14rope_corr_dimsfPKfPKli
		.amdhsa_group_segment_fixed_size 0
		.amdhsa_private_segment_fixed_size 0
		.amdhsa_kernarg_size 368
		.amdhsa_user_sgpr_count 2
		.amdhsa_user_sgpr_dispatch_ptr 0
		.amdhsa_user_sgpr_queue_ptr 0
		.amdhsa_user_sgpr_kernarg_segment_ptr 1
		.amdhsa_user_sgpr_dispatch_id 0
		.amdhsa_user_sgpr_kernarg_preload_length 0
		.amdhsa_user_sgpr_kernarg_preload_offset 0
		.amdhsa_user_sgpr_private_segment_size 0
		.amdhsa_wavefront_size32 1
		.amdhsa_uses_dynamic_stack 0
		.amdhsa_enable_private_segment 0
		.amdhsa_system_sgpr_workgroup_id_x 1
		.amdhsa_system_sgpr_workgroup_id_y 1
		.amdhsa_system_sgpr_workgroup_id_z 0
		.amdhsa_system_sgpr_workgroup_info 0
		.amdhsa_system_vgpr_workitem_id 1
		.amdhsa_next_free_vgpr 24
		.amdhsa_next_free_sgpr 18
		.amdhsa_named_barrier_count 0
		.amdhsa_reserve_vcc 1
		.amdhsa_float_round_mode_32 0
		.amdhsa_float_round_mode_16_64 0
		.amdhsa_float_denorm_mode_32 3
		.amdhsa_float_denorm_mode_16_64 3
		.amdhsa_fp16_overflow 0
		.amdhsa_memory_ordered 1
		.amdhsa_forward_progress 1
		.amdhsa_inst_pref_size 37
		.amdhsa_round_robin_scheduling 0
		.amdhsa_exception_fp_ieee_invalid_op 0
		.amdhsa_exception_fp_denorm_src 0
		.amdhsa_exception_fp_ieee_div_zero 0
		.amdhsa_exception_fp_ieee_overflow 0
		.amdhsa_exception_fp_ieee_underflow 0
		.amdhsa_exception_fp_ieee_inexact 0
		.amdhsa_exception_int_div_zero 0
	.end_amdhsa_kernel
	.section	.text._ZL9rope_neoxILb0ELb0E6__halfS0_EvPKT1_PT2_iiiiiiiiiiPKifff14rope_corr_dimsfPKfPKli,"axG",@progbits,_ZL9rope_neoxILb0ELb0E6__halfS0_EvPKT1_PT2_iiiiiiiiiiPKifff14rope_corr_dimsfPKfPKli,comdat
.Lfunc_end24:
	.size	_ZL9rope_neoxILb0ELb0E6__halfS0_EvPKT1_PT2_iiiiiiiiiiPKifff14rope_corr_dimsfPKfPKli, .Lfunc_end24-_ZL9rope_neoxILb0ELb0E6__halfS0_EvPKT1_PT2_iiiiiiiiiiPKifff14rope_corr_dimsfPKfPKli
                                        ; -- End function
	.set _ZL9rope_neoxILb0ELb0E6__halfS0_EvPKT1_PT2_iiiiiiiiiiPKifff14rope_corr_dimsfPKfPKli.num_vgpr, 24
	.set _ZL9rope_neoxILb0ELb0E6__halfS0_EvPKT1_PT2_iiiiiiiiiiPKifff14rope_corr_dimsfPKfPKli.num_agpr, 0
	.set _ZL9rope_neoxILb0ELb0E6__halfS0_EvPKT1_PT2_iiiiiiiiiiPKifff14rope_corr_dimsfPKfPKli.numbered_sgpr, 18
	.set _ZL9rope_neoxILb0ELb0E6__halfS0_EvPKT1_PT2_iiiiiiiiiiPKifff14rope_corr_dimsfPKfPKli.num_named_barrier, 0
	.set _ZL9rope_neoxILb0ELb0E6__halfS0_EvPKT1_PT2_iiiiiiiiiiPKifff14rope_corr_dimsfPKfPKli.private_seg_size, 0
	.set _ZL9rope_neoxILb0ELb0E6__halfS0_EvPKT1_PT2_iiiiiiiiiiPKifff14rope_corr_dimsfPKfPKli.uses_vcc, 1
	.set _ZL9rope_neoxILb0ELb0E6__halfS0_EvPKT1_PT2_iiiiiiiiiiPKifff14rope_corr_dimsfPKfPKli.uses_flat_scratch, 0
	.set _ZL9rope_neoxILb0ELb0E6__halfS0_EvPKT1_PT2_iiiiiiiiiiPKifff14rope_corr_dimsfPKfPKli.has_dyn_sized_stack, 0
	.set _ZL9rope_neoxILb0ELb0E6__halfS0_EvPKT1_PT2_iiiiiiiiiiPKifff14rope_corr_dimsfPKfPKli.has_recursion, 0
	.set _ZL9rope_neoxILb0ELb0E6__halfS0_EvPKT1_PT2_iiiiiiiiiiPKifff14rope_corr_dimsfPKfPKli.has_indirect_call, 0
	.section	.AMDGPU.csdata,"",@progbits
; Kernel info:
; codeLenInByte = 4700
; TotalNumSgprs: 20
; NumVgprs: 24
; ScratchSize: 0
; MemoryBound: 0
; FloatMode: 240
; IeeeMode: 1
; LDSByteSize: 0 bytes/workgroup (compile time only)
; SGPRBlocks: 0
; VGPRBlocks: 1
; NumSGPRsForWavesPerEU: 20
; NumVGPRsForWavesPerEU: 24
; NamedBarCnt: 0
; Occupancy: 16
; WaveLimiterHint : 0
; COMPUTE_PGM_RSRC2:SCRATCH_EN: 0
; COMPUTE_PGM_RSRC2:USER_SGPR: 2
; COMPUTE_PGM_RSRC2:TRAP_HANDLER: 0
; COMPUTE_PGM_RSRC2:TGID_X_EN: 1
; COMPUTE_PGM_RSRC2:TGID_Y_EN: 1
; COMPUTE_PGM_RSRC2:TGID_Z_EN: 0
; COMPUTE_PGM_RSRC2:TIDIG_COMP_CNT: 1
	.section	.text._ZL9rope_neoxILb0ELb1E6__halfS0_EvPKT1_PT2_iiiiiiiiiiPKifff14rope_corr_dimsfPKfPKli,"axG",@progbits,_ZL9rope_neoxILb0ELb1E6__halfS0_EvPKT1_PT2_iiiiiiiiiiPKifff14rope_corr_dimsfPKfPKli,comdat
	.globl	_ZL9rope_neoxILb0ELb1E6__halfS0_EvPKT1_PT2_iiiiiiiiiiPKifff14rope_corr_dimsfPKfPKli ; -- Begin function _ZL9rope_neoxILb0ELb1E6__halfS0_EvPKT1_PT2_iiiiiiiiiiPKifff14rope_corr_dimsfPKfPKli
	.p2align	8
	.type	_ZL9rope_neoxILb0ELb1E6__halfS0_EvPKT1_PT2_iiiiiiiiiiPKifff14rope_corr_dimsfPKfPKli,@function
_ZL9rope_neoxILb0ELb1E6__halfS0_EvPKT1_PT2_iiiiiiiiiiPKifff14rope_corr_dimsfPKfPKli: ; @_ZL9rope_neoxILb0ELb1E6__halfS0_EvPKT1_PT2_iiiiiiiiiiPKifff14rope_corr_dimsfPKfPKli
; %bb.0:
	s_clause 0x1
	s_load_u16 s3, s[0:1], 0x7e
	s_load_b256 s[4:11], s[0:1], 0x10
	s_bfe_u32 s2, ttmp6, 0x40010
	s_bfe_u32 s13, ttmp6, 0x40004
	s_add_co_i32 s2, s2, 1
	v_bfe_u32 v1, v0, 10, 10
	s_mul_i32 s12, ttmp7, s2
	s_getreg_b32 s2, hwreg(HW_REG_IB_STS2, 6, 4)
	s_add_co_i32 s13, s13, s12
	s_cmp_eq_u32 s2, 0
	s_cselect_b32 s12, ttmp7, s13
	s_wait_kmcnt 0x0
	s_mul_i32 s12, s12, s3
	s_mov_b32 s3, exec_lo
	v_add_lshl_u32 v3, s12, v1, 1
	s_delay_alu instid0(VALU_DEP_1)
	v_cmpx_gt_i32_e64 s4, v3
	s_cbranch_execz .LBB25_19
; %bb.1:
	s_add_nc_u64 s[12:13], s[0:1], 0x70
	s_bfe_u32 s4, ttmp6, 0x4000c
	s_load_b32 s3, s[12:13], 0xc
	s_add_co_i32 s4, s4, 1
	s_wait_xcnt 0x0
	s_and_b32 s12, ttmp6, 15
	s_mul_i32 s4, ttmp9, s4
	v_and_b32_e32 v0, 0x3ff, v0
	s_add_co_i32 s12, s12, s4
	s_clause 0x1
	s_load_b64 s[20:21], s[0:1], 0x30
	s_load_b128 s[16:19], s[0:1], 0x58
	s_wait_kmcnt 0x0
	s_and_b32 s3, s3, 0xffff
	s_cmp_eq_u32 s2, 0
	s_mul_i32 s2, s6, s5
	s_cselect_b32 s4, ttmp9, s12
	s_abs_i32 s6, s2
	v_mad_u32 v2, s4, s3, v0
	s_cvt_f32_u32 s12, s6
	s_sub_co_i32 s4, 0, s6
	s_delay_alu instid0(SALU_CYCLE_2) | instskip(NEXT) | instid1(VALU_DEP_1)
	v_rcp_iflag_f32_e32 v1, s12
	v_sub_nc_u32_e32 v0, 0, v2
	s_delay_alu instid0(TRANS32_DEP_1) | instskip(NEXT) | instid1(VALU_DEP_2)
	v_readfirstlane_b32 s3, v1
	v_max_i32_e32 v0, v2, v0
	s_mul_f32 s3, s3, 0x4f7ffffe
	s_delay_alu instid0(SALU_CYCLE_3) | instskip(NEXT) | instid1(SALU_CYCLE_3)
	s_cvt_u32_f32 s3, s3
	s_mul_i32 s4, s4, s3
	s_delay_alu instid0(SALU_CYCLE_1) | instskip(NEXT) | instid1(SALU_CYCLE_1)
	s_mul_hi_u32 s4, s3, s4
	s_add_co_i32 s3, s3, s4
	s_delay_alu instid0(SALU_CYCLE_1) | instskip(SKIP_1) | instid1(VALU_DEP_1)
	v_mul_hi_u32 v1, v0, s3
	s_cvt_f32_u32 s3, s5
	v_mul_lo_u32 v4, v1, s6
	s_delay_alu instid0(VALU_DEP_1) | instskip(NEXT) | instid1(VALU_DEP_1)
	v_dual_sub_nc_u32 v0, v0, v4 :: v_dual_add_nc_u32 v4, 1, v1
	v_cmp_le_u32_e32 vcc_lo, s6, v0
	s_delay_alu instid0(VALU_DEP_2) | instskip(SKIP_1) | instid1(VALU_DEP_1)
	v_cndmask_b32_e32 v1, v1, v4, vcc_lo
	v_subrev_nc_u32_e32 v5, s6, v0
	v_dual_cndmask_b32 v0, v0, v5, vcc_lo :: v_dual_bitop2_b32 v4, s2, v2 bitop3:0x14
	s_delay_alu instid0(VALU_DEP_3) | instskip(NEXT) | instid1(VALU_DEP_2)
	v_add_nc_u32_e32 v5, 1, v1
	v_cmp_le_u32_e32 vcc_lo, s6, v0
	s_delay_alu instid0(VALU_DEP_2) | instskip(SKIP_1) | instid1(VALU_DEP_1)
	v_dual_ashrrev_i32 v4, 31, v4 :: v_dual_cndmask_b32 v0, v1, v5, vcc_lo
	v_rcp_iflag_f32_e32 v1, s3
	v_xor_b32_e32 v0, v0, v4
	s_delay_alu instid0(TRANS32_DEP_1) | instskip(NEXT) | instid1(VALU_DEP_2)
	v_readfirstlane_b32 s3, v1
	v_sub_nc_u32_e32 v0, v0, v4
	s_delay_alu instid0(VALU_DEP_1) | instskip(SKIP_2) | instid1(SALU_CYCLE_2)
	v_mul_lo_u32 v1, s2, v0
	s_mul_f32 s2, s3, 0x4f7ffffe
	s_sub_co_i32 s3, 0, s5
	s_cvt_u32_f32 s2, s2
	s_delay_alu instid0(SALU_CYCLE_3) | instskip(NEXT) | instid1(VALU_DEP_1)
	s_mul_i32 s3, s3, s2
	v_sub_nc_u32_e32 v2, v2, v1
	s_mul_hi_u32 s3, s2, s3
	s_delay_alu instid0(SALU_CYCLE_1)
	s_add_co_i32 s2, s2, s3
	s_delay_alu instid0(VALU_DEP_1) | instid1(SALU_CYCLE_1)
	v_mul_hi_u32 v1, v2, s2
	s_load_b32 s2, s[0:1], 0x68
	s_delay_alu instid0(VALU_DEP_1) | instskip(SKIP_2) | instid1(VALU_DEP_1)
	v_mul_lo_u32 v4, v1, s5
	s_wait_kmcnt 0x0
	s_cmp_eq_u32 s2, 0
	v_sub_nc_u32_e32 v4, v2, v4
	s_delay_alu instid0(VALU_DEP_1) | instskip(SKIP_1) | instid1(VALU_DEP_2)
	v_subrev_nc_u32_e32 v6, s5, v4
	v_cmp_le_u32_e32 vcc_lo, s5, v4
	v_dual_cndmask_b32 v4, v4, v6 :: v_dual_add_nc_u32 v5, 1, v1
	s_delay_alu instid0(VALU_DEP_1) | instskip(NEXT) | instid1(VALU_DEP_2)
	v_cndmask_b32_e32 v1, v1, v5, vcc_lo
	v_cmp_le_u32_e32 vcc_lo, s5, v4
	s_delay_alu instid0(VALU_DEP_2) | instskip(NEXT) | instid1(VALU_DEP_1)
	v_add_nc_u32_e32 v5, 1, v1
	v_cndmask_b32_e32 v8, v1, v5, vcc_lo
	s_cbranch_scc1 .LBB25_3
; %bb.2:
	v_mov_b32_e32 v9, 0
	s_delay_alu instid0(VALU_DEP_1)
	v_lshl_add_u64 v[4:5], v[8:9], 3, s[18:19]
	global_load_b32 v1, v[4:5], off
	s_wait_loadcnt 0x0
	v_mul_lo_u32 v4, s2, v1
	s_branch .LBB25_4
.LBB25_3:
	v_mul_lo_u32 v1, v0, s20
	s_delay_alu instid0(VALU_DEP_1)
	v_mad_u32 v4, v8, s11, v1
.LBB25_4:
	v_mul_lo_u32 v5, v8, s5
	v_ashrrev_i32_e32 v1, 1, v3
	s_load_b128 s[12:15], s[0:1], 0x0
	s_mov_b32 s2, exec_lo
	s_delay_alu instid0(VALU_DEP_2) | instskip(NEXT) | instid1(VALU_DEP_2)
	v_sub_nc_u32_e32 v2, v2, v5
	v_mad_u32 v0, v0, s9, v1
	s_delay_alu instid0(VALU_DEP_2) | instskip(NEXT) | instid1(VALU_DEP_2)
	v_mul_lo_u32 v5, v2, s10
	v_mad_u32 v0, v8, s8, v0
	s_delay_alu instid0(VALU_DEP_1) | instskip(NEXT) | instid1(VALU_DEP_3)
	v_mad_u32 v2, v2, s7, v0
	v_add3_u32 v0, v5, v1, v4
	v_cmpx_le_i32_e64 s21, v3
	s_xor_b32 s2, exec_lo, s2
	s_cbranch_execz .LBB25_6
; %bb.5:
	s_delay_alu instid0(VALU_DEP_2)
	v_dual_add_nc_u32 v2, v2, v1 :: v_dual_add_nc_u32 v0, v0, v1
                                        ; implicit-def: $vgpr8
	s_wait_kmcnt 0x0
	global_load_u16 v3, v2, s[12:13] scale_offset
	s_wait_loadcnt 0x0
	global_store_b16 v0, v3, s[14:15] scale_offset
	global_load_u16 v1, v2, s[12:13] offset:2 scale_offset
                                        ; implicit-def: $vgpr2
                                        ; implicit-def: $vgpr3
	s_wait_loadcnt 0x0
	global_store_b16 v0, v1, s[14:15] offset:2 scale_offset
                                        ; implicit-def: $vgpr0
                                        ; implicit-def: $vgpr1
.LBB25_6:
	s_wait_xcnt 0x0
	s_and_not1_saveexec_b32 s2, s2
	s_cbranch_execz .LBB25_19
; %bb.7:
	s_clause 0x1
	s_load_b64 s[8:9], s[0:1], 0x50
	s_load_b64 s[2:3], s[0:1], 0x38
	v_cvt_f32_i32_e32 v3, v3
	s_mov_b32 s4, 0x3e76c4e1
	global_load_b32 v22, v1, s[16:17] scale_offset
	v_mul_f32_e32 v3, 0.5, v3
	s_wait_kmcnt 0x0
	s_cmp_neq_f32 s9, 1.0
	global_load_b32 v8, v8, s[2:3] scale_offset
	s_cselect_b32 vcc_lo, -1, 0
	v_cndmask_b32_e32 v9, 1.0, v3, vcc_lo
	s_delay_alu instid0(VALU_DEP_1) | instskip(SKIP_1) | instid1(VALU_DEP_1)
	v_cmp_neq_f32_e32 vcc_lo, 0, v9
	v_cndmask_b32_e64 v3, 1.0, s9, vcc_lo
	v_frexp_mant_f32_e64 v4, |v3|
	v_cmp_lt_f32_e64 s6, |v3|, 1.0
	s_delay_alu instid0(VALU_DEP_2) | instskip(SKIP_1) | instid1(VALU_DEP_1)
	v_cmp_gt_f32_e32 vcc_lo, 0x3f2aaaab, v4
	v_cndmask_b32_e64 v5, 1.0, 2.0, vcc_lo
	v_mul_f32_e32 v4, v4, v5
	s_delay_alu instid0(VALU_DEP_1) | instskip(SKIP_1) | instid1(VALU_DEP_2)
	v_dual_add_f32 v7, 1.0, v4 :: v_dual_add_f32 v5, -1.0, v4
	v_cmp_neq_f32_e64 s5, v9, |v9|
	v_rcp_f32_e32 v12, v7
	v_add_f32_e32 v10, -1.0, v7
	s_xor_b32 s5, s5, s6
	s_delay_alu instid0(TRANS32_DEP_1) | instid1(VALU_DEP_1)
	v_dual_sub_f32 v4, v4, v10 :: v_dual_mul_f32 v13, v5, v12
	s_delay_alu instid0(VALU_DEP_1) | instskip(NEXT) | instid1(VALU_DEP_1)
	v_mul_f32_e32 v6, v7, v13
	v_fma_f32 v10, v13, v7, -v6
	s_delay_alu instid0(VALU_DEP_1) | instskip(NEXT) | instid1(VALU_DEP_1)
	v_fmac_f32_e32 v10, v13, v4
	v_add_f32_e32 v4, v6, v10
	s_delay_alu instid0(VALU_DEP_1) | instskip(NEXT) | instid1(VALU_DEP_1)
	v_dual_sub_f32 v7, v5, v4 :: v_dual_mov_b32 v11, v4
	v_pk_add_f32 v[4:5], v[4:5], v[6:7] neg_lo:[0,1] neg_hi:[0,1]
	s_delay_alu instid0(VALU_DEP_1) | instskip(NEXT) | instid1(VALU_DEP_1)
	v_pk_add_f32 v[4:5], v[4:5], v[10:11] neg_lo:[0,1] neg_hi:[0,1]
	v_add_f32_e32 v4, v4, v5
	s_delay_alu instid0(VALU_DEP_1) | instskip(NEXT) | instid1(VALU_DEP_1)
	v_add_f32_e32 v4, v7, v4
	v_mul_f32_e32 v5, v12, v4
	s_delay_alu instid0(VALU_DEP_1) | instskip(NEXT) | instid1(VALU_DEP_1)
	v_add_f32_e32 v4, v13, v5
	v_dual_sub_f32 v6, v4, v13 :: v_dual_mul_f32 v7, v4, v4
	s_delay_alu instid0(VALU_DEP_1) | instskip(NEXT) | instid1(VALU_DEP_1)
	v_dual_sub_f32 v18, v5, v6 :: v_dual_fma_f32 v5, v4, v4, -v7
	v_add_f32_e32 v6, v18, v18
	s_delay_alu instid0(VALU_DEP_1) | instskip(NEXT) | instid1(VALU_DEP_1)
	v_fmac_f32_e32 v5, v4, v6
	v_add_f32_e32 v6, v7, v5
	s_delay_alu instid0(VALU_DEP_1) | instskip(SKIP_1) | instid1(VALU_DEP_2)
	v_dual_fmaak_f32 v10, s4, v6, 0x3e91f4c4 :: v_dual_sub_f32 v7, v6, v7
	v_cmp_eq_f32_e64 s4, 0, v3
	v_fmaak_f32 v12, v6, v10, 0x3ecccdef
	v_cvt_f64_f32_e64 v[10:11], |v3|
	s_delay_alu instid0(VALU_DEP_2) | instskip(NEXT) | instid1(VALU_DEP_1)
	v_dual_sub_f32 v16, v5, v7 :: v_dual_mul_f32 v13, v6, v12
	v_fma_f32 v5, v6, v12, -v13
	s_delay_alu instid0(VALU_DEP_1) | instskip(NEXT) | instid1(VALU_DEP_1)
	v_fmac_f32_e32 v5, v16, v12
	v_add_f32_e32 v7, v13, v5
	s_delay_alu instid0(VALU_DEP_1) | instskip(NEXT) | instid1(VALU_DEP_1)
	v_dual_sub_f32 v12, v7, v13 :: v_dual_add_f32 v13, 0x3f2aaaaa, v7
	v_dual_sub_f32 v5, v5, v12 :: v_dual_add_f32 v12, 0xbf2aaaaa, v13
	v_frexp_exp_i32_f64_e32 v17, v[10:11]
	s_delay_alu instid0(VALU_DEP_2) | instskip(NEXT) | instid1(VALU_DEP_3)
	v_add_f32_e32 v5, 0x31739010, v5
	v_sub_f32_e32 v7, v7, v12
	s_delay_alu instid0(VALU_DEP_1) | instskip(NEXT) | instid1(VALU_DEP_1)
	v_pk_mul_f32 v[10:11], v[4:5], v[6:7]
	v_fma_f32 v12, v6, v4, -v10
	s_delay_alu instid0(VALU_DEP_1) | instskip(NEXT) | instid1(VALU_DEP_1)
	v_fmac_f32_e32 v12, v6, v18
	v_fmac_f32_e32 v12, v16, v4
	v_pk_add_f32 v[14:15], v[4:5], v[6:7]
	s_delay_alu instid0(VALU_DEP_1) | instskip(SKIP_1) | instid1(VALU_DEP_2)
	v_mov_b32_e32 v11, v15
	v_subrev_co_ci_u32_e64 v5, null, 0, v17, vcc_lo
	v_pk_add_f32 v[6:7], v[10:11], v[12:13]
	s_delay_alu instid0(VALU_DEP_2) | instskip(NEXT) | instid1(VALU_DEP_2)
	v_cvt_f32_i32_e32 v5, v5
	v_dual_mov_b32 v14, v7 :: v_dual_sub_f32 v11, v13, v7
	s_delay_alu instid0(VALU_DEP_3) | instskip(NEXT) | instid1(VALU_DEP_2)
	v_sub_f32_e32 v13, v6, v10
	v_pk_mul_f32 v[16:17], v[6:7], v[14:15]
	s_delay_alu instid0(VALU_DEP_3) | instskip(NEXT) | instid1(VALU_DEP_2)
	v_dual_add_f32 v11, v15, v11 :: v_dual_mul_f32 v14, 0x3f317218, v5
	v_dual_sub_f32 v12, v12, v13 :: v_dual_fma_f32 v10, v6, v7, -v16
	s_delay_alu instid0(VALU_DEP_1) | instskip(NEXT) | instid1(VALU_DEP_3)
	v_fmac_f32_e32 v10, v6, v11
	v_fma_f32 v6, 0x3f317218, v5, -v14
	s_delay_alu instid0(VALU_DEP_2) | instskip(NEXT) | instid1(VALU_DEP_2)
	v_fmac_f32_e32 v10, v12, v7
	v_fmamk_f32 v6, v5, 0xb102e308, v6
	v_ldexp_f32 v7, v4, 1
	s_delay_alu instid0(VALU_DEP_1) | instskip(NEXT) | instid1(VALU_DEP_1)
	v_dual_add_f32 v15, v16, v10 :: v_dual_mov_b32 v17, v7
	v_pk_add_f32 v[4:5], v[14:15], v[6:7]
	v_mov_b32_e32 v12, v15
	v_ldexp_f32 v7, v18, 1
	s_delay_alu instid0(VALU_DEP_3) | instskip(SKIP_1) | instid1(VALU_DEP_2)
	v_dual_mov_b32 v11, v15 :: v_dual_mov_b32 v13, v5
	v_mov_b32_e32 v20, v5
	v_pk_add_f32 v[12:13], v[12:13], v[16:17] neg_lo:[0,1] neg_hi:[0,1]
	s_delay_alu instid0(VALU_DEP_1) | instskip(NEXT) | instid1(VALU_DEP_1)
	v_pk_add_f32 v[10:11], v[10:11], v[12:13] neg_lo:[0,1] neg_hi:[0,1]
	v_add_f32_e32 v7, v7, v10
	s_delay_alu instid0(VALU_DEP_1) | instskip(NEXT) | instid1(VALU_DEP_1)
	v_dual_add_f32 v15, v7, v11 :: v_dual_mov_b32 v7, v4
	v_pk_add_f32 v[10:11], v[4:5], v[14:15]
	v_pk_add_f32 v[12:13], v[4:5], v[14:15] neg_lo:[0,1] neg_hi:[0,1]
	s_delay_alu instid0(VALU_DEP_2) | instskip(NEXT) | instid1(VALU_DEP_1)
	v_mov_b32_e32 v13, v11
	v_pk_add_f32 v[16:17], v[6:7], v[12:13]
	v_pk_add_f32 v[6:7], v[6:7], v[12:13] neg_lo:[0,1] neg_hi:[0,1]
	s_delay_alu instid0(VALU_DEP_2) | instskip(NEXT) | instid1(VALU_DEP_1)
	v_dual_mov_b32 v14, v17 :: v_dual_mov_b32 v7, v17
	v_pk_add_f32 v[18:19], v[14:15], v[4:5] neg_lo:[0,1] neg_hi:[0,1]
	v_dual_mov_b32 v16, v11 :: v_dual_mov_b32 v5, v4
	s_delay_alu instid0(VALU_DEP_2) | instskip(SKIP_1) | instid1(VALU_DEP_2)
	v_dual_mov_b32 v4, v15 :: v_dual_mov_b32 v21, v18
	v_mov_b32_e32 v15, v18
	v_pk_add_f32 v[12:13], v[16:17], v[20:21] neg_lo:[0,1] neg_hi:[0,1]
	s_delay_alu instid0(VALU_DEP_2) | instskip(SKIP_1) | instid1(VALU_DEP_3)
	v_pk_add_f32 v[10:11], v[10:11], v[14:15] neg_lo:[0,1] neg_hi:[0,1]
	v_mov_b32_e32 v10, v6
	v_pk_add_f32 v[4:5], v[4:5], v[12:13] neg_lo:[0,1] neg_hi:[0,1]
	s_delay_alu instid0(VALU_DEP_1) | instskip(NEXT) | instid1(VALU_DEP_1)
	v_pk_add_f32 v[10:11], v[10:11], v[4:5]
	v_mov_b32_e32 v12, v11
	s_delay_alu instid0(VALU_DEP_1) | instskip(NEXT) | instid1(VALU_DEP_1)
	v_pk_add_f32 v[12:13], v[10:11], v[12:13]
	v_pk_add_f32 v[14:15], v[14:15], v[12:13]
	s_delay_alu instid0(VALU_DEP_1) | instskip(NEXT) | instid1(VALU_DEP_1)
	v_dual_mov_b32 v5, v12 :: v_dual_mov_b32 v11, v14
	v_pk_add_f32 v[16:17], v[10:11], v[6:7] neg_lo:[0,1] neg_hi:[0,1]
	s_delay_alu instid0(VALU_DEP_1) | instskip(SKIP_1) | instid1(VALU_DEP_1)
	v_pk_add_f32 v[4:5], v[4:5], v[16:17] neg_lo:[0,1] neg_hi:[0,1]
	v_sub_f32_e32 v7, v10, v16
	v_sub_f32_e32 v6, v6, v7
	s_delay_alu instid0(VALU_DEP_1) | instskip(NEXT) | instid1(VALU_DEP_1)
	v_add_f32_e32 v4, v4, v6
	v_add_f32_e32 v4, v4, v5
	s_delay_alu instid0(VALU_DEP_1) | instskip(NEXT) | instid1(VALU_DEP_1)
	v_add_f32_e32 v5, v14, v4
	v_sub_f32_e32 v6, v5, v14
	s_delay_alu instid0(VALU_DEP_1) | instskip(NEXT) | instid1(VALU_DEP_1)
	v_dual_sub_f32 v4, v4, v6 :: v_dual_mul_f32 v7, v9, v5
	v_fma_f32 v5, v9, v5, -v7
	s_delay_alu instid0(VALU_DEP_1) | instskip(SKIP_1) | instid1(VALU_DEP_2)
	v_fmac_f32_e32 v5, v9, v4
	v_cmp_class_f32_e64 vcc_lo, v7, 0x204
	v_add_f32_e32 v4, v7, v5
	s_delay_alu instid0(VALU_DEP_1) | instskip(NEXT) | instid1(VALU_DEP_1)
	v_dual_cndmask_b32 v6, v4, v7, vcc_lo :: v_dual_sub_f32 v4, v4, v7
	v_cmp_eq_f32_e32 vcc_lo, 0x42b17218, v6
	s_delay_alu instid0(VALU_DEP_2) | instskip(SKIP_2) | instid1(VALU_DEP_2)
	v_sub_f32_e32 v4, v5, v4
	v_cndmask_b32_e64 v10, 0, 0x37000000, vcc_lo
	v_cmp_neq_f32_e64 vcc_lo, 0x7f800000, |v6|
	v_dual_sub_f32 v11, v6, v10 :: v_dual_cndmask_b32 v4, 0, v4
	v_trunc_f32_e32 v6, v9
	s_delay_alu instid0(VALU_DEP_2) | instskip(NEXT) | instid1(VALU_DEP_1)
	v_mul_f32_e32 v12, 0x3fb8aa3b, v11
	v_fma_f32 v13, 0x3fb8aa3b, v11, -v12
	v_rndne_f32_e32 v14, v12
	s_delay_alu instid0(VALU_DEP_1) | instskip(NEXT) | instid1(VALU_DEP_1)
	v_dual_fmamk_f32 v13, v11, 0x32a5705f, v13 :: v_dual_sub_f32 v12, v12, v14
	v_add_f32_e32 v12, v12, v13
	v_cmp_ngt_f32_e32 vcc_lo, 0xc2ce8ed0, v11
	s_delay_alu instid0(VALU_DEP_2)
	v_exp_f32_e32 v7, v12
	v_nop
	v_cvt_i32_f32_e32 v12, v14
	s_delay_alu instid0(TRANS32_DEP_1) | instid1(VALU_DEP_1)
	v_ldexp_f32 v5, v7, v12
	v_mul_f32_e32 v7, 0.5, v9
	s_delay_alu instid0(VALU_DEP_2) | instskip(NEXT) | instid1(VALU_DEP_2)
	v_cndmask_b32_e32 v5, 0, v5, vcc_lo
	v_trunc_f32_e32 v12, v7
	v_cmp_nlt_f32_e32 vcc_lo, 0x42b17218, v11
	s_wait_xcnt 0x0
	s_delay_alu instid0(VALU_DEP_2) | instskip(SKIP_2) | instid1(VALU_DEP_2)
	v_cmp_neq_f32_e64 s2, v12, v7
	v_cndmask_b32_e32 v5, 0x7f800000, v5, vcc_lo
	v_cmp_eq_f32_e32 vcc_lo, v6, v9
	v_cmp_class_f32_e64 s3, v5, 0x204
	s_and_b32 s2, vcc_lo, s2
	s_delay_alu instid0(SALU_CYCLE_1) | instskip(SKIP_2) | instid1(VALU_DEP_3)
	v_dual_cndmask_b32 v6, 1.0, v3, s2 :: v_dual_add_f32 v4, v10, v4
	v_cndmask_b32_e64 v10, 0, v3, s2
	v_cmp_class_f32_e64 s2, v3, 0x204
	v_fma_f32 v4, v5, v4, v5
	s_delay_alu instid0(VALU_DEP_1) | instskip(SKIP_2) | instid1(VALU_DEP_3)
	v_cndmask_b32_e64 v4, v4, v5, s3
	v_cndmask_b32_e64 v5, 0x7f800000, 0, s5
	v_cmp_gt_f32_e64 s3, 0, v9
	v_bfi_b32 v4, 0x7fffffff, v4, v6
	s_xor_b32 s3, s3, s4
	s_delay_alu instid0(SALU_CYCLE_1) | instskip(NEXT) | instid1(VALU_DEP_2)
	v_cndmask_b32_e64 v6, 0x7f800000, 0, s3
	v_cndmask_b32_e32 v7, 0x7fc00000, v4, vcc_lo
	v_cmp_neq_f32_e64 vcc_lo, |v3|, 1.0
	s_delay_alu instid0(VALU_DEP_3) | instskip(SKIP_4) | instid1(VALU_DEP_2)
	v_bfi_b32 v6, 0x7fffffff, v6, v10
	v_cndmask_b32_e32 v5, 1.0, v5, vcc_lo
	v_cmp_gt_f32_e32 vcc_lo, 0, v3
	v_cndmask_b32_e32 v4, v4, v7, vcc_lo
	v_cmp_class_f32_e64 vcc_lo, v9, 0x204
	v_cndmask_b32_e32 v4, v4, v5, vcc_lo
	s_or_b32 vcc_lo, s4, s2
	s_wait_loadcnt 0x0
	v_cvt_f32_i32_e32 v5, v8
	s_load_b128 s[4:7], s[0:1], 0x40
	v_cndmask_b32_e32 v4, v4, v6, vcc_lo
	v_cmp_o_f32_e32 vcc_lo, v3, v3
	s_delay_alu instid0(VALU_DEP_2) | instskip(NEXT) | instid1(VALU_DEP_1)
	v_cndmask_b32_e32 v3, 0x7fc00000, v4, vcc_lo
	v_mul_f32_e32 v3, v3, v5
	s_delay_alu instid0(VALU_DEP_1) | instskip(SKIP_3) | instid1(VALU_DEP_2)
	v_div_scale_f32 v4, null, v22, v22, v3
	v_div_scale_f32 v7, vcc_lo, v3, v22, v3
	s_wait_kmcnt 0x0
	s_cmp_eq_f32 s5, 0
	v_rcp_f32_e32 v5, v4
	v_nop
	s_delay_alu instid0(TRANS32_DEP_1) | instskip(NEXT) | instid1(VALU_DEP_1)
	v_fma_f32 v6, -v4, v5, 1.0
	v_fmac_f32_e32 v5, v6, v5
	s_delay_alu instid0(VALU_DEP_1) | instskip(NEXT) | instid1(VALU_DEP_1)
	v_mul_f32_e32 v6, v7, v5
	v_fma_f32 v8, -v4, v6, v7
	s_delay_alu instid0(VALU_DEP_1) | instskip(NEXT) | instid1(VALU_DEP_1)
	v_fmac_f32_e32 v6, v8, v5
	v_fma_f32 v4, -v4, v6, v7
	s_delay_alu instid0(VALU_DEP_1) | instskip(NEXT) | instid1(VALU_DEP_1)
	v_div_fmas_f32 v4, v4, v5, v6
	v_div_fixup_f32 v4, v4, v22, v3
	s_delay_alu instid0(VALU_DEP_1)
	v_mul_f32_e32 v5, s4, v4
	s_cbranch_scc1 .LBB25_9
; %bb.8:
	v_cvt_f32_i32_e32 v1, v1
	s_sub_f32 s0, s8, s7
	v_div_scale_f32 v6, null, s4, s4, 1.0
	s_delay_alu instid0(SALU_CYCLE_2) | instskip(SKIP_4) | instid1(VALU_DEP_3)
	s_max_num_f32 s1, s0, 0x3a83126f
	v_subrev_f32_e32 v1, s7, v1
	v_rcp_f32_e32 v8, v6
	v_nop
	v_xor_b32_e32 v6, 0x80000000, v6
	v_div_scale_f32 v3, null, s1, s1, v1
	s_delay_alu instid0(TRANS32_DEP_1) | instid1(VALU_DEP_2)
	v_fma_f32 v10, v6, v8, 1.0
	s_delay_alu instid0(VALU_DEP_2) | instskip(SKIP_1) | instid1(TRANS32_DEP_1)
	v_rcp_f32_e32 v7, v3
	v_nop
	v_fma_f32 v9, -v3, v7, 1.0
	s_delay_alu instid0(VALU_DEP_1) | instskip(SKIP_2) | instid1(VALU_DEP_2)
	v_fmac_f32_e32 v7, v9, v7
	v_div_scale_f32 v11, vcc_lo, v1, s1, v1
	v_div_scale_f32 v9, s0, 1.0, s4, 1.0
	v_dual_fmac_f32 v8, v10, v8 :: v_dual_mul_f32 v10, v11, v7
	s_delay_alu instid0(VALU_DEP_1) | instskip(NEXT) | instid1(VALU_DEP_1)
	v_dual_mul_f32 v12, v9, v8 :: v_dual_fma_f32 v13, -v3, v10, v11
	v_dual_fma_f32 v14, v6, v12, v9 :: v_dual_fmac_f32 v10, v13, v7
	s_delay_alu instid0(VALU_DEP_1) | instskip(NEXT) | instid1(VALU_DEP_1)
	v_dual_fmac_f32 v12, v14, v8 :: v_dual_fma_f32 v3, -v3, v10, v11
	v_fmac_f32_e32 v9, v6, v12
	s_delay_alu instid0(VALU_DEP_2) | instskip(SKIP_1) | instid1(VALU_DEP_2)
	v_div_fmas_f32 v3, v3, v7, v10
	s_mov_b32 vcc_lo, s0
	v_div_fmas_f32 v6, v9, v8, v12
	s_delay_alu instid0(VALU_DEP_2) | instskip(NEXT) | instid1(VALU_DEP_2)
	v_div_fixup_f32 v1, v3, s1, v1 clamp
	v_div_fixup_f32 v6, v6, s4, 1.0
	s_delay_alu instid0(VALU_DEP_1) | instskip(SKIP_2) | instid1(SALU_CYCLE_1)
	v_readfirstlane_b32 s0, v6
	s_cmp_lt_f32 s0, 0x800000
	s_cselect_b32 s0, 0x4f800000, 1.0
	v_mul_f32_e32 v6, s0, v6
	s_cselect_b32 s0, 0x41b17218, 0
	s_delay_alu instid0(VALU_DEP_1) | instskip(SKIP_1) | instid1(TRANS32_DEP_1)
	v_log_f32_e32 v6, v6
	v_nop
	v_and_b32_e32 v3, 0x7fffffff, v6
	s_delay_alu instid0(VALU_DEP_1) | instskip(SKIP_2) | instid1(VALU_DEP_1)
	v_cmp_gt_f32_e32 vcc_lo, 0x7f800000, v3
	v_sub_f32_e32 v1, 1.0, v1
	v_mul_f32_e32 v7, 0x3f317217, v6
	v_xor_b32_e32 v7, 0x80000000, v7
	s_delay_alu instid0(VALU_DEP_1) | instskip(NEXT) | instid1(VALU_DEP_1)
	v_fmac_f32_e32 v7, 0x3f317217, v6
	v_fmamk_f32 v7, v6, 0x3377d1cf, v7
	s_delay_alu instid0(VALU_DEP_1) | instskip(NEXT) | instid1(VALU_DEP_1)
	v_fmac_f32_e32 v7, 0x3f317217, v6
	v_dual_cndmask_b32 v3, v6, v7 :: v_dual_mul_f32 v6, s5, v1
	v_fma_f32 v7, -s5, v1, 1.0
	s_delay_alu instid0(VALU_DEP_2) | instskip(NEXT) | instid1(VALU_DEP_2)
	v_dual_mov_b32 v1, 1.0 :: v_dual_subrev_f32 v3, s0, v3
	v_pk_mul_f32 v[4:5], v[6:7], v[4:5]
	s_delay_alu instid0(VALU_DEP_2) | instskip(NEXT) | instid1(VALU_DEP_2)
	v_fmamk_f32 v1, v3, 0x3dcccccd, v1
	v_add_f32_e32 v5, v4, v5
	s_delay_alu instid0(VALU_DEP_2)
	v_mul_f32_e32 v6, s6, v1
	s_branch .LBB25_10
.LBB25_9:
	v_mov_b32_e32 v6, s6
.LBB25_10:
	s_delay_alu instid0(VALU_DEP_2) | instskip(SKIP_1) | instid1(VALU_DEP_2)
	v_and_b32_e32 v1, 0x7fffffff, v5
	v_cmp_ngt_f32_e64 s2, 0x48000000, |v5|
                                        ; implicit-def: $vgpr7
                                        ; implicit-def: $vgpr4
	v_lshrrev_b32_e32 v3, 23, v1
	s_and_saveexec_b32 s0, s2
	s_delay_alu instid0(SALU_CYCLE_1)
	s_xor_b32 s3, exec_lo, s0
	s_cbranch_execz .LBB25_12
; %bb.11:
	s_mov_b32 s0, 0x7fffff
	v_mov_b32_e32 v9, 0
	v_and_or_b32 v8, v1, s0, 0x800000
	s_mov_b64 s[0:1], 0xfe5163ab
	s_delay_alu instid0(VALU_DEP_1) | instid1(SALU_CYCLE_1)
	v_mul_u64_e32 v[10:11], s[0:1], v[8:9]
	s_delay_alu instid0(VALU_DEP_1) | instskip(SKIP_2) | instid1(VALU_DEP_3)
	v_dual_mov_b32 v12, v11 :: v_dual_mov_b32 v13, v9
	v_dual_mov_b32 v15, v9 :: v_dual_mov_b32 v17, v9
	;; [unrolled: 1-line block ×3, first 2 shown]
	v_mad_nc_u64_u32 v[12:13], 0x3c439041, v8, v[12:13]
	s_delay_alu instid0(VALU_DEP_1) | instskip(NEXT) | instid1(VALU_DEP_1)
	v_dual_mov_b32 v23, v9 :: v_dual_mov_b32 v14, v13
	v_mad_nc_u64_u32 v[14:15], 0xdb629599, v8, v[14:15]
	s_delay_alu instid0(VALU_DEP_1) | instskip(NEXT) | instid1(VALU_DEP_1)
	v_mov_b32_e32 v16, v15
	v_mad_nc_u64_u32 v[16:17], 0xf534ddc0, v8, v[16:17]
	s_delay_alu instid0(VALU_DEP_1) | instskip(NEXT) | instid1(VALU_DEP_1)
	v_mov_b32_e32 v18, v17
	;; [unrolled: 3-line block ×3, first 2 shown]
	v_mad_nc_u64_u32 v[20:21], 0x4e441529, v8, v[20:21]
	v_add_nc_u32_e32 v4, 0xffffff88, v3
	s_delay_alu instid0(VALU_DEP_1) | instskip(SKIP_1) | instid1(VALU_DEP_4)
	v_cmp_lt_u32_e32 vcc_lo, 63, v4
	v_cndmask_b32_e64 v7, 0, 0xffffffc0, vcc_lo
	v_dual_cndmask_b32 v11, v20, v16 :: v_dual_mov_b32 v22, v21
	s_delay_alu instid0(VALU_DEP_2) | instskip(NEXT) | instid1(VALU_DEP_2)
	v_dual_cndmask_b32 v13, v18, v14 :: v_dual_add_nc_u32 v4, v7, v4
	v_mad_nc_u64_u32 v[8:9], 0xa2f9836e, v8, v[22:23]
	s_delay_alu instid0(VALU_DEP_2) | instskip(NEXT) | instid1(VALU_DEP_1)
	v_cmp_lt_u32_e64 s0, 31, v4
	v_cndmask_b32_e64 v7, 0, 0xffffffe0, s0
	s_delay_alu instid0(VALU_DEP_3) | instskip(NEXT) | instid1(VALU_DEP_2)
	v_dual_cndmask_b32 v8, v8, v18 :: v_dual_cndmask_b32 v9, v9, v20
	v_add_nc_u32_e32 v4, v7, v4
	s_delay_alu instid0(VALU_DEP_1) | instskip(NEXT) | instid1(VALU_DEP_1)
	v_cmp_lt_u32_e64 s1, 31, v4
	v_cndmask_b32_e64 v7, 0, 0xffffffe0, s1
	s_delay_alu instid0(VALU_DEP_1) | instskip(SKIP_2) | instid1(VALU_DEP_3)
	v_add_nc_u32_e32 v4, v7, v4
	v_cndmask_b32_e32 v7, v16, v12, vcc_lo
	v_dual_cndmask_b32 v12, v8, v11, s0 :: v_dual_cndmask_b32 v8, v9, v8, s0
	v_dual_cndmask_b32 v9, v11, v13, s0 :: v_dual_sub_nc_u32 v11, 32, v4
	s_delay_alu instid0(VALU_DEP_2) | instskip(NEXT) | instid1(VALU_DEP_2)
	v_dual_cndmask_b32 v13, v13, v7, s0 :: v_dual_cndmask_b32 v8, v8, v12, s1
	v_cndmask_b32_e64 v12, v12, v9, s1
	s_delay_alu instid0(VALU_DEP_2) | instskip(NEXT) | instid1(VALU_DEP_2)
	v_cndmask_b32_e64 v9, v9, v13, s1
	v_alignbit_b32 v15, v8, v12, v11
	v_cndmask_b32_e32 v10, v14, v10, vcc_lo
	v_cmp_eq_u32_e32 vcc_lo, 0, v4
	s_delay_alu instid0(VALU_DEP_4) | instskip(NEXT) | instid1(VALU_DEP_4)
	v_alignbit_b32 v14, v12, v9, v11
	v_cndmask_b32_e32 v4, v15, v8, vcc_lo
	s_delay_alu instid0(VALU_DEP_2) | instskip(NEXT) | instid1(VALU_DEP_2)
	v_dual_cndmask_b32 v7, v7, v10, s0 :: v_dual_cndmask_b32 v8, v14, v12, vcc_lo
	v_bfe_u32 v10, v4, 29, 1
	s_delay_alu instid0(VALU_DEP_2) | instskip(NEXT) | instid1(VALU_DEP_3)
	v_cndmask_b32_e64 v7, v13, v7, s1
	v_alignbit_b32 v12, v4, v8, 30
	s_delay_alu instid0(VALU_DEP_3) | instskip(NEXT) | instid1(VALU_DEP_3)
	v_sub_nc_u32_e32 v13, 0, v10
	v_alignbit_b32 v11, v9, v7, v11
	s_delay_alu instid0(VALU_DEP_2) | instskip(NEXT) | instid1(VALU_DEP_2)
	v_xor_b32_e32 v12, v12, v13
	v_cndmask_b32_e32 v9, v11, v9, vcc_lo
	s_delay_alu instid0(VALU_DEP_2) | instskip(NEXT) | instid1(VALU_DEP_2)
	v_clz_i32_u32_e32 v11, v12
	v_alignbit_b32 v8, v8, v9, 30
	v_alignbit_b32 v7, v9, v7, 30
	s_delay_alu instid0(VALU_DEP_3) | instskip(NEXT) | instid1(VALU_DEP_3)
	v_min_u32_e32 v11, 32, v11
	v_xor_b32_e32 v8, v8, v13
	s_delay_alu instid0(VALU_DEP_3) | instskip(NEXT) | instid1(VALU_DEP_3)
	v_dual_lshrrev_b32 v13, 29, v4 :: v_dual_bitop2_b32 v7, v7, v13 bitop3:0x14
	v_dual_sub_nc_u32 v9, 31, v11 :: v_dual_lshlrev_b32 v14, 23, v11
	s_delay_alu instid0(VALU_DEP_1) | instskip(NEXT) | instid1(VALU_DEP_3)
	v_alignbit_b32 v12, v12, v8, v9
	v_alignbit_b32 v7, v8, v7, v9
	s_delay_alu instid0(VALU_DEP_4) | instskip(NEXT) | instid1(VALU_DEP_2)
	v_lshlrev_b32_e32 v8, 31, v13
	v_alignbit_b32 v9, v12, v7, 9
	s_delay_alu instid0(VALU_DEP_2) | instskip(SKIP_2) | instid1(VALU_DEP_4)
	v_or_b32_e32 v13, 0.5, v8
	v_lshrrev_b32_e32 v12, 9, v12
	v_or_b32_e32 v8, 0x33000000, v8
	v_clz_i32_u32_e32 v15, v9
	s_delay_alu instid0(VALU_DEP_4) | instskip(NEXT) | instid1(VALU_DEP_2)
	v_sub_nc_u32_e32 v13, v13, v14
	v_min_u32_e32 v14, 32, v15
	s_delay_alu instid0(VALU_DEP_2) | instskip(NEXT) | instid1(VALU_DEP_2)
	v_or_b32_e32 v12, v12, v13
	v_not_b32_e32 v13, v14
	v_add_lshl_u32 v11, v14, v11, 23
	s_delay_alu instid0(VALU_DEP_2) | instskip(NEXT) | instid1(VALU_DEP_2)
	v_alignbit_b32 v7, v9, v7, v13
	v_sub_nc_u32_e32 v8, v8, v11
	s_delay_alu instid0(VALU_DEP_2) | instskip(SKIP_1) | instid1(VALU_DEP_2)
	v_lshrrev_b32_e32 v7, 9, v7
	v_mul_f32_e32 v15, 0x3fc90fda, v12
	v_or_b32_e32 v7, v8, v7
	s_delay_alu instid0(VALU_DEP_2) | instskip(NEXT) | instid1(VALU_DEP_1)
	v_fma_f32 v9, 0x3fc90fda, v12, -v15
	v_fmamk_f32 v9, v12, 0x33a22168, v9
	s_delay_alu instid0(VALU_DEP_1) | instskip(NEXT) | instid1(VALU_DEP_1)
	v_fmac_f32_e32 v9, 0x3fc90fda, v7
	v_dual_add_f32 v4, v15, v9 :: v_dual_lshrrev_b32 v7, 30, v4
	s_delay_alu instid0(VALU_DEP_1)
	v_add_nc_u32_e32 v7, v10, v7
	s_or_saveexec_b32 s0, s3
	v_mul_f32_e64 v10, 0x3f22f983, |v5|
	s_xor_b32 exec_lo, exec_lo, s0
	s_branch .LBB25_13
.LBB25_12:
	s_or_saveexec_b32 s0, s3
	v_mul_f32_e64 v10, 0x3f22f983, |v5|
	s_xor_b32 exec_lo, exec_lo, s0
.LBB25_13:
	s_delay_alu instid0(VALU_DEP_1) | instskip(NEXT) | instid1(VALU_DEP_1)
	v_rndne_f32_e32 v7, v10
	v_fma_f32 v4, 0xbfc90fda, v7, |v5|
	s_delay_alu instid0(VALU_DEP_1) | instskip(NEXT) | instid1(VALU_DEP_1)
	v_fmamk_f32 v4, v7, 0xb3a22168, v4
	v_fmamk_f32 v4, v7, 0xa7c234c4, v4
	v_cvt_i32_f32_e32 v7, v7
; %bb.14:
	s_or_b32 exec_lo, exec_lo, s0
                                        ; implicit-def: $vgpr9
                                        ; implicit-def: $vgpr8
	s_and_saveexec_b32 s0, s2
	s_delay_alu instid0(SALU_CYCLE_1)
	s_xor_b32 s2, exec_lo, s0
	s_cbranch_execz .LBB25_16
; %bb.15:
	s_mov_b32 s0, 0x7fffff
	v_mov_b32_e32 v9, 0
	v_and_or_b32 v8, v1, s0, 0x800000
	s_mov_b64 s[0:1], 0xfe5163ab
	v_add_nc_u32_e32 v3, 0xffffff88, v3
	s_delay_alu instid0(VALU_DEP_2) | instskip(NEXT) | instid1(VALU_DEP_2)
	v_mul_u64_e32 v[10:11], s[0:1], v[8:9]
	v_cmp_lt_u32_e32 vcc_lo, 63, v3
	s_delay_alu instid0(VALU_DEP_2) | instskip(SKIP_2) | instid1(VALU_DEP_3)
	v_dual_mov_b32 v12, v11 :: v_dual_mov_b32 v13, v9
	v_dual_mov_b32 v15, v9 :: v_dual_mov_b32 v17, v9
	;; [unrolled: 1-line block ×3, first 2 shown]
	v_mad_nc_u64_u32 v[12:13], 0x3c439041, v8, v[12:13]
	v_cndmask_b32_e64 v11, 0, 0xffffffc0, vcc_lo
	s_delay_alu instid0(VALU_DEP_1) | instskip(NEXT) | instid1(VALU_DEP_3)
	v_dual_mov_b32 v23, v9 :: v_dual_add_nc_u32 v3, v11, v3
	v_mov_b32_e32 v14, v13
	s_delay_alu instid0(VALU_DEP_2) | instskip(NEXT) | instid1(VALU_DEP_2)
	v_cmp_lt_u32_e64 s0, 31, v3
	v_mad_nc_u64_u32 v[14:15], 0xdb629599, v8, v[14:15]
	s_delay_alu instid0(VALU_DEP_2) | instskip(NEXT) | instid1(VALU_DEP_1)
	v_cndmask_b32_e64 v11, 0, 0xffffffe0, s0
	v_add_nc_u32_e32 v3, v11, v3
	s_delay_alu instid0(VALU_DEP_3) | instskip(NEXT) | instid1(VALU_DEP_2)
	v_mov_b32_e32 v16, v15
	v_cmp_lt_u32_e64 s1, 31, v3
	v_cndmask_b32_e32 v10, v14, v10, vcc_lo
	s_delay_alu instid0(VALU_DEP_3) | instskip(NEXT) | instid1(VALU_DEP_3)
	v_mad_nc_u64_u32 v[16:17], 0xf534ddc0, v8, v[16:17]
	v_cndmask_b32_e64 v11, 0, 0xffffffe0, s1
	s_delay_alu instid0(VALU_DEP_1) | instskip(NEXT) | instid1(VALU_DEP_3)
	v_dual_add_nc_u32 v3, v11, v3 :: v_dual_cndmask_b32 v11, v16, v12, vcc_lo
	v_mov_b32_e32 v18, v17
	s_delay_alu instid0(VALU_DEP_1) | instskip(NEXT) | instid1(VALU_DEP_1)
	v_mad_nc_u64_u32 v[18:19], 0xfc2757d1, v8, v[18:19]
	v_dual_mov_b32 v20, v19 :: v_dual_cndmask_b32 v15, v18, v14
	s_delay_alu instid0(VALU_DEP_1) | instskip(NEXT) | instid1(VALU_DEP_1)
	v_mad_nc_u64_u32 v[20:21], 0x4e441529, v8, v[20:21]
	v_dual_mov_b32 v22, v21 :: v_dual_cndmask_b32 v13, v20, v16
	s_delay_alu instid0(VALU_DEP_1) | instskip(NEXT) | instid1(VALU_DEP_1)
	v_mad_nc_u64_u32 v[8:9], 0xa2f9836e, v8, v[22:23]
	v_dual_cndmask_b32 v8, v8, v18 :: v_dual_cndmask_b32 v9, v9, v20
	v_cmp_eq_u32_e32 vcc_lo, 0, v3
	s_delay_alu instid0(VALU_DEP_2) | instskip(SKIP_2) | instid1(VALU_DEP_3)
	v_dual_cndmask_b32 v12, v8, v13, s0 :: v_dual_cndmask_b32 v8, v9, v8, s0
	v_cndmask_b32_e64 v9, v13, v15, s0
	v_sub_nc_u32_e32 v13, 32, v3
	v_dual_cndmask_b32 v15, v15, v11, s0 :: v_dual_cndmask_b32 v8, v8, v12, s1
	s_delay_alu instid0(VALU_DEP_3) | instskip(NEXT) | instid1(VALU_DEP_1)
	v_cndmask_b32_e64 v12, v12, v9, s1
	v_alignbit_b32 v16, v8, v12, v13
	s_delay_alu instid0(VALU_DEP_1) | instskip(NEXT) | instid1(VALU_DEP_1)
	v_dual_cndmask_b32 v9, v9, v15, s1 :: v_dual_cndmask_b32 v3, v16, v8, vcc_lo
	v_alignbit_b32 v14, v12, v9, v13
	v_cndmask_b32_e64 v8, v11, v10, s0
	s_delay_alu instid0(VALU_DEP_3) | instskip(NEXT) | instid1(VALU_DEP_3)
	v_bfe_u32 v11, v3, 29, 1
	v_cndmask_b32_e32 v10, v14, v12, vcc_lo
	s_delay_alu instid0(VALU_DEP_2) | instskip(NEXT) | instid1(VALU_DEP_2)
	v_dual_cndmask_b32 v8, v15, v8, s1 :: v_dual_sub_nc_u32 v14, 0, v11
	v_alignbit_b32 v12, v3, v10, 30
	s_delay_alu instid0(VALU_DEP_2) | instskip(NEXT) | instid1(VALU_DEP_1)
	v_alignbit_b32 v13, v9, v8, v13
	v_dual_cndmask_b32 v9, v13, v9, vcc_lo :: v_dual_bitop2_b32 v12, v12, v14 bitop3:0x14
	s_delay_alu instid0(VALU_DEP_1) | instskip(NEXT) | instid1(VALU_DEP_2)
	v_clz_i32_u32_e32 v13, v12
	v_alignbit_b32 v10, v10, v9, 30
	v_alignbit_b32 v8, v9, v8, 30
	s_delay_alu instid0(VALU_DEP_3) | instskip(NEXT) | instid1(VALU_DEP_3)
	v_min_u32_e32 v13, 32, v13
	v_xor_b32_e32 v9, v10, v14
	s_delay_alu instid0(VALU_DEP_3) | instskip(NEXT) | instid1(VALU_DEP_3)
	v_dual_lshrrev_b32 v14, 29, v3 :: v_dual_bitop2_b32 v8, v8, v14 bitop3:0x14
	v_dual_lshrrev_b32 v3, 30, v3 :: v_dual_sub_nc_u32 v10, 31, v13
	v_lshlrev_b32_e32 v15, 23, v13
	s_delay_alu instid0(VALU_DEP_2) | instskip(NEXT) | instid1(VALU_DEP_4)
	v_alignbit_b32 v12, v12, v9, v10
	v_alignbit_b32 v8, v9, v8, v10
	v_lshlrev_b32_e32 v9, 31, v14
	s_delay_alu instid0(VALU_DEP_2) | instskip(NEXT) | instid1(VALU_DEP_2)
	v_alignbit_b32 v10, v12, v8, 9
	v_dual_lshrrev_b32 v12, 9, v12 :: v_dual_bitop2_b32 v14, 0.5, v9 bitop3:0x54
	v_or_b32_e32 v9, 0x33000000, v9
	s_delay_alu instid0(VALU_DEP_3) | instskip(NEXT) | instid1(VALU_DEP_3)
	v_clz_i32_u32_e32 v16, v10
	v_sub_nc_u32_e32 v14, v14, v15
	s_delay_alu instid0(VALU_DEP_2) | instskip(NEXT) | instid1(VALU_DEP_1)
	v_min_u32_e32 v15, 32, v16
	v_add_lshl_u32 v13, v15, v13, 23
	s_delay_alu instid0(VALU_DEP_1) | instskip(SKIP_1) | instid1(VALU_DEP_1)
	v_dual_sub_nc_u32 v9, v9, v13 :: v_dual_bitop2_b32 v12, v12, v14 bitop3:0x54
	v_not_b32_e32 v14, v15
	v_alignbit_b32 v8, v10, v8, v14
	s_delay_alu instid0(VALU_DEP_1) | instskip(NEXT) | instid1(VALU_DEP_4)
	v_lshrrev_b32_e32 v8, 9, v8
	v_mul_f32_e32 v16, 0x3fc90fda, v12
	s_delay_alu instid0(VALU_DEP_2) | instskip(NEXT) | instid1(VALU_DEP_2)
	v_or_b32_e32 v8, v9, v8
	v_fma_f32 v10, 0x3fc90fda, v12, -v16
	s_delay_alu instid0(VALU_DEP_1) | instskip(NEXT) | instid1(VALU_DEP_1)
	v_dual_fmamk_f32 v10, v12, 0x33a22168, v10 :: v_dual_add_nc_u32 v9, v11, v3
	v_fmac_f32_e32 v10, 0x3fc90fda, v8
	s_delay_alu instid0(VALU_DEP_1)
	v_add_f32_e32 v8, v16, v10
                                        ; implicit-def: $vgpr10
	s_and_not1_saveexec_b32 s0, s2
	s_cbranch_execnz .LBB25_17
	s_branch .LBB25_18
.LBB25_16:
	s_and_not1_saveexec_b32 s0, s2
.LBB25_17:
	v_rndne_f32_e32 v3, v10
	s_delay_alu instid0(VALU_DEP_1) | instskip(SKIP_1) | instid1(VALU_DEP_2)
	v_fma_f32 v8, 0xbfc90fda, v3, |v5|
	v_cvt_i32_f32_e32 v9, v3
	v_fmamk_f32 v8, v3, 0xb3a22168, v8
	s_delay_alu instid0(VALU_DEP_1)
	v_fmamk_f32 v8, v3, 0xa7c234c4, v8
.LBB25_18:
	s_or_b32 exec_lo, exec_lo, s0
	v_ashrrev_i32_e32 v3, 31, v2
	s_lshr_b32 s0, s21, 31
	s_mov_b32 s2, 0xb94c1982
	s_add_co_i32 s0, s21, s0
	s_mov_b32 s3, 0x37d75334
	s_ashr_i32 s0, s0, 1
	v_lshl_add_u64 v[10:11], v[2:3], 1, s[12:13]
	s_ashr_i32 s1, s0, 31
	v_mul_f32_e32 v3, v8, v8
	s_lshl_b64 s[0:1], s[0:1], 1
	s_delay_alu instid0(VALU_DEP_2) | instid1(SALU_CYCLE_1)
	v_add_nc_u64_e32 v[10:11], s[0:1], v[10:11]
	s_clause 0x1
	global_load_u16 v12, v[10:11], off
	global_load_u16 v13, v2, s[12:13] scale_offset
	s_wait_xcnt 0x0
	v_dual_mul_f32 v2, v4, v4 :: v_dual_bitop2_b32 v10, 1, v7 bitop3:0x40
	v_fmaak_f32 v15, s2, v3, 0x3c0881c4
	v_lshlrev_b32_e32 v7, 30, v7
	v_fmaak_f32 v16, s3, v3, 0xbab64f3b
	s_delay_alu instid0(VALU_DEP_4) | instskip(SKIP_2) | instid1(VALU_DEP_1)
	v_fmaak_f32 v14, s3, v2, 0xbab64f3b
	v_cmp_eq_u32_e32 vcc_lo, 0, v10
	v_fmaak_f32 v15, v3, v15, 0xbe2aaa9d
	v_dual_fmaak_f32 v14, v2, v14, 0x3d2aabf7 :: v_dual_mul_f32 v15, v3, v15
	s_delay_alu instid0(VALU_DEP_1) | instskip(NEXT) | instid1(VALU_DEP_1)
	v_dual_fmaak_f32 v11, s2, v2, 0x3c0881c4 :: v_dual_fmac_f32 v8, v8, v15
	v_fmaak_f32 v11, v2, v11, 0xbe2aaa9d
	v_dual_lshlrev_b32 v9, 30, v9 :: v_dual_bitop2_b32 v17, 1, v9 bitop3:0x40
	s_delay_alu instid0(VALU_DEP_2) | instskip(SKIP_1) | instid1(VALU_DEP_3)
	v_dual_fmaak_f32 v16, v3, v16, 0x3d2aabf7 :: v_dual_mul_f32 v11, v2, v11
	v_xor_b32_e32 v1, v1, v5
	v_and_b32_e32 v9, 0x80000000, v9
	s_delay_alu instid0(VALU_DEP_3) | instskip(NEXT) | instid1(VALU_DEP_4)
	v_fmaak_f32 v16, v3, v16, 0xbf000004
	v_fmac_f32_e32 v4, v4, v11
	s_delay_alu instid0(VALU_DEP_2) | instskip(SKIP_1) | instid1(VALU_DEP_1)
	v_fma_f32 v3, v3, v16, 1.0
	v_fmaak_f32 v14, v2, v14, 0xbf000004
	v_fma_f32 v2, v2, v14, 1.0
	s_delay_alu instid0(VALU_DEP_1) | instskip(SKIP_1) | instid1(VALU_DEP_2)
	v_cndmask_b32_e64 v2, -v4, v2, vcc_lo
	v_cmp_eq_u32_e32 vcc_lo, 0, v17
	v_bitop3_b32 v2, v7, v2, 0x80000000 bitop3:0x6c
	v_cndmask_b32_e32 v3, v3, v8, vcc_lo
	v_cmp_class_f32_e64 vcc_lo, v5, 0x1f8
	s_delay_alu instid0(VALU_DEP_2)
	v_xor3_b32 v1, v1, v9, v3
	s_wait_loadcnt 0x1
	v_cvt_f32_f16_e32 v7, v12
	s_wait_loadcnt 0x0
	v_cvt_f32_f16_e32 v8, v13
	v_cndmask_b32_e32 v4, 0x7fc00000, v2, vcc_lo
	v_dual_cndmask_b32 v2, 0x7fc00000, v1 :: v_dual_ashrrev_i32 v1, 31, v0
	s_delay_alu instid0(VALU_DEP_1) | instskip(NEXT) | instid1(VALU_DEP_2)
	v_mul_f32_e64 v5, v2, -v6
	v_lshl_add_u64 v[2:3], v[0:1], 1, s[14:15]
	s_delay_alu instid0(VALU_DEP_2) | instskip(SKIP_1) | instid1(VALU_DEP_3)
	v_dual_mul_f32 v1, v6, v4 :: v_dual_mul_f32 v4, v5, v7
	v_mul_f32_e32 v5, v5, v8
	v_add_nc_u64_e32 v[2:3], s[0:1], v[2:3]
	s_delay_alu instid0(VALU_DEP_3) | instskip(NEXT) | instid1(VALU_DEP_3)
	v_fma_mixlo_f16 v4, v1, v13, -v4 op_sel_hi:[0,1,0]
	v_fma_mixlo_f16 v1, v1, v12, v5 op_sel_hi:[0,1,0]
	s_clause 0x1
	global_store_b16 v0, v4, s[14:15] scale_offset
	global_store_b16 v[2:3], v1, off
.LBB25_19:
	s_endpgm
	.section	.rodata,"a",@progbits
	.p2align	6, 0x0
	.amdhsa_kernel _ZL9rope_neoxILb0ELb1E6__halfS0_EvPKT1_PT2_iiiiiiiiiiPKifff14rope_corr_dimsfPKfPKli
		.amdhsa_group_segment_fixed_size 0
		.amdhsa_private_segment_fixed_size 0
		.amdhsa_kernarg_size 368
		.amdhsa_user_sgpr_count 2
		.amdhsa_user_sgpr_dispatch_ptr 0
		.amdhsa_user_sgpr_queue_ptr 0
		.amdhsa_user_sgpr_kernarg_segment_ptr 1
		.amdhsa_user_sgpr_dispatch_id 0
		.amdhsa_user_sgpr_kernarg_preload_length 0
		.amdhsa_user_sgpr_kernarg_preload_offset 0
		.amdhsa_user_sgpr_private_segment_size 0
		.amdhsa_wavefront_size32 1
		.amdhsa_uses_dynamic_stack 0
		.amdhsa_enable_private_segment 0
		.amdhsa_system_sgpr_workgroup_id_x 1
		.amdhsa_system_sgpr_workgroup_id_y 1
		.amdhsa_system_sgpr_workgroup_id_z 0
		.amdhsa_system_sgpr_workgroup_info 0
		.amdhsa_system_vgpr_workitem_id 1
		.amdhsa_next_free_vgpr 24
		.amdhsa_next_free_sgpr 22
		.amdhsa_named_barrier_count 0
		.amdhsa_reserve_vcc 1
		.amdhsa_float_round_mode_32 0
		.amdhsa_float_round_mode_16_64 0
		.amdhsa_float_denorm_mode_32 3
		.amdhsa_float_denorm_mode_16_64 3
		.amdhsa_fp16_overflow 0
		.amdhsa_memory_ordered 1
		.amdhsa_forward_progress 1
		.amdhsa_inst_pref_size 38
		.amdhsa_round_robin_scheduling 0
		.amdhsa_exception_fp_ieee_invalid_op 0
		.amdhsa_exception_fp_denorm_src 0
		.amdhsa_exception_fp_ieee_div_zero 0
		.amdhsa_exception_fp_ieee_overflow 0
		.amdhsa_exception_fp_ieee_underflow 0
		.amdhsa_exception_fp_ieee_inexact 0
		.amdhsa_exception_int_div_zero 0
	.end_amdhsa_kernel
	.section	.text._ZL9rope_neoxILb0ELb1E6__halfS0_EvPKT1_PT2_iiiiiiiiiiPKifff14rope_corr_dimsfPKfPKli,"axG",@progbits,_ZL9rope_neoxILb0ELb1E6__halfS0_EvPKT1_PT2_iiiiiiiiiiPKifff14rope_corr_dimsfPKfPKli,comdat
.Lfunc_end25:
	.size	_ZL9rope_neoxILb0ELb1E6__halfS0_EvPKT1_PT2_iiiiiiiiiiPKifff14rope_corr_dimsfPKfPKli, .Lfunc_end25-_ZL9rope_neoxILb0ELb1E6__halfS0_EvPKT1_PT2_iiiiiiiiiiPKifff14rope_corr_dimsfPKfPKli
                                        ; -- End function
	.set _ZL9rope_neoxILb0ELb1E6__halfS0_EvPKT1_PT2_iiiiiiiiiiPKifff14rope_corr_dimsfPKfPKli.num_vgpr, 24
	.set _ZL9rope_neoxILb0ELb1E6__halfS0_EvPKT1_PT2_iiiiiiiiiiPKifff14rope_corr_dimsfPKfPKli.num_agpr, 0
	.set _ZL9rope_neoxILb0ELb1E6__halfS0_EvPKT1_PT2_iiiiiiiiiiPKifff14rope_corr_dimsfPKfPKli.numbered_sgpr, 22
	.set _ZL9rope_neoxILb0ELb1E6__halfS0_EvPKT1_PT2_iiiiiiiiiiPKifff14rope_corr_dimsfPKfPKli.num_named_barrier, 0
	.set _ZL9rope_neoxILb0ELb1E6__halfS0_EvPKT1_PT2_iiiiiiiiiiPKifff14rope_corr_dimsfPKfPKli.private_seg_size, 0
	.set _ZL9rope_neoxILb0ELb1E6__halfS0_EvPKT1_PT2_iiiiiiiiiiPKifff14rope_corr_dimsfPKfPKli.uses_vcc, 1
	.set _ZL9rope_neoxILb0ELb1E6__halfS0_EvPKT1_PT2_iiiiiiiiiiPKifff14rope_corr_dimsfPKfPKli.uses_flat_scratch, 0
	.set _ZL9rope_neoxILb0ELb1E6__halfS0_EvPKT1_PT2_iiiiiiiiiiPKifff14rope_corr_dimsfPKfPKli.has_dyn_sized_stack, 0
	.set _ZL9rope_neoxILb0ELb1E6__halfS0_EvPKT1_PT2_iiiiiiiiiiPKifff14rope_corr_dimsfPKfPKli.has_recursion, 0
	.set _ZL9rope_neoxILb0ELb1E6__halfS0_EvPKT1_PT2_iiiiiiiiiiPKifff14rope_corr_dimsfPKfPKli.has_indirect_call, 0
	.section	.AMDGPU.csdata,"",@progbits
; Kernel info:
; codeLenInByte = 4804
; TotalNumSgprs: 24
; NumVgprs: 24
; ScratchSize: 0
; MemoryBound: 0
; FloatMode: 240
; IeeeMode: 1
; LDSByteSize: 0 bytes/workgroup (compile time only)
; SGPRBlocks: 0
; VGPRBlocks: 1
; NumSGPRsForWavesPerEU: 24
; NumVGPRsForWavesPerEU: 24
; NamedBarCnt: 0
; Occupancy: 16
; WaveLimiterHint : 0
; COMPUTE_PGM_RSRC2:SCRATCH_EN: 0
; COMPUTE_PGM_RSRC2:USER_SGPR: 2
; COMPUTE_PGM_RSRC2:TRAP_HANDLER: 0
; COMPUTE_PGM_RSRC2:TGID_X_EN: 1
; COMPUTE_PGM_RSRC2:TGID_Y_EN: 1
; COMPUTE_PGM_RSRC2:TGID_Z_EN: 0
; COMPUTE_PGM_RSRC2:TIDIG_COMP_CNT: 1
	.section	.text._ZL10rope_multiILb0ELb0EfEvPKT1_PS0_iiiiiiiiiiPKifff14rope_corr_dimsfPKf14mrope_sectionsb,"axG",@progbits,_ZL10rope_multiILb0ELb0EfEvPKT1_PS0_iiiiiiiiiiPKifff14rope_corr_dimsfPKf14mrope_sectionsb,comdat
	.globl	_ZL10rope_multiILb0ELb0EfEvPKT1_PS0_iiiiiiiiiiPKifff14rope_corr_dimsfPKf14mrope_sectionsb ; -- Begin function _ZL10rope_multiILb0ELb0EfEvPKT1_PS0_iiiiiiiiiiPKifff14rope_corr_dimsfPKf14mrope_sectionsb
	.p2align	8
	.type	_ZL10rope_multiILb0ELb0EfEvPKT1_PS0_iiiiiiiiiiPKifff14rope_corr_dimsfPKf14mrope_sectionsb,@function
_ZL10rope_multiILb0ELb0EfEvPKT1_PS0_iiiiiiiiiiPKifff14rope_corr_dimsfPKf14mrope_sectionsb: ; @_ZL10rope_multiILb0ELb0EfEvPKT1_PS0_iiiiiiiiiiPKifff14rope_corr_dimsfPKf14mrope_sectionsb
; %bb.0:
	s_clause 0x1
	s_load_u16 s3, s[0:1], 0x86
	s_load_b256 s[4:11], s[0:1], 0x10
	s_bfe_u32 s2, ttmp6, 0x40010
	s_bfe_u32 s13, ttmp6, 0x40004
	s_add_co_i32 s2, s2, 1
	v_bfe_u32 v1, v0, 10, 10
	s_mul_i32 s12, ttmp7, s2
	s_getreg_b32 s2, hwreg(HW_REG_IB_STS2, 6, 4)
	s_add_co_i32 s13, s13, s12
	s_cmp_eq_u32 s2, 0
	s_cselect_b32 s12, ttmp7, s13
	s_wait_kmcnt 0x0
	s_mul_i32 s12, s12, s3
	s_mov_b32 s3, exec_lo
	v_add_lshl_u32 v4, s12, v1, 1
	s_delay_alu instid0(VALU_DEP_1)
	v_cmpx_gt_i32_e64 s4, v4
	s_cbranch_execz .LBB26_44
; %bb.1:
	s_add_nc_u64 s[12:13], s[0:1], 0x78
	s_bfe_u32 s4, ttmp6, 0x4000c
	s_load_b32 s3, s[12:13], 0xc
	s_add_co_i32 s4, s4, 1
	s_wait_xcnt 0x0
	s_and_b32 s12, ttmp6, 15
	s_mul_i32 s4, ttmp9, s4
	v_and_b32_e32 v0, 0x3ff, v0
	s_add_co_i32 s12, s12, s4
	s_wait_kmcnt 0x0
	s_and_b32 s3, s3, 0xffff
	s_cmp_eq_u32 s2, 0
	s_mul_i32 s2, s6, s5
	s_cselect_b32 s4, ttmp9, s12
	s_abs_i32 s12, s2
	v_mad_u32 v0, s4, s3, v0
	s_cvt_f32_u32 s13, s12
	s_sub_co_i32 s4, 0, s12
	s_delay_alu instid0(SALU_CYCLE_2) | instskip(SKIP_1) | instid1(TRANS32_DEP_1)
	v_rcp_iflag_f32_e32 v1, s13
	v_nop
	v_readfirstlane_b32 s3, v1
	s_delay_alu instid0(VALU_DEP_3) | instskip(SKIP_1) | instid1(VALU_DEP_1)
	v_sub_nc_u32_e32 v1, 0, v0
	s_mul_f32 s3, s3, 0x4f7ffffe
	v_max_i32_e32 v1, v0, v1
	s_delay_alu instid0(SALU_CYCLE_2) | instskip(NEXT) | instid1(SALU_CYCLE_3)
	s_cvt_u32_f32 s3, s3
	s_mul_i32 s4, s4, s3
	s_delay_alu instid0(SALU_CYCLE_1) | instskip(NEXT) | instid1(SALU_CYCLE_1)
	s_mul_hi_u32 s4, s3, s4
	s_add_co_i32 s3, s3, s4
	s_delay_alu instid0(SALU_CYCLE_1) | instskip(SKIP_1) | instid1(VALU_DEP_1)
	v_mul_hi_u32 v2, v1, s3
	s_cvt_f32_u32 s3, s5
	v_mul_lo_u32 v3, v2, s12
	s_delay_alu instid0(VALU_DEP_1) | instskip(NEXT) | instid1(VALU_DEP_1)
	v_dual_sub_nc_u32 v1, v1, v3 :: v_dual_add_nc_u32 v3, 1, v2
	v_cmp_le_u32_e32 vcc_lo, s12, v1
	s_delay_alu instid0(VALU_DEP_2) | instskip(SKIP_1) | instid1(VALU_DEP_1)
	v_dual_cndmask_b32 v2, v2, v3, vcc_lo :: v_dual_bitop2_b32 v3, s2, v0 bitop3:0x14
	v_subrev_nc_u32_e32 v5, s12, v1
	v_dual_cndmask_b32 v1, v1, v5, vcc_lo :: v_dual_add_nc_u32 v5, 1, v2
	s_delay_alu instid0(VALU_DEP_1) | instskip(NEXT) | instid1(VALU_DEP_4)
	v_cmp_le_u32_e32 vcc_lo, s12, v1
	v_ashrrev_i32_e32 v3, 31, v3
	s_load_b128 s[12:15], s[0:1], 0x0
	s_delay_alu instid0(VALU_DEP_3) | instskip(SKIP_1) | instid1(VALU_DEP_1)
	v_cndmask_b32_e32 v1, v2, v5, vcc_lo
	v_rcp_iflag_f32_e32 v2, s3
	v_xor_b32_e32 v1, v1, v3
	s_delay_alu instid0(TRANS32_DEP_1) | instskip(NEXT) | instid1(VALU_DEP_2)
	v_readfirstlane_b32 s3, v2
	v_sub_nc_u32_e32 v3, v1, v3
	s_delay_alu instid0(VALU_DEP_1) | instskip(SKIP_2) | instid1(SALU_CYCLE_2)
	v_mul_lo_u32 v1, s2, v3
	s_mul_f32 s2, s3, 0x4f7ffffe
	s_sub_co_i32 s3, 0, s5
	s_cvt_u32_f32 s2, s2
	s_delay_alu instid0(SALU_CYCLE_3) | instskip(NEXT) | instid1(VALU_DEP_1)
	s_mul_i32 s3, s3, s2
	v_sub_nc_u32_e32 v0, v0, v1
	s_mul_hi_u32 s3, s2, s3
	s_delay_alu instid0(SALU_CYCLE_1)
	s_add_co_i32 s2, s2, s3
	s_delay_alu instid0(VALU_DEP_1) | instid1(SALU_CYCLE_1)
	v_mul_hi_u32 v1, v0, s2
	s_load_b64 s[2:3], s[0:1], 0x30
	s_delay_alu instid0(VALU_DEP_1) | instskip(NEXT) | instid1(VALU_DEP_1)
	v_mul_lo_u32 v2, v1, s5
	v_dual_add_nc_u32 v5, 1, v1 :: v_dual_sub_nc_u32 v2, v0, v2
	s_delay_alu instid0(VALU_DEP_1) | instskip(SKIP_1) | instid1(VALU_DEP_2)
	v_subrev_nc_u32_e32 v6, s5, v2
	v_cmp_le_u32_e32 vcc_lo, s5, v2
	v_dual_cndmask_b32 v5, v1, v5 :: v_dual_cndmask_b32 v2, v2, v6
	s_delay_alu instid0(VALU_DEP_1) | instskip(NEXT) | instid1(VALU_DEP_2)
	v_dual_ashrrev_i32 v1, 1, v4 :: v_dual_add_nc_u32 v6, 1, v5
	v_cmp_le_u32_e32 vcc_lo, s5, v2
	s_wait_kmcnt 0x0
	s_delay_alu instid0(VALU_DEP_2) | instskip(SKIP_3) | instid1(VALU_DEP_1)
	v_mad_u32 v7, v3, s2, v1
	v_mad_u32 v8, v3, s9, v1
	s_mov_b32 s2, exec_lo
	v_cndmask_b32_e32 v3, v5, v6, vcc_lo
	v_mul_lo_u32 v2, v3, s5
	s_delay_alu instid0(VALU_DEP_4) | instskip(NEXT) | instid1(VALU_DEP_4)
	v_mad_u32 v5, v3, s11, v7
	v_mad_u32 v6, v3, s8, v8
	s_delay_alu instid0(VALU_DEP_3) | instskip(NEXT) | instid1(VALU_DEP_1)
	v_sub_nc_u32_e32 v2, v0, v2
	v_mad_u32 v0, v2, s10, v5
	s_delay_alu instid0(VALU_DEP_3)
	v_mad_u32 v2, v2, s7, v6
	v_cmpx_le_i32_e64 s3, v4
	s_xor_b32 s2, exec_lo, s2
	s_cbranch_execz .LBB26_3
; %bb.2:
	s_delay_alu instid0(VALU_DEP_2)
	v_dual_add_nc_u32 v2, v2, v1 :: v_dual_add_nc_u32 v0, v0, v1
                                        ; implicit-def: $vgpr4
	global_load_b32 v3, v2, s[12:13] scale_offset
	s_wait_loadcnt 0x0
	global_store_b32 v0, v3, s[14:15] scale_offset
	global_load_b32 v1, v2, s[12:13] offset:4 scale_offset
                                        ; implicit-def: $vgpr2
                                        ; implicit-def: $vgpr3
	s_wait_loadcnt 0x0
	global_store_b32 v0, v1, s[14:15] offset:4 scale_offset
                                        ; implicit-def: $vgpr0
                                        ; implicit-def: $vgpr1
.LBB26_3:
	s_wait_xcnt 0x0
	s_and_not1_saveexec_b32 s2, s2
	s_cbranch_execz .LBB26_44
; %bb.4:
	s_load_b128 s[16:19], s[0:1], 0x60
	v_ashrrev_i32_e32 v7, 31, v1
	s_wait_kmcnt 0x0
	s_add_co_i32 s2, s17, s16
	s_delay_alu instid0(SALU_CYCLE_1) | instskip(NEXT) | instid1(SALU_CYCLE_1)
	s_add_co_i32 s22, s2, s18
	s_add_co_i32 s4, s22, s19
	s_load_b32 s19, s[0:1], 0x70
	s_abs_i32 s7, s4
	s_delay_alu instid0(SALU_CYCLE_1) | instskip(SKIP_1) | instid1(SALU_CYCLE_2)
	s_cvt_f32_u32 s4, s7
	s_sub_co_i32 s5, 0, s7
	v_rcp_iflag_f32_e32 v5, s4
	v_nop
	s_delay_alu instid0(TRANS32_DEP_1) | instskip(SKIP_2) | instid1(VALU_DEP_1)
	v_readfirstlane_b32 s4, v5
	v_sub_nc_u32_e32 v5, 0, v1
	s_mul_f32 s4, s4, 0x4f7ffffe
	v_max_i32_e32 v5, v1, v5
	s_delay_alu instid0(SALU_CYCLE_2) | instskip(NEXT) | instid1(SALU_CYCLE_3)
	s_cvt_u32_f32 s4, s4
	s_mul_i32 s5, s5, s4
	s_delay_alu instid0(SALU_CYCLE_1) | instskip(NEXT) | instid1(SALU_CYCLE_1)
	s_mul_hi_u32 s5, s4, s5
	s_add_co_i32 s4, s4, s5
	s_delay_alu instid0(SALU_CYCLE_1)
	v_mul_hi_u32 v6, v5, s4
	s_clause 0x2
	s_load_b64 s[4:5], s[0:1], 0x50
	s_load_b64 s[20:21], s[0:1], 0x38
	s_load_b128 s[8:11], s[0:1], 0x40
	s_wait_kmcnt 0x0
	s_and_b32 s0, s19, 1
	s_delay_alu instid0(SALU_CYCLE_1) | instskip(NEXT) | instid1(VALU_DEP_1)
	s_cmp_eq_u32 s0, 0
	v_mul_lo_u32 v6, v6, s7
	s_delay_alu instid0(VALU_DEP_1) | instskip(NEXT) | instid1(VALU_DEP_1)
	v_sub_nc_u32_e32 v5, v5, v6
	v_subrev_nc_u32_e32 v6, s7, v5
	v_cmp_le_u32_e32 vcc_lo, s7, v5
	s_delay_alu instid0(VALU_DEP_2) | instskip(NEXT) | instid1(VALU_DEP_1)
	v_cndmask_b32_e32 v5, v5, v6, vcc_lo
	v_subrev_nc_u32_e32 v6, s7, v5
	v_cmp_le_u32_e32 vcc_lo, s7, v5
	s_delay_alu instid0(VALU_DEP_2) | instskip(NEXT) | instid1(VALU_DEP_1)
	v_cndmask_b32_e32 v5, v5, v6, vcc_lo
	v_xor_b32_e32 v5, v5, v7
	s_delay_alu instid0(VALU_DEP_1)
	v_sub_nc_u32_e32 v5, v5, v7
	s_cbranch_scc0 .LBB26_20
; %bb.5:
                                        ; implicit-def: $vgpr6
	s_mov_b32 s0, exec_lo
	s_delay_alu instid0(VALU_DEP_1)
	v_cmpx_le_i32_e64 s16, v5
	s_xor_b32 s7, exec_lo, s0
	s_cbranch_execz .LBB26_15
; %bb.6:
                                        ; implicit-def: $vgpr6
	s_mov_b32 s0, exec_lo
	v_cmpx_le_i32_e64 s2, v5
	s_xor_b32 s19, exec_lo, s0
	s_cbranch_execz .LBB26_12
; %bb.7:
	v_cvt_f32_i32_e32 v6, v4
	s_cmp_neq_f32 s5, 1.0
	s_mov_b32 s0, 0x3e76c4e1
	s_cselect_b32 vcc_lo, -1, 0
	s_delay_alu instid0(VALU_DEP_1) | instskip(NEXT) | instid1(VALU_DEP_1)
	v_mul_f32_e32 v6, 0.5, v6
	v_cndmask_b32_e32 v7, 1.0, v6, vcc_lo
	s_delay_alu instid0(VALU_DEP_1) | instskip(SKIP_1) | instid1(VALU_DEP_1)
	v_cmp_neq_f32_e32 vcc_lo, 0, v7
	v_cndmask_b32_e64 v6, 1.0, s5, vcc_lo
	v_frexp_mant_f32_e64 v8, |v6|
	v_cmp_lt_f32_e64 s24, |v6|, 1.0
	v_cmp_eq_f32_e64 s2, 0, v6
	s_delay_alu instid0(VALU_DEP_3) | instskip(SKIP_1) | instid1(VALU_DEP_1)
	v_cmp_gt_f32_e32 vcc_lo, 0x3f2aaaab, v8
	v_cndmask_b32_e64 v9, 1.0, 2.0, vcc_lo
	v_mul_f32_e32 v8, v8, v9
	s_delay_alu instid0(VALU_DEP_1) | instskip(SKIP_1) | instid1(VALU_DEP_2)
	v_dual_add_f32 v11, 1.0, v8 :: v_dual_add_f32 v9, -1.0, v8
	v_cmp_neq_f32_e64 s23, v7, |v7|
	v_rcp_f32_e32 v14, v11
	v_add_f32_e32 v12, -1.0, v11
	s_xor_b32 s23, s23, s24
	s_delay_alu instid0(TRANS32_DEP_1) | instid1(VALU_DEP_1)
	v_dual_sub_f32 v8, v8, v12 :: v_dual_mul_f32 v15, v9, v14
	s_delay_alu instid0(VALU_DEP_1) | instskip(NEXT) | instid1(VALU_DEP_1)
	v_mul_f32_e32 v10, v11, v15
	v_fma_f32 v12, v15, v11, -v10
	s_delay_alu instid0(VALU_DEP_1) | instskip(NEXT) | instid1(VALU_DEP_1)
	v_fmac_f32_e32 v12, v15, v8
	v_add_f32_e32 v8, v10, v12
	s_delay_alu instid0(VALU_DEP_1) | instskip(NEXT) | instid1(VALU_DEP_1)
	v_dual_sub_f32 v11, v9, v8 :: v_dual_mov_b32 v13, v8
	v_pk_add_f32 v[8:9], v[8:9], v[10:11] neg_lo:[0,1] neg_hi:[0,1]
	s_delay_alu instid0(VALU_DEP_1) | instskip(NEXT) | instid1(VALU_DEP_1)
	v_pk_add_f32 v[8:9], v[8:9], v[12:13] neg_lo:[0,1] neg_hi:[0,1]
	v_add_f32_e32 v8, v8, v9
	s_delay_alu instid0(VALU_DEP_1) | instskip(NEXT) | instid1(VALU_DEP_1)
	v_add_f32_e32 v8, v11, v8
	v_mul_f32_e32 v9, v14, v8
	s_delay_alu instid0(VALU_DEP_1) | instskip(NEXT) | instid1(VALU_DEP_1)
	v_add_f32_e32 v8, v15, v9
	v_sub_f32_e32 v10, v8, v15
	s_delay_alu instid0(VALU_DEP_1) | instskip(NEXT) | instid1(VALU_DEP_1)
	v_sub_f32_e32 v20, v9, v10
	v_add_f32_e32 v10, v20, v20
	v_mul_f32_e32 v11, v8, v8
	s_delay_alu instid0(VALU_DEP_1) | instskip(NEXT) | instid1(VALU_DEP_1)
	v_fma_f32 v9, v8, v8, -v11
	v_fmac_f32_e32 v9, v8, v10
	s_delay_alu instid0(VALU_DEP_1) | instskip(NEXT) | instid1(VALU_DEP_1)
	v_add_f32_e32 v10, v11, v9
	v_dual_fmaak_f32 v12, s0, v10, 0x3e91f4c4 :: v_dual_sub_f32 v11, v10, v11
	s_delay_alu instid0(VALU_DEP_1) | instskip(SKIP_1) | instid1(VALU_DEP_2)
	v_fmaak_f32 v14, v10, v12, 0x3ecccdef
	v_cvt_f64_f32_e64 v[12:13], |v6|
	v_dual_sub_f32 v18, v9, v11 :: v_dual_mul_f32 v15, v10, v14
	s_delay_alu instid0(VALU_DEP_1) | instskip(NEXT) | instid1(VALU_DEP_1)
	v_fma_f32 v9, v10, v14, -v15
	v_fmac_f32_e32 v9, v18, v14
	s_delay_alu instid0(VALU_DEP_1) | instskip(NEXT) | instid1(VALU_DEP_1)
	v_add_f32_e32 v11, v15, v9
	v_sub_f32_e32 v14, v11, v15
	v_add_f32_e32 v15, 0x3f2aaaaa, v11
	s_delay_alu instid0(VALU_DEP_1) | instskip(SKIP_1) | instid1(VALU_DEP_2)
	v_dual_sub_f32 v9, v9, v14 :: v_dual_add_f32 v14, 0xbf2aaaaa, v15
	v_frexp_exp_i32_f64_e32 v19, v[12:13]
	v_sub_f32_e32 v11, v11, v14
	s_delay_alu instid0(VALU_DEP_3) | instskip(NEXT) | instid1(VALU_DEP_1)
	v_add_f32_e32 v9, 0x31739010, v9
	v_pk_mul_f32 v[12:13], v[8:9], v[10:11]
	s_delay_alu instid0(VALU_DEP_1) | instskip(NEXT) | instid1(VALU_DEP_1)
	v_fma_f32 v14, v10, v8, -v12
	v_fmac_f32_e32 v14, v10, v20
	s_delay_alu instid0(VALU_DEP_1) | instskip(SKIP_1) | instid1(VALU_DEP_1)
	v_fmac_f32_e32 v14, v18, v8
	v_pk_add_f32 v[16:17], v[8:9], v[10:11]
	v_mov_b32_e32 v13, v17
	v_subrev_co_ci_u32_e64 v9, null, 0, v19, vcc_lo
	s_delay_alu instid0(VALU_DEP_2) | instskip(NEXT) | instid1(VALU_DEP_2)
	v_pk_add_f32 v[10:11], v[12:13], v[14:15]
	v_cvt_f32_i32_e32 v9, v9
	s_delay_alu instid0(VALU_DEP_2) | instskip(NEXT) | instid1(VALU_DEP_3)
	v_mov_b32_e32 v16, v11
	v_dual_sub_f32 v13, v15, v11 :: v_dual_sub_f32 v15, v10, v12
	s_delay_alu instid0(VALU_DEP_2) | instskip(NEXT) | instid1(VALU_DEP_2)
	v_pk_mul_f32 v[18:19], v[10:11], v[16:17]
	v_dual_add_f32 v13, v17, v13 :: v_dual_sub_f32 v14, v14, v15
	s_delay_alu instid0(VALU_DEP_2) | instskip(NEXT) | instid1(VALU_DEP_1)
	v_fma_f32 v12, v10, v11, -v18
	v_fmac_f32_e32 v12, v10, v13
	s_delay_alu instid0(VALU_DEP_1) | instskip(SKIP_2) | instid1(VALU_DEP_3)
	v_fmac_f32_e32 v12, v14, v11
	v_mul_f32_e32 v16, 0x3f317218, v9
	v_ldexp_f32 v11, v8, 1
	v_add_f32_e32 v17, v18, v12
	s_delay_alu instid0(VALU_DEP_3) | instskip(NEXT) | instid1(VALU_DEP_2)
	v_fma_f32 v10, 0x3f317218, v9, -v16
	v_dual_mov_b32 v19, v11 :: v_dual_mov_b32 v14, v17
	s_delay_alu instid0(VALU_DEP_2) | instskip(NEXT) | instid1(VALU_DEP_1)
	v_fmamk_f32 v10, v9, 0xb102e308, v10
	v_pk_add_f32 v[8:9], v[16:17], v[10:11]
	v_mov_b32_e32 v13, v17
	v_ldexp_f32 v11, v20, 1
	s_delay_alu instid0(VALU_DEP_3) | instskip(NEXT) | instid1(VALU_DEP_1)
	v_dual_mov_b32 v15, v9 :: v_dual_mov_b32 v22, v9
	v_pk_add_f32 v[14:15], v[14:15], v[18:19] neg_lo:[0,1] neg_hi:[0,1]
	s_delay_alu instid0(VALU_DEP_1) | instskip(NEXT) | instid1(VALU_DEP_1)
	v_pk_add_f32 v[12:13], v[12:13], v[14:15] neg_lo:[0,1] neg_hi:[0,1]
	v_add_f32_e32 v11, v11, v12
	s_delay_alu instid0(VALU_DEP_1) | instskip(NEXT) | instid1(VALU_DEP_1)
	v_dual_add_f32 v17, v11, v13 :: v_dual_mov_b32 v11, v8
	v_pk_add_f32 v[12:13], v[8:9], v[16:17]
	v_pk_add_f32 v[14:15], v[8:9], v[16:17] neg_lo:[0,1] neg_hi:[0,1]
	s_delay_alu instid0(VALU_DEP_2) | instskip(NEXT) | instid1(VALU_DEP_1)
	v_mov_b32_e32 v15, v13
	v_pk_add_f32 v[18:19], v[10:11], v[14:15]
	v_pk_add_f32 v[10:11], v[10:11], v[14:15] neg_lo:[0,1] neg_hi:[0,1]
	s_delay_alu instid0(VALU_DEP_2) | instskip(NEXT) | instid1(VALU_DEP_1)
	v_dual_mov_b32 v16, v19 :: v_dual_mov_b32 v11, v19
	v_pk_add_f32 v[20:21], v[16:17], v[8:9] neg_lo:[0,1] neg_hi:[0,1]
	v_dual_mov_b32 v18, v13 :: v_dual_mov_b32 v9, v8
	s_delay_alu instid0(VALU_DEP_2) | instskip(SKIP_1) | instid1(VALU_DEP_2)
	v_dual_mov_b32 v8, v17 :: v_dual_mov_b32 v23, v20
	v_mov_b32_e32 v17, v20
	v_pk_add_f32 v[14:15], v[18:19], v[22:23] neg_lo:[0,1] neg_hi:[0,1]
	s_delay_alu instid0(VALU_DEP_2) | instskip(SKIP_1) | instid1(VALU_DEP_3)
	v_pk_add_f32 v[12:13], v[12:13], v[16:17] neg_lo:[0,1] neg_hi:[0,1]
	v_mov_b32_e32 v12, v10
	v_pk_add_f32 v[8:9], v[8:9], v[14:15] neg_lo:[0,1] neg_hi:[0,1]
	s_delay_alu instid0(VALU_DEP_1) | instskip(NEXT) | instid1(VALU_DEP_1)
	v_pk_add_f32 v[12:13], v[12:13], v[8:9]
	v_mov_b32_e32 v14, v13
	s_delay_alu instid0(VALU_DEP_1) | instskip(NEXT) | instid1(VALU_DEP_1)
	v_pk_add_f32 v[14:15], v[12:13], v[14:15]
	v_pk_add_f32 v[16:17], v[16:17], v[14:15]
	s_delay_alu instid0(VALU_DEP_1) | instskip(NEXT) | instid1(VALU_DEP_1)
	v_dual_mov_b32 v9, v14 :: v_dual_mov_b32 v13, v16
	v_pk_add_f32 v[18:19], v[12:13], v[10:11] neg_lo:[0,1] neg_hi:[0,1]
	s_delay_alu instid0(VALU_DEP_1) | instskip(NEXT) | instid1(VALU_DEP_2)
	v_sub_f32_e32 v11, v12, v18
	v_pk_add_f32 v[8:9], v[8:9], v[18:19] neg_lo:[0,1] neg_hi:[0,1]
	s_delay_alu instid0(VALU_DEP_2) | instskip(NEXT) | instid1(VALU_DEP_1)
	v_sub_f32_e32 v10, v10, v11
	v_add_f32_e32 v8, v8, v10
	s_delay_alu instid0(VALU_DEP_1) | instskip(NEXT) | instid1(VALU_DEP_1)
	v_add_f32_e32 v8, v8, v9
	v_add_f32_e32 v9, v16, v8
	s_delay_alu instid0(VALU_DEP_1) | instskip(NEXT) | instid1(VALU_DEP_1)
	v_dual_sub_f32 v10, v9, v16 :: v_dual_mul_f32 v11, v7, v9
	v_dual_sub_f32 v8, v8, v10 :: v_dual_fma_f32 v9, v7, v9, -v11
	v_cmp_class_f32_e64 vcc_lo, v11, 0x204
	s_delay_alu instid0(VALU_DEP_2) | instskip(NEXT) | instid1(VALU_DEP_1)
	v_fmac_f32_e32 v9, v7, v8
	v_add_f32_e32 v8, v11, v9
	s_delay_alu instid0(VALU_DEP_1) | instskip(NEXT) | instid1(VALU_DEP_1)
	v_cndmask_b32_e32 v10, v8, v11, vcc_lo
	v_cmp_eq_f32_e32 vcc_lo, 0x42b17218, v10
	v_cndmask_b32_e64 v12, 0, 0x37000000, vcc_lo
	v_cmp_neq_f32_e64 vcc_lo, 0x7f800000, |v10|
	s_delay_alu instid0(VALU_DEP_2) | instskip(SKIP_1) | instid1(VALU_DEP_2)
	v_dual_sub_f32 v13, v10, v12 :: v_dual_sub_f32 v8, v8, v11
	v_trunc_f32_e32 v10, v7
	v_mul_f32_e32 v14, 0x3fb8aa3b, v13
	s_delay_alu instid0(VALU_DEP_3) | instskip(NEXT) | instid1(VALU_DEP_2)
	v_sub_f32_e32 v8, v9, v8
	v_fma_f32 v15, 0x3fb8aa3b, v13, -v14
	v_rndne_f32_e32 v16, v14
	s_delay_alu instid0(VALU_DEP_3) | instskip(SKIP_1) | instid1(VALU_DEP_3)
	v_cndmask_b32_e32 v8, 0, v8, vcc_lo
	v_cmp_ngt_f32_e32 vcc_lo, 0xc2ce8ed0, v13
	v_dual_fmamk_f32 v15, v13, 0x32a5705f, v15 :: v_dual_sub_f32 v14, v14, v16
	s_delay_alu instid0(VALU_DEP_1) | instskip(NEXT) | instid1(VALU_DEP_1)
	v_add_f32_e32 v14, v14, v15
	v_exp_f32_e32 v11, v14
	v_nop
	v_cvt_i32_f32_e32 v14, v16
	s_delay_alu instid0(TRANS32_DEP_1) | instid1(VALU_DEP_1)
	v_ldexp_f32 v9, v11, v14
	s_delay_alu instid0(VALU_DEP_1) | instskip(NEXT) | instid1(VALU_DEP_1)
	v_dual_mul_f32 v11, 0.5, v7 :: v_dual_cndmask_b32 v9, 0, v9, vcc_lo
	v_trunc_f32_e32 v14, v11
	v_cmp_nlt_f32_e32 vcc_lo, 0x42b17218, v13
	v_add_f32_e32 v8, v12, v8
	s_delay_alu instid0(VALU_DEP_3) | instskip(SKIP_2) | instid1(VALU_DEP_2)
	v_cmp_neq_f32_e64 s0, v14, v11
	v_cndmask_b32_e32 v9, 0x7f800000, v9, vcc_lo
	v_cmp_eq_f32_e32 vcc_lo, v10, v7
	v_cmp_class_f32_e64 s1, v9, 0x204
	s_and_b32 s0, vcc_lo, s0
	s_delay_alu instid0(SALU_CYCLE_1) | instskip(NEXT) | instid1(VALU_DEP_1)
	v_dual_fma_f32 v8, v9, v8, v9 :: v_dual_cndmask_b32 v10, 1.0, v6, s0
	v_cndmask_b32_e64 v8, v8, v9, s1
	v_cndmask_b32_e64 v9, 0x7f800000, 0, s23
	v_cmp_gt_f32_e64 s1, 0, v7
	s_delay_alu instid0(VALU_DEP_3) | instskip(SKIP_1) | instid1(SALU_CYCLE_1)
	v_bfi_b32 v8, 0x7fffffff, v8, v10
	s_xor_b32 s1, s1, s2
	v_cndmask_b32_e64 v11, 0x7f800000, 0, s1
	s_delay_alu instid0(VALU_DEP_2) | instskip(SKIP_3) | instid1(VALU_DEP_4)
	v_cndmask_b32_e32 v10, 0x7fc00000, v8, vcc_lo
	v_cmp_neq_f32_e64 vcc_lo, |v6|, 1.0
	v_cndmask_b32_e32 v9, 1.0, v9, vcc_lo
	v_cmp_gt_f32_e32 vcc_lo, 0, v6
	v_cndmask_b32_e32 v8, v8, v10, vcc_lo
	v_cmp_class_f32_e64 vcc_lo, v7, 0x204
	v_cndmask_b32_e64 v10, 0, v6, s0
	v_cmp_class_f32_e64 s0, v6, 0x204
	s_delay_alu instid0(VALU_DEP_4) | instskip(NEXT) | instid1(VALU_DEP_3)
	v_cndmask_b32_e32 v7, v8, v9, vcc_lo
	v_bfi_b32 v8, 0x7fffffff, v11, v10
	s_or_b32 vcc_lo, s2, s0
	v_cmp_o_f32_e64 s0, v6, v6
                                        ; implicit-def: $vgpr6
	s_delay_alu instid0(VALU_DEP_2) | instskip(NEXT) | instid1(VALU_DEP_1)
	v_cndmask_b32_e32 v7, v7, v8, vcc_lo
	v_cndmask_b32_e64 v7, 0x7fc00000, v7, s0
	s_mov_b32 s0, exec_lo
	v_cmpx_le_i32_e64 s22, v5
	s_xor_b32 s0, exec_lo, s0
	s_cbranch_execz .LBB26_9
; %bb.8:
	v_mad_u32 v6, s6, 3, v3
	global_load_b32 v6, v6, s[20:21] scale_offset
	s_wait_loadcnt 0x0
	v_cvt_f32_i32_e32 v6, v6
	s_delay_alu instid0(VALU_DEP_1)
	v_mul_f32_e32 v6, v7, v6
                                        ; implicit-def: $vgpr7
.LBB26_9:
	s_and_not1_saveexec_b32 s0, s0
	s_cbranch_execz .LBB26_11
; %bb.10:
	v_lshl_add_u32 v6, s6, 1, v3
	global_load_b32 v6, v6, s[20:21] scale_offset
	s_wait_loadcnt 0x0
	v_cvt_f32_i32_e32 v6, v6
	s_delay_alu instid0(VALU_DEP_1)
	v_mul_f32_e32 v6, v7, v6
.LBB26_11:
	s_or_b32 exec_lo, exec_lo, s0
.LBB26_12:
	s_and_not1_saveexec_b32 s19, s19
	s_cbranch_execz .LBB26_14
; %bb.13:
	v_cvt_f32_i32_e32 v6, v4
	s_cmp_neq_f32 s5, 1.0
	s_mov_b32 s0, 0x3e76c4e1
	s_cselect_b32 vcc_lo, -1, 0
	s_delay_alu instid0(VALU_DEP_1) | instskip(NEXT) | instid1(VALU_DEP_1)
	v_mul_f32_e32 v6, 0.5, v6
	v_cndmask_b32_e32 v7, 1.0, v6, vcc_lo
	s_delay_alu instid0(VALU_DEP_1) | instskip(SKIP_1) | instid1(VALU_DEP_1)
	v_cmp_neq_f32_e32 vcc_lo, 0, v7
	v_cndmask_b32_e64 v6, 1.0, s5, vcc_lo
	v_frexp_mant_f32_e64 v8, |v6|
	v_cmp_lt_f32_e64 s23, |v6|, 1.0
	v_cmp_eq_f32_e64 s2, 0, v6
	s_delay_alu instid0(VALU_DEP_3) | instskip(SKIP_1) | instid1(VALU_DEP_1)
	v_cmp_gt_f32_e32 vcc_lo, 0x3f2aaaab, v8
	v_cndmask_b32_e64 v9, 1.0, 2.0, vcc_lo
	v_mul_f32_e32 v8, v8, v9
	s_delay_alu instid0(VALU_DEP_1) | instskip(SKIP_1) | instid1(VALU_DEP_2)
	v_dual_add_f32 v11, 1.0, v8 :: v_dual_add_f32 v9, -1.0, v8
	v_cmp_neq_f32_e64 s22, v7, |v7|
	v_rcp_f32_e32 v14, v11
	v_add_f32_e32 v12, -1.0, v11
	s_xor_b32 s22, s22, s23
	s_delay_alu instid0(TRANS32_DEP_1) | instid1(VALU_DEP_1)
	v_dual_sub_f32 v8, v8, v12 :: v_dual_mul_f32 v15, v9, v14
	s_delay_alu instid0(VALU_DEP_1) | instskip(NEXT) | instid1(VALU_DEP_1)
	v_mul_f32_e32 v10, v11, v15
	v_fma_f32 v12, v15, v11, -v10
	s_delay_alu instid0(VALU_DEP_1) | instskip(NEXT) | instid1(VALU_DEP_1)
	v_fmac_f32_e32 v12, v15, v8
	v_add_f32_e32 v8, v10, v12
	s_delay_alu instid0(VALU_DEP_1) | instskip(NEXT) | instid1(VALU_DEP_1)
	v_dual_sub_f32 v11, v9, v8 :: v_dual_mov_b32 v13, v8
	v_pk_add_f32 v[8:9], v[8:9], v[10:11] neg_lo:[0,1] neg_hi:[0,1]
	s_delay_alu instid0(VALU_DEP_1) | instskip(NEXT) | instid1(VALU_DEP_1)
	v_pk_add_f32 v[8:9], v[8:9], v[12:13] neg_lo:[0,1] neg_hi:[0,1]
	v_add_f32_e32 v8, v8, v9
	s_delay_alu instid0(VALU_DEP_1) | instskip(NEXT) | instid1(VALU_DEP_1)
	v_add_f32_e32 v8, v11, v8
	v_mul_f32_e32 v9, v14, v8
	s_delay_alu instid0(VALU_DEP_1) | instskip(NEXT) | instid1(VALU_DEP_1)
	v_add_f32_e32 v8, v15, v9
	v_sub_f32_e32 v10, v8, v15
	s_delay_alu instid0(VALU_DEP_1) | instskip(NEXT) | instid1(VALU_DEP_1)
	v_sub_f32_e32 v20, v9, v10
	v_add_f32_e32 v10, v20, v20
	v_mul_f32_e32 v11, v8, v8
	s_delay_alu instid0(VALU_DEP_1) | instskip(NEXT) | instid1(VALU_DEP_1)
	v_fma_f32 v9, v8, v8, -v11
	v_fmac_f32_e32 v9, v8, v10
	s_delay_alu instid0(VALU_DEP_1) | instskip(NEXT) | instid1(VALU_DEP_1)
	v_add_f32_e32 v10, v11, v9
	v_dual_fmaak_f32 v12, s0, v10, 0x3e91f4c4 :: v_dual_sub_f32 v11, v10, v11
	s_delay_alu instid0(VALU_DEP_1) | instskip(NEXT) | instid1(VALU_DEP_2)
	v_fmaak_f32 v14, v10, v12, 0x3ecccdef
	v_sub_f32_e32 v18, v9, v11
	v_add_nc_u32_e32 v11, s6, v3
	v_cvt_f64_f32_e64 v[12:13], |v6|
	s_delay_alu instid0(VALU_DEP_4) | instskip(SKIP_2) | instid1(VALU_DEP_1)
	v_mul_f32_e32 v15, v10, v14
	global_load_b32 v24, v11, s[20:21] scale_offset
	v_fma_f32 v9, v10, v14, -v15
	v_fmac_f32_e32 v9, v18, v14
	s_wait_xcnt 0x0
	s_delay_alu instid0(VALU_DEP_1) | instskip(NEXT) | instid1(VALU_DEP_1)
	v_add_f32_e32 v11, v15, v9
	v_sub_f32_e32 v14, v11, v15
	v_add_f32_e32 v15, 0x3f2aaaaa, v11
	s_delay_alu instid0(VALU_DEP_1) | instskip(SKIP_1) | instid1(VALU_DEP_2)
	v_dual_sub_f32 v9, v9, v14 :: v_dual_add_f32 v14, 0xbf2aaaaa, v15
	v_frexp_exp_i32_f64_e32 v19, v[12:13]
	v_add_f32_e32 v9, 0x31739010, v9
	s_delay_alu instid0(VALU_DEP_3) | instskip(NEXT) | instid1(VALU_DEP_1)
	v_sub_f32_e32 v11, v11, v14
	v_pk_mul_f32 v[12:13], v[8:9], v[10:11]
	s_delay_alu instid0(VALU_DEP_1) | instskip(NEXT) | instid1(VALU_DEP_1)
	v_fma_f32 v14, v10, v8, -v12
	v_fmac_f32_e32 v14, v10, v20
	s_delay_alu instid0(VALU_DEP_1) | instskip(SKIP_1) | instid1(VALU_DEP_1)
	v_fmac_f32_e32 v14, v18, v8
	v_pk_add_f32 v[16:17], v[8:9], v[10:11]
	v_mov_b32_e32 v13, v17
	v_subrev_co_ci_u32_e64 v9, null, 0, v19, vcc_lo
	s_delay_alu instid0(VALU_DEP_2) | instskip(NEXT) | instid1(VALU_DEP_2)
	v_pk_add_f32 v[10:11], v[12:13], v[14:15]
	v_cvt_f32_i32_e32 v9, v9
	s_delay_alu instid0(VALU_DEP_2) | instskip(NEXT) | instid1(VALU_DEP_3)
	v_mov_b32_e32 v16, v11
	v_dual_sub_f32 v13, v15, v11 :: v_dual_sub_f32 v15, v10, v12
	s_delay_alu instid0(VALU_DEP_2) | instskip(NEXT) | instid1(VALU_DEP_2)
	v_pk_mul_f32 v[18:19], v[10:11], v[16:17]
	v_sub_f32_e32 v14, v14, v15
	s_delay_alu instid0(VALU_DEP_2) | instskip(NEXT) | instid1(VALU_DEP_1)
	v_dual_fma_f32 v12, v10, v11, -v18 :: v_dual_add_f32 v13, v17, v13
	v_fmac_f32_e32 v12, v10, v13
	s_delay_alu instid0(VALU_DEP_1) | instskip(SKIP_2) | instid1(VALU_DEP_3)
	v_fmac_f32_e32 v12, v14, v11
	v_mul_f32_e32 v16, 0x3f317218, v9
	v_ldexp_f32 v11, v8, 1
	v_add_f32_e32 v17, v18, v12
	s_delay_alu instid0(VALU_DEP_3) | instskip(NEXT) | instid1(VALU_DEP_2)
	v_fma_f32 v10, 0x3f317218, v9, -v16
	v_dual_mov_b32 v19, v11 :: v_dual_mov_b32 v14, v17
	s_delay_alu instid0(VALU_DEP_2) | instskip(NEXT) | instid1(VALU_DEP_1)
	v_fmamk_f32 v10, v9, 0xb102e308, v10
	v_pk_add_f32 v[8:9], v[16:17], v[10:11]
	v_ldexp_f32 v11, v20, 1
	s_delay_alu instid0(VALU_DEP_2) | instskip(NEXT) | instid1(VALU_DEP_1)
	v_dual_mov_b32 v13, v17 :: v_dual_mov_b32 v15, v9
	v_pk_add_f32 v[14:15], v[14:15], v[18:19] neg_lo:[0,1] neg_hi:[0,1]
	s_delay_alu instid0(VALU_DEP_1) | instskip(NEXT) | instid1(VALU_DEP_1)
	v_pk_add_f32 v[12:13], v[12:13], v[14:15] neg_lo:[0,1] neg_hi:[0,1]
	v_add_f32_e32 v11, v11, v12
	s_delay_alu instid0(VALU_DEP_1) | instskip(NEXT) | instid1(VALU_DEP_1)
	v_dual_add_f32 v17, v11, v13 :: v_dual_mov_b32 v11, v8
	v_pk_add_f32 v[12:13], v[8:9], v[16:17]
	v_pk_add_f32 v[14:15], v[8:9], v[16:17] neg_lo:[0,1] neg_hi:[0,1]
	s_delay_alu instid0(VALU_DEP_2) | instskip(NEXT) | instid1(VALU_DEP_1)
	v_dual_mov_b32 v22, v9 :: v_dual_mov_b32 v15, v13
	v_pk_add_f32 v[18:19], v[10:11], v[14:15]
	s_delay_alu instid0(VALU_DEP_1) | instskip(SKIP_1) | instid1(VALU_DEP_2)
	v_dual_mov_b32 v18, v13 :: v_dual_mov_b32 v16, v19
	v_pk_add_f32 v[10:11], v[10:11], v[14:15] neg_lo:[0,1] neg_hi:[0,1]
	v_pk_add_f32 v[20:21], v[16:17], v[8:9] neg_lo:[0,1] neg_hi:[0,1]
	v_dual_mov_b32 v9, v8 :: v_dual_mov_b32 v8, v17
	s_delay_alu instid0(VALU_DEP_2) | instskip(NEXT) | instid1(VALU_DEP_1)
	v_dual_mov_b32 v17, v20 :: v_dual_mov_b32 v23, v20
	v_pk_add_f32 v[12:13], v[12:13], v[16:17] neg_lo:[0,1] neg_hi:[0,1]
	s_delay_alu instid0(VALU_DEP_2) | instskip(SKIP_1) | instid1(VALU_DEP_2)
	v_pk_add_f32 v[14:15], v[18:19], v[22:23] neg_lo:[0,1] neg_hi:[0,1]
	v_mov_b32_e32 v12, v10
	v_pk_add_f32 v[8:9], v[8:9], v[14:15] neg_lo:[0,1] neg_hi:[0,1]
	s_delay_alu instid0(VALU_DEP_1) | instskip(NEXT) | instid1(VALU_DEP_1)
	v_pk_add_f32 v[12:13], v[12:13], v[8:9]
	v_mov_b32_e32 v14, v13
	s_delay_alu instid0(VALU_DEP_1) | instskip(NEXT) | instid1(VALU_DEP_1)
	v_pk_add_f32 v[14:15], v[12:13], v[14:15]
	v_pk_add_f32 v[16:17], v[16:17], v[14:15]
	s_delay_alu instid0(VALU_DEP_1) | instskip(NEXT) | instid1(VALU_DEP_1)
	v_dual_mov_b32 v11, v19 :: v_dual_mov_b32 v13, v16
	v_pk_add_f32 v[18:19], v[12:13], v[10:11] neg_lo:[0,1] neg_hi:[0,1]
	s_delay_alu instid0(VALU_DEP_1) | instskip(NEXT) | instid1(VALU_DEP_1)
	v_dual_mov_b32 v9, v14 :: v_dual_sub_f32 v11, v12, v18
	v_pk_add_f32 v[8:9], v[8:9], v[18:19] neg_lo:[0,1] neg_hi:[0,1]
	s_delay_alu instid0(VALU_DEP_2) | instskip(NEXT) | instid1(VALU_DEP_1)
	v_sub_f32_e32 v10, v10, v11
	v_add_f32_e32 v8, v8, v10
	s_delay_alu instid0(VALU_DEP_1) | instskip(NEXT) | instid1(VALU_DEP_1)
	v_add_f32_e32 v8, v8, v9
	v_add_f32_e32 v9, v16, v8
	s_delay_alu instid0(VALU_DEP_1) | instskip(NEXT) | instid1(VALU_DEP_1)
	v_dual_sub_f32 v10, v9, v16 :: v_dual_mul_f32 v11, v7, v9
	v_sub_f32_e32 v8, v8, v10
	s_delay_alu instid0(VALU_DEP_2) | instskip(SKIP_1) | instid1(VALU_DEP_1)
	v_cmp_class_f32_e64 vcc_lo, v11, 0x204
	v_fma_f32 v9, v7, v9, -v11
	v_fmac_f32_e32 v9, v7, v8
	s_delay_alu instid0(VALU_DEP_1) | instskip(NEXT) | instid1(VALU_DEP_1)
	v_add_f32_e32 v8, v11, v9
	v_cndmask_b32_e32 v10, v8, v11, vcc_lo
	s_delay_alu instid0(VALU_DEP_1) | instskip(SKIP_2) | instid1(VALU_DEP_2)
	v_cmp_eq_f32_e32 vcc_lo, 0x42b17218, v10
	v_cndmask_b32_e64 v12, 0, 0x37000000, vcc_lo
	v_cmp_neq_f32_e64 vcc_lo, 0x7f800000, |v10|
	v_dual_sub_f32 v13, v10, v12 :: v_dual_sub_f32 v8, v8, v11
	v_trunc_f32_e32 v10, v7
	s_delay_alu instid0(VALU_DEP_2) | instskip(NEXT) | instid1(VALU_DEP_1)
	v_mul_f32_e32 v14, 0x3fb8aa3b, v13
	v_fma_f32 v15, 0x3fb8aa3b, v13, -v14
	v_rndne_f32_e32 v16, v14
	s_delay_alu instid0(VALU_DEP_1) | instskip(NEXT) | instid1(VALU_DEP_1)
	v_dual_fmamk_f32 v15, v13, 0x32a5705f, v15 :: v_dual_sub_f32 v14, v14, v16
	v_dual_add_f32 v14, v14, v15 :: v_dual_sub_f32 v8, v9, v8
	s_delay_alu instid0(VALU_DEP_1)
	v_exp_f32_e32 v11, v14
	v_nop
	v_cvt_i32_f32_e32 v14, v16
	s_delay_alu instid0(TRANS32_DEP_1) | instid1(VALU_DEP_1)
	v_ldexp_f32 v9, v11, v14
	v_dual_mul_f32 v11, 0.5, v7 :: v_dual_cndmask_b32 v8, 0, v8
	v_cmp_ngt_f32_e32 vcc_lo, 0xc2ce8ed0, v13
	s_delay_alu instid0(VALU_DEP_2) | instskip(NEXT) | instid1(VALU_DEP_4)
	v_trunc_f32_e32 v14, v11
	v_cndmask_b32_e32 v9, 0, v9, vcc_lo
	v_cmp_nlt_f32_e32 vcc_lo, 0x42b17218, v13
	s_delay_alu instid0(VALU_DEP_3) | instskip(NEXT) | instid1(VALU_DEP_3)
	v_cmp_neq_f32_e64 s0, v14, v11
	v_cndmask_b32_e32 v9, 0x7f800000, v9, vcc_lo
	v_cmp_eq_f32_e32 vcc_lo, v10, v7
	s_delay_alu instid0(VALU_DEP_2) | instskip(SKIP_1) | instid1(SALU_CYCLE_1)
	v_cmp_class_f32_e64 s1, v9, 0x204
	s_and_b32 s0, vcc_lo, s0
	v_dual_cndmask_b32 v10, 1.0, v6, s0 :: v_dual_add_f32 v8, v12, v8
	s_delay_alu instid0(VALU_DEP_1) | instskip(NEXT) | instid1(VALU_DEP_1)
	v_fma_f32 v8, v9, v8, v9
	v_cndmask_b32_e64 v8, v8, v9, s1
	v_cndmask_b32_e64 v9, 0x7f800000, 0, s22
	v_cmp_gt_f32_e64 s1, 0, v7
	s_delay_alu instid0(VALU_DEP_3) | instskip(SKIP_1) | instid1(SALU_CYCLE_1)
	v_bfi_b32 v8, 0x7fffffff, v8, v10
	s_xor_b32 s1, s1, s2
	v_cndmask_b32_e64 v11, 0x7f800000, 0, s1
	s_delay_alu instid0(VALU_DEP_2) | instskip(SKIP_3) | instid1(VALU_DEP_4)
	v_cndmask_b32_e32 v10, 0x7fc00000, v8, vcc_lo
	v_cmp_neq_f32_e64 vcc_lo, |v6|, 1.0
	v_cndmask_b32_e32 v9, 1.0, v9, vcc_lo
	v_cmp_gt_f32_e32 vcc_lo, 0, v6
	v_cndmask_b32_e32 v8, v8, v10, vcc_lo
	v_cndmask_b32_e64 v10, 0, v6, s0
	v_cmp_class_f32_e64 vcc_lo, v7, 0x204
	v_cmp_class_f32_e64 s0, v6, 0x204
	s_delay_alu instid0(VALU_DEP_4) | instskip(NEXT) | instid1(VALU_DEP_4)
	v_cndmask_b32_e32 v7, v8, v9, vcc_lo
	v_bfi_b32 v8, 0x7fffffff, v11, v10
	s_or_b32 vcc_lo, s2, s0
	s_delay_alu instid0(VALU_DEP_1) | instskip(SKIP_3) | instid1(VALU_DEP_3)
	v_cndmask_b32_e32 v7, v7, v8, vcc_lo
	v_cmp_o_f32_e32 vcc_lo, v6, v6
	s_wait_loadcnt 0x0
	v_cvt_f32_i32_e32 v8, v24
	v_cndmask_b32_e32 v6, 0x7fc00000, v7, vcc_lo
	s_delay_alu instid0(VALU_DEP_1)
	v_mul_f32_e32 v6, v6, v8
.LBB26_14:
	s_or_b32 exec_lo, exec_lo, s19
.LBB26_15:
	s_and_not1_saveexec_b32 s7, s7
	s_cbranch_execz .LBB26_17
; %bb.16:
	v_cvt_f32_i32_e32 v6, v4
	s_cmp_neq_f32 s5, 1.0
	s_mov_b32 s0, 0x3e76c4e1
	global_load_b32 v24, v3, s[20:21] scale_offset
	s_cselect_b32 vcc_lo, -1, 0
	v_mul_f32_e32 v6, 0.5, v6
	s_delay_alu instid0(VALU_DEP_1) | instskip(NEXT) | instid1(VALU_DEP_1)
	v_cndmask_b32_e32 v7, 1.0, v6, vcc_lo
	v_cmp_neq_f32_e32 vcc_lo, 0, v7
	v_cndmask_b32_e64 v6, 1.0, s5, vcc_lo
	s_delay_alu instid0(VALU_DEP_1) | instskip(SKIP_2) | instid1(VALU_DEP_3)
	v_frexp_mant_f32_e64 v8, |v6|
	v_cmp_lt_f32_e64 s22, |v6|, 1.0
	v_cmp_eq_f32_e64 s2, 0, v6
	v_cmp_gt_f32_e32 vcc_lo, 0x3f2aaaab, v8
	v_cndmask_b32_e64 v9, 1.0, 2.0, vcc_lo
	s_delay_alu instid0(VALU_DEP_1) | instskip(NEXT) | instid1(VALU_DEP_1)
	v_mul_f32_e32 v8, v8, v9
	v_dual_add_f32 v11, 1.0, v8 :: v_dual_add_f32 v9, -1.0, v8
	v_cmp_neq_f32_e64 s19, v7, |v7|
	s_delay_alu instid0(VALU_DEP_2)
	v_rcp_f32_e32 v14, v11
	v_add_f32_e32 v12, -1.0, v11
	s_xor_b32 s19, s19, s22
	s_delay_alu instid0(TRANS32_DEP_1) | instid1(VALU_DEP_1)
	v_dual_sub_f32 v8, v8, v12 :: v_dual_mul_f32 v15, v9, v14
	s_delay_alu instid0(VALU_DEP_1) | instskip(NEXT) | instid1(VALU_DEP_1)
	v_mul_f32_e32 v10, v11, v15
	v_fma_f32 v12, v15, v11, -v10
	s_delay_alu instid0(VALU_DEP_1) | instskip(NEXT) | instid1(VALU_DEP_1)
	v_fmac_f32_e32 v12, v15, v8
	v_add_f32_e32 v8, v10, v12
	s_delay_alu instid0(VALU_DEP_1) | instskip(NEXT) | instid1(VALU_DEP_1)
	v_dual_sub_f32 v11, v9, v8 :: v_dual_mov_b32 v13, v8
	v_pk_add_f32 v[8:9], v[8:9], v[10:11] neg_lo:[0,1] neg_hi:[0,1]
	s_delay_alu instid0(VALU_DEP_1) | instskip(NEXT) | instid1(VALU_DEP_1)
	v_pk_add_f32 v[8:9], v[8:9], v[12:13] neg_lo:[0,1] neg_hi:[0,1]
	v_add_f32_e32 v8, v8, v9
	s_delay_alu instid0(VALU_DEP_1) | instskip(NEXT) | instid1(VALU_DEP_1)
	v_add_f32_e32 v8, v11, v8
	v_mul_f32_e32 v9, v14, v8
	s_delay_alu instid0(VALU_DEP_1) | instskip(NEXT) | instid1(VALU_DEP_1)
	v_add_f32_e32 v8, v15, v9
	v_sub_f32_e32 v10, v8, v15
	s_delay_alu instid0(VALU_DEP_1) | instskip(NEXT) | instid1(VALU_DEP_1)
	v_sub_f32_e32 v20, v9, v10
	v_add_f32_e32 v10, v20, v20
	v_mul_f32_e32 v11, v8, v8
	s_delay_alu instid0(VALU_DEP_1) | instskip(NEXT) | instid1(VALU_DEP_1)
	v_fma_f32 v9, v8, v8, -v11
	v_fmac_f32_e32 v9, v8, v10
	s_delay_alu instid0(VALU_DEP_1) | instskip(NEXT) | instid1(VALU_DEP_1)
	v_add_f32_e32 v10, v11, v9
	v_dual_fmaak_f32 v12, s0, v10, 0x3e91f4c4 :: v_dual_sub_f32 v11, v10, v11
	s_delay_alu instid0(VALU_DEP_1) | instskip(SKIP_1) | instid1(VALU_DEP_2)
	v_fmaak_f32 v14, v10, v12, 0x3ecccdef
	v_cvt_f64_f32_e64 v[12:13], |v6|
	v_dual_sub_f32 v18, v9, v11 :: v_dual_mul_f32 v15, v10, v14
	s_delay_alu instid0(VALU_DEP_1) | instskip(NEXT) | instid1(VALU_DEP_1)
	v_fma_f32 v9, v10, v14, -v15
	v_fmac_f32_e32 v9, v18, v14
	s_delay_alu instid0(VALU_DEP_1) | instskip(NEXT) | instid1(VALU_DEP_1)
	v_add_f32_e32 v11, v15, v9
	v_sub_f32_e32 v14, v11, v15
	v_add_f32_e32 v15, 0x3f2aaaaa, v11
	s_delay_alu instid0(VALU_DEP_1) | instskip(SKIP_1) | instid1(VALU_DEP_2)
	v_dual_sub_f32 v9, v9, v14 :: v_dual_add_f32 v14, 0xbf2aaaaa, v15
	v_frexp_exp_i32_f64_e32 v19, v[12:13]
	v_sub_f32_e32 v11, v11, v14
	s_delay_alu instid0(VALU_DEP_3) | instskip(NEXT) | instid1(VALU_DEP_1)
	v_add_f32_e32 v9, 0x31739010, v9
	v_pk_mul_f32 v[12:13], v[8:9], v[10:11]
	s_delay_alu instid0(VALU_DEP_1) | instskip(NEXT) | instid1(VALU_DEP_1)
	v_fma_f32 v14, v10, v8, -v12
	v_fmac_f32_e32 v14, v10, v20
	s_delay_alu instid0(VALU_DEP_1) | instskip(SKIP_1) | instid1(VALU_DEP_1)
	v_fmac_f32_e32 v14, v18, v8
	v_pk_add_f32 v[16:17], v[8:9], v[10:11]
	v_mov_b32_e32 v13, v17
	v_subrev_co_ci_u32_e64 v9, null, 0, v19, vcc_lo
	s_delay_alu instid0(VALU_DEP_2) | instskip(NEXT) | instid1(VALU_DEP_2)
	v_pk_add_f32 v[10:11], v[12:13], v[14:15]
	v_cvt_f32_i32_e32 v9, v9
	s_delay_alu instid0(VALU_DEP_2) | instskip(NEXT) | instid1(VALU_DEP_3)
	v_mov_b32_e32 v16, v11
	v_dual_sub_f32 v13, v15, v11 :: v_dual_sub_f32 v15, v10, v12
	s_delay_alu instid0(VALU_DEP_2) | instskip(NEXT) | instid1(VALU_DEP_2)
	v_pk_mul_f32 v[18:19], v[10:11], v[16:17]
	v_dual_add_f32 v13, v17, v13 :: v_dual_sub_f32 v14, v14, v15
	s_delay_alu instid0(VALU_DEP_2) | instskip(NEXT) | instid1(VALU_DEP_1)
	v_fma_f32 v12, v10, v11, -v18
	v_fmac_f32_e32 v12, v10, v13
	s_delay_alu instid0(VALU_DEP_1) | instskip(SKIP_2) | instid1(VALU_DEP_3)
	v_fmac_f32_e32 v12, v14, v11
	v_mul_f32_e32 v16, 0x3f317218, v9
	v_ldexp_f32 v11, v8, 1
	v_add_f32_e32 v17, v18, v12
	s_delay_alu instid0(VALU_DEP_3) | instskip(NEXT) | instid1(VALU_DEP_2)
	v_fma_f32 v10, 0x3f317218, v9, -v16
	v_dual_mov_b32 v19, v11 :: v_dual_mov_b32 v14, v17
	s_delay_alu instid0(VALU_DEP_2) | instskip(NEXT) | instid1(VALU_DEP_1)
	v_fmamk_f32 v10, v9, 0xb102e308, v10
	v_pk_add_f32 v[8:9], v[16:17], v[10:11]
	v_mov_b32_e32 v13, v17
	v_ldexp_f32 v11, v20, 1
	s_delay_alu instid0(VALU_DEP_3) | instskip(NEXT) | instid1(VALU_DEP_1)
	v_dual_mov_b32 v15, v9 :: v_dual_mov_b32 v22, v9
	v_pk_add_f32 v[14:15], v[14:15], v[18:19] neg_lo:[0,1] neg_hi:[0,1]
	s_delay_alu instid0(VALU_DEP_1) | instskip(NEXT) | instid1(VALU_DEP_1)
	v_pk_add_f32 v[12:13], v[12:13], v[14:15] neg_lo:[0,1] neg_hi:[0,1]
	v_add_f32_e32 v11, v11, v12
	s_delay_alu instid0(VALU_DEP_1) | instskip(NEXT) | instid1(VALU_DEP_1)
	v_dual_add_f32 v17, v11, v13 :: v_dual_mov_b32 v11, v8
	v_pk_add_f32 v[12:13], v[8:9], v[16:17]
	v_pk_add_f32 v[14:15], v[8:9], v[16:17] neg_lo:[0,1] neg_hi:[0,1]
	s_delay_alu instid0(VALU_DEP_2) | instskip(NEXT) | instid1(VALU_DEP_1)
	v_mov_b32_e32 v15, v13
	v_pk_add_f32 v[18:19], v[10:11], v[14:15]
	v_pk_add_f32 v[10:11], v[10:11], v[14:15] neg_lo:[0,1] neg_hi:[0,1]
	s_delay_alu instid0(VALU_DEP_2) | instskip(NEXT) | instid1(VALU_DEP_1)
	v_dual_mov_b32 v16, v19 :: v_dual_mov_b32 v11, v19
	v_pk_add_f32 v[20:21], v[16:17], v[8:9] neg_lo:[0,1] neg_hi:[0,1]
	v_dual_mov_b32 v18, v13 :: v_dual_mov_b32 v9, v8
	s_delay_alu instid0(VALU_DEP_2) | instskip(SKIP_1) | instid1(VALU_DEP_2)
	v_dual_mov_b32 v8, v17 :: v_dual_mov_b32 v23, v20
	v_mov_b32_e32 v17, v20
	v_pk_add_f32 v[14:15], v[18:19], v[22:23] neg_lo:[0,1] neg_hi:[0,1]
	s_delay_alu instid0(VALU_DEP_2) | instskip(SKIP_1) | instid1(VALU_DEP_3)
	v_pk_add_f32 v[12:13], v[12:13], v[16:17] neg_lo:[0,1] neg_hi:[0,1]
	v_mov_b32_e32 v12, v10
	v_pk_add_f32 v[8:9], v[8:9], v[14:15] neg_lo:[0,1] neg_hi:[0,1]
	s_delay_alu instid0(VALU_DEP_1) | instskip(NEXT) | instid1(VALU_DEP_1)
	v_pk_add_f32 v[12:13], v[12:13], v[8:9]
	v_mov_b32_e32 v14, v13
	s_delay_alu instid0(VALU_DEP_1) | instskip(NEXT) | instid1(VALU_DEP_1)
	v_pk_add_f32 v[14:15], v[12:13], v[14:15]
	v_pk_add_f32 v[16:17], v[16:17], v[14:15]
	s_delay_alu instid0(VALU_DEP_1) | instskip(NEXT) | instid1(VALU_DEP_1)
	v_dual_mov_b32 v9, v14 :: v_dual_mov_b32 v13, v16
	v_pk_add_f32 v[18:19], v[12:13], v[10:11] neg_lo:[0,1] neg_hi:[0,1]
	s_delay_alu instid0(VALU_DEP_1) | instskip(NEXT) | instid1(VALU_DEP_2)
	v_sub_f32_e32 v11, v12, v18
	v_pk_add_f32 v[8:9], v[8:9], v[18:19] neg_lo:[0,1] neg_hi:[0,1]
	s_delay_alu instid0(VALU_DEP_2) | instskip(NEXT) | instid1(VALU_DEP_1)
	v_sub_f32_e32 v10, v10, v11
	v_add_f32_e32 v8, v8, v10
	s_delay_alu instid0(VALU_DEP_1) | instskip(NEXT) | instid1(VALU_DEP_1)
	v_add_f32_e32 v8, v8, v9
	v_add_f32_e32 v9, v16, v8
	s_delay_alu instid0(VALU_DEP_1) | instskip(NEXT) | instid1(VALU_DEP_1)
	v_dual_sub_f32 v10, v9, v16 :: v_dual_mul_f32 v11, v7, v9
	v_dual_sub_f32 v8, v8, v10 :: v_dual_fma_f32 v9, v7, v9, -v11
	v_cmp_class_f32_e64 vcc_lo, v11, 0x204
	s_delay_alu instid0(VALU_DEP_2) | instskip(NEXT) | instid1(VALU_DEP_1)
	v_fmac_f32_e32 v9, v7, v8
	v_add_f32_e32 v8, v11, v9
	s_delay_alu instid0(VALU_DEP_1) | instskip(NEXT) | instid1(VALU_DEP_1)
	v_cndmask_b32_e32 v10, v8, v11, vcc_lo
	v_cmp_eq_f32_e32 vcc_lo, 0x42b17218, v10
	v_cndmask_b32_e64 v12, 0, 0x37000000, vcc_lo
	v_cmp_neq_f32_e64 vcc_lo, 0x7f800000, |v10|
	s_delay_alu instid0(VALU_DEP_2) | instskip(SKIP_1) | instid1(VALU_DEP_2)
	v_dual_sub_f32 v13, v10, v12 :: v_dual_sub_f32 v8, v8, v11
	v_trunc_f32_e32 v10, v7
	v_mul_f32_e32 v14, 0x3fb8aa3b, v13
	s_delay_alu instid0(VALU_DEP_3) | instskip(NEXT) | instid1(VALU_DEP_2)
	v_sub_f32_e32 v8, v9, v8
	v_fma_f32 v15, 0x3fb8aa3b, v13, -v14
	v_rndne_f32_e32 v16, v14
	s_delay_alu instid0(VALU_DEP_3) | instskip(SKIP_1) | instid1(VALU_DEP_3)
	v_cndmask_b32_e32 v8, 0, v8, vcc_lo
	v_cmp_ngt_f32_e32 vcc_lo, 0xc2ce8ed0, v13
	v_dual_fmamk_f32 v15, v13, 0x32a5705f, v15 :: v_dual_sub_f32 v14, v14, v16
	s_delay_alu instid0(VALU_DEP_1) | instskip(NEXT) | instid1(VALU_DEP_1)
	v_add_f32_e32 v14, v14, v15
	v_exp_f32_e32 v11, v14
	v_nop
	v_cvt_i32_f32_e32 v14, v16
	s_delay_alu instid0(TRANS32_DEP_1) | instid1(VALU_DEP_1)
	v_ldexp_f32 v9, v11, v14
	s_delay_alu instid0(VALU_DEP_1) | instskip(NEXT) | instid1(VALU_DEP_1)
	v_dual_mul_f32 v11, 0.5, v7 :: v_dual_cndmask_b32 v9, 0, v9, vcc_lo
	v_trunc_f32_e32 v14, v11
	v_cmp_nlt_f32_e32 vcc_lo, 0x42b17218, v13
	v_add_f32_e32 v8, v12, v8
	s_delay_alu instid0(VALU_DEP_3) | instskip(SKIP_2) | instid1(VALU_DEP_2)
	v_cmp_neq_f32_e64 s0, v14, v11
	v_cndmask_b32_e32 v9, 0x7f800000, v9, vcc_lo
	v_cmp_eq_f32_e32 vcc_lo, v10, v7
	v_cmp_class_f32_e64 s1, v9, 0x204
	s_and_b32 s0, vcc_lo, s0
	s_delay_alu instid0(SALU_CYCLE_1) | instskip(NEXT) | instid1(VALU_DEP_1)
	v_dual_fma_f32 v8, v9, v8, v9 :: v_dual_cndmask_b32 v10, 1.0, v6, s0
	v_cndmask_b32_e64 v8, v8, v9, s1
	v_cndmask_b32_e64 v9, 0x7f800000, 0, s19
	v_cmp_gt_f32_e64 s1, 0, v7
	s_delay_alu instid0(VALU_DEP_3) | instskip(SKIP_1) | instid1(SALU_CYCLE_1)
	v_bfi_b32 v8, 0x7fffffff, v8, v10
	s_xor_b32 s1, s1, s2
	v_cndmask_b32_e64 v11, 0x7f800000, 0, s1
	s_delay_alu instid0(VALU_DEP_2) | instskip(SKIP_3) | instid1(VALU_DEP_4)
	v_cndmask_b32_e32 v10, 0x7fc00000, v8, vcc_lo
	v_cmp_neq_f32_e64 vcc_lo, |v6|, 1.0
	v_cndmask_b32_e32 v9, 1.0, v9, vcc_lo
	v_cmp_gt_f32_e32 vcc_lo, 0, v6
	v_cndmask_b32_e32 v8, v8, v10, vcc_lo
	v_cmp_class_f32_e64 vcc_lo, v7, 0x204
	v_cndmask_b32_e64 v10, 0, v6, s0
	v_cmp_class_f32_e64 s0, v6, 0x204
	s_delay_alu instid0(VALU_DEP_4) | instskip(NEXT) | instid1(VALU_DEP_3)
	v_cndmask_b32_e32 v7, v8, v9, vcc_lo
	v_bfi_b32 v8, 0x7fffffff, v11, v10
	s_or_b32 vcc_lo, s2, s0
	s_delay_alu instid0(VALU_DEP_1) | instskip(SKIP_3) | instid1(VALU_DEP_3)
	v_cndmask_b32_e32 v7, v7, v8, vcc_lo
	v_cmp_o_f32_e32 vcc_lo, v6, v6
	s_wait_loadcnt 0x0
	v_cvt_f32_i32_e32 v8, v24
	v_cndmask_b32_e32 v6, 0x7fc00000, v7, vcc_lo
	s_delay_alu instid0(VALU_DEP_1)
	v_mul_f32_e32 v6, v6, v8
.LBB26_17:
	s_wait_xcnt 0x0
	s_or_b32 exec_lo, exec_lo, s7
	s_cbranch_execz .LBB26_21
; %bb.18:
	s_delay_alu instid0(VALU_DEP_1)
	v_mul_f32_e32 v4, s8, v6
	s_cmp_eq_f32 s9, 0
	s_cbranch_scc1 .LBB26_34
.LBB26_19:
	v_cvt_f32_i32_e32 v1, v1
	s_sub_f32 s0, s4, s11
	v_div_scale_f32 v5, null, s8, s8, 1.0
	s_delay_alu instid0(SALU_CYCLE_2) | instskip(SKIP_4) | instid1(VALU_DEP_3)
	s_max_num_f32 s1, s0, 0x3a83126f
	v_subrev_f32_e32 v1, s11, v1
	v_rcp_f32_e32 v8, v5
	v_nop
	v_xor_b32_e32 v5, 0x80000000, v5
	v_div_scale_f32 v3, null, s1, s1, v1
	s_delay_alu instid0(TRANS32_DEP_1) | instid1(VALU_DEP_2)
	v_fma_f32 v10, v5, v8, 1.0
	s_delay_alu instid0(VALU_DEP_2) | instskip(SKIP_1) | instid1(TRANS32_DEP_1)
	v_rcp_f32_e32 v7, v3
	v_nop
	v_fma_f32 v9, -v3, v7, 1.0
	s_delay_alu instid0(VALU_DEP_1) | instskip(SKIP_2) | instid1(VALU_DEP_2)
	v_fmac_f32_e32 v7, v9, v7
	v_div_scale_f32 v11, vcc_lo, v1, s1, v1
	v_div_scale_f32 v9, s0, 1.0, s8, 1.0
	v_dual_fmac_f32 v8, v10, v8 :: v_dual_mul_f32 v10, v11, v7
	s_delay_alu instid0(VALU_DEP_1) | instskip(NEXT) | instid1(VALU_DEP_1)
	v_dual_mul_f32 v12, v9, v8 :: v_dual_fma_f32 v13, -v3, v10, v11
	v_fmac_f32_e32 v10, v13, v7
	s_delay_alu instid0(VALU_DEP_1) | instskip(NEXT) | instid1(VALU_DEP_1)
	v_dual_fma_f32 v14, v5, v12, v9 :: v_dual_fma_f32 v3, -v3, v10, v11
	v_fmac_f32_e32 v12, v14, v8
	s_delay_alu instid0(VALU_DEP_2) | instskip(NEXT) | instid1(VALU_DEP_2)
	v_div_fmas_f32 v3, v3, v7, v10
	v_fmac_f32_e32 v9, v5, v12
	s_mov_b32 vcc_lo, s0
	s_delay_alu instid0(VALU_DEP_2) | instskip(NEXT) | instid1(VALU_DEP_2)
	v_div_fixup_f32 v1, v3, s1, v1 clamp
	v_div_fmas_f32 v5, v9, v8, v12
	s_delay_alu instid0(VALU_DEP_1) | instskip(NEXT) | instid1(VALU_DEP_1)
	v_div_fixup_f32 v5, v5, s8, 1.0
	v_readfirstlane_b32 s0, v5
	s_cmp_lt_f32 s0, 0x800000
	s_cselect_b32 s0, 0x4f800000, 1.0
	s_delay_alu instid0(SALU_CYCLE_1) | instskip(SKIP_1) | instid1(VALU_DEP_1)
	v_mul_f32_e32 v5, s0, v5
	s_cselect_b32 s0, 0x41b17218, 0
	v_log_f32_e32 v5, v5
	v_nop
	s_delay_alu instid0(TRANS32_DEP_1) | instskip(SKIP_1) | instid1(VALU_DEP_2)
	v_mul_f32_e32 v7, 0x3f317217, v5
	v_and_b32_e32 v3, 0x7fffffff, v5
	v_xor_b32_e32 v7, 0x80000000, v7
	s_delay_alu instid0(VALU_DEP_2) | instskip(NEXT) | instid1(VALU_DEP_2)
	v_cmp_gt_f32_e32 vcc_lo, 0x7f800000, v3
	v_fmac_f32_e32 v7, 0x3f317217, v5
	s_delay_alu instid0(VALU_DEP_1) | instskip(NEXT) | instid1(VALU_DEP_1)
	v_fmamk_f32 v7, v5, 0x3377d1cf, v7
	v_fmac_f32_e32 v7, 0x3f317217, v5
	s_delay_alu instid0(VALU_DEP_1) | instskip(NEXT) | instid1(VALU_DEP_1)
	v_dual_sub_f32 v1, 1.0, v1 :: v_dual_cndmask_b32 v3, v5, v7, vcc_lo
	v_fma_f32 v5, -s9, v1, 1.0
	s_delay_alu instid0(VALU_DEP_2) | instskip(NEXT) | instid1(VALU_DEP_1)
	v_dual_mov_b32 v7, 1.0 :: v_dual_subrev_f32 v3, s0, v3
	v_dual_mul_f32 v4, v5, v4 :: v_dual_fmamk_f32 v3, v3, 0x3dcccccd, v7
	s_delay_alu instid0(VALU_DEP_1) | instskip(NEXT) | instid1(VALU_DEP_1)
	v_dual_mul_f32 v1, s9, v1 :: v_dual_mul_f32 v5, s10, v3
	v_fmac_f32_e32 v4, v1, v6
	s_branch .LBB26_35
.LBB26_20:
                                        ; implicit-def: $vgpr6
.LBB26_21:
	s_delay_alu instid0(VALU_DEP_1) | instskip(SKIP_1) | instid1(SALU_CYCLE_1)
	v_mul_hi_i32 v6, 0x55555556, v5
	s_mul_i32 s0, s17, 3
	v_cmp_le_i32_e64 s0, s0, v5
	s_delay_alu instid0(VALU_DEP_2) | instskip(NEXT) | instid1(VALU_DEP_1)
	v_lshrrev_b32_e32 v7, 31, v6
	v_add_nc_u32_e32 v6, v6, v7
	s_delay_alu instid0(VALU_DEP_1) | instskip(NEXT) | instid1(VALU_DEP_1)
	v_lshl_add_u32 v6, v6, 1, v6
	v_sub_nc_u32_e32 v7, v5, v6
                                        ; implicit-def: $vgpr6
	s_delay_alu instid0(VALU_DEP_1) | instskip(SKIP_1) | instid1(SALU_CYCLE_1)
	v_cmp_ne_u32_e32 vcc_lo, 1, v7
	s_or_b32 s0, vcc_lo, s0
	s_and_saveexec_b32 s1, s0
	s_delay_alu instid0(SALU_CYCLE_1)
	s_xor_b32 s7, exec_lo, s1
	s_cbranch_execz .LBB26_31
; %bb.22:
	s_mul_i32 s0, s18, 3
	v_cmp_ne_u32_e32 vcc_lo, 2, v7
	v_cmp_le_i32_e64 s0, s0, v5
                                        ; implicit-def: $vgpr6
	s_or_b32 s0, vcc_lo, s0
	s_delay_alu instid0(SALU_CYCLE_1) | instskip(NEXT) | instid1(SALU_CYCLE_1)
	s_and_saveexec_b32 s1, s0
	s_xor_b32 s17, exec_lo, s1
	s_cbranch_execz .LBB26_28
; %bb.23:
	s_mul_i32 s0, s16, 3
	v_cmp_ne_u32_e32 vcc_lo, 0, v7
	v_cmp_le_i32_e64 s0, s0, v5
                                        ; implicit-def: $vgpr6
	s_or_b32 s0, vcc_lo, s0
	s_delay_alu instid0(SALU_CYCLE_1) | instskip(NEXT) | instid1(SALU_CYCLE_1)
	s_and_saveexec_b32 s1, s0
	s_xor_b32 s16, exec_lo, s1
	s_cbranch_execz .LBB26_25
; %bb.24:
	v_cvt_f32_i32_e32 v4, v4
	s_cmp_neq_f32 s5, 1.0
	s_mov_b32 s0, 0x3e76c4e1
	v_mad_u32 v3, s6, 3, v3
	s_cselect_b32 vcc_lo, -1, 0
	v_mul_f32_e32 v4, 0.5, v4
	s_delay_alu instid0(VALU_DEP_1) | instskip(SKIP_3) | instid1(VALU_DEP_1)
	v_cndmask_b32_e32 v5, 1.0, v4, vcc_lo
	global_load_b32 v22, v3, s[20:21] scale_offset
	v_cmp_neq_f32_e32 vcc_lo, 0, v5
	v_cndmask_b32_e64 v4, 1.0, s5, vcc_lo
	v_frexp_mant_f32_e64 v6, |v4|
	v_cmp_lt_f32_e64 s19, |v4|, 1.0
	v_cmp_eq_f32_e64 s2, 0, v4
	s_delay_alu instid0(VALU_DEP_3) | instskip(SKIP_1) | instid1(VALU_DEP_1)
	v_cmp_gt_f32_e32 vcc_lo, 0x3f2aaaab, v6
	v_cndmask_b32_e64 v7, 1.0, 2.0, vcc_lo
	v_mul_f32_e32 v6, v6, v7
	s_delay_alu instid0(VALU_DEP_1) | instskip(SKIP_1) | instid1(VALU_DEP_2)
	v_dual_add_f32 v9, 1.0, v6 :: v_dual_add_f32 v7, -1.0, v6
	v_cmp_neq_f32_e64 s18, v5, |v5|
	v_rcp_f32_e32 v12, v9
	v_add_f32_e32 v10, -1.0, v9
	s_xor_b32 s18, s18, s19
	s_delay_alu instid0(TRANS32_DEP_1) | instid1(VALU_DEP_1)
	v_dual_sub_f32 v6, v6, v10 :: v_dual_mul_f32 v13, v7, v12
	s_delay_alu instid0(VALU_DEP_1) | instskip(NEXT) | instid1(VALU_DEP_1)
	v_mul_f32_e32 v8, v9, v13
	v_fma_f32 v10, v13, v9, -v8
	s_delay_alu instid0(VALU_DEP_1) | instskip(NEXT) | instid1(VALU_DEP_1)
	v_fmac_f32_e32 v10, v13, v6
	v_add_f32_e32 v6, v8, v10
	s_delay_alu instid0(VALU_DEP_1) | instskip(NEXT) | instid1(VALU_DEP_1)
	v_dual_sub_f32 v9, v7, v6 :: v_dual_mov_b32 v11, v6
	v_pk_add_f32 v[6:7], v[6:7], v[8:9] neg_lo:[0,1] neg_hi:[0,1]
	s_delay_alu instid0(VALU_DEP_1) | instskip(NEXT) | instid1(VALU_DEP_1)
	v_pk_add_f32 v[6:7], v[6:7], v[10:11] neg_lo:[0,1] neg_hi:[0,1]
	v_add_f32_e32 v6, v6, v7
	s_delay_alu instid0(VALU_DEP_1) | instskip(NEXT) | instid1(VALU_DEP_1)
	v_add_f32_e32 v6, v9, v6
	v_mul_f32_e32 v7, v12, v6
	s_delay_alu instid0(VALU_DEP_1) | instskip(NEXT) | instid1(VALU_DEP_1)
	v_add_f32_e32 v6, v13, v7
	v_sub_f32_e32 v8, v6, v13
	s_delay_alu instid0(VALU_DEP_1) | instskip(NEXT) | instid1(VALU_DEP_1)
	v_sub_f32_e32 v18, v7, v8
	v_add_f32_e32 v8, v18, v18
	v_mul_f32_e32 v9, v6, v6
	s_delay_alu instid0(VALU_DEP_1) | instskip(NEXT) | instid1(VALU_DEP_1)
	v_fma_f32 v7, v6, v6, -v9
	v_fmac_f32_e32 v7, v6, v8
	s_delay_alu instid0(VALU_DEP_1) | instskip(NEXT) | instid1(VALU_DEP_1)
	v_add_f32_e32 v8, v9, v7
	v_dual_fmaak_f32 v10, s0, v8, 0x3e91f4c4 :: v_dual_sub_f32 v9, v8, v9
	s_delay_alu instid0(VALU_DEP_1) | instskip(SKIP_1) | instid1(VALU_DEP_2)
	v_fmaak_f32 v12, v8, v10, 0x3ecccdef
	v_cvt_f64_f32_e64 v[10:11], |v4|
	v_dual_sub_f32 v16, v7, v9 :: v_dual_mul_f32 v13, v8, v12
	s_delay_alu instid0(VALU_DEP_1) | instskip(NEXT) | instid1(VALU_DEP_1)
	v_fma_f32 v7, v8, v12, -v13
	v_fmac_f32_e32 v7, v16, v12
	s_wait_xcnt 0x0
	s_delay_alu instid0(VALU_DEP_1) | instskip(NEXT) | instid1(VALU_DEP_1)
	v_add_f32_e32 v3, v13, v7
	v_sub_f32_e32 v9, v3, v13
	v_add_f32_e32 v13, 0x3f2aaaaa, v3
	s_delay_alu instid0(VALU_DEP_2) | instskip(NEXT) | instid1(VALU_DEP_2)
	v_sub_f32_e32 v7, v7, v9
	v_add_f32_e32 v9, 0xbf2aaaaa, v13
	v_frexp_exp_i32_f64_e32 v17, v[10:11]
	s_delay_alu instid0(VALU_DEP_3) | instskip(NEXT) | instid1(VALU_DEP_3)
	v_add_f32_e32 v7, 0x31739010, v7
	v_sub_f32_e32 v9, v3, v9
	s_delay_alu instid0(VALU_DEP_1) | instskip(SKIP_1) | instid1(VALU_DEP_1)
	v_pk_mul_f32 v[10:11], v[6:7], v[8:9]
	v_pk_add_f32 v[14:15], v[6:7], v[8:9]
	v_dual_fma_f32 v12, v8, v6, -v10 :: v_dual_mov_b32 v11, v15
	s_delay_alu instid0(VALU_DEP_1) | instskip(NEXT) | instid1(VALU_DEP_1)
	v_fmac_f32_e32 v12, v8, v18
	v_fmac_f32_e32 v12, v16, v6
	s_delay_alu instid0(VALU_DEP_1) | instskip(SKIP_1) | instid1(VALU_DEP_2)
	v_pk_add_f32 v[8:9], v[10:11], v[12:13]
	v_subrev_co_ci_u32_e64 v3, null, 0, v17, vcc_lo
	v_mov_b32_e32 v14, v9
	s_delay_alu instid0(VALU_DEP_3) | instskip(NEXT) | instid1(VALU_DEP_3)
	v_dual_sub_f32 v7, v13, v9 :: v_dual_sub_f32 v11, v8, v10
	v_cvt_f32_i32_e32 v3, v3
	s_delay_alu instid0(VALU_DEP_3) | instskip(NEXT) | instid1(VALU_DEP_3)
	v_pk_mul_f32 v[16:17], v[8:9], v[14:15]
	v_add_f32_e32 v7, v15, v7
	s_delay_alu instid0(VALU_DEP_4) | instskip(NEXT) | instid1(VALU_DEP_3)
	v_sub_f32_e32 v11, v12, v11
	v_fma_f32 v10, v8, v9, -v16
	s_delay_alu instid0(VALU_DEP_1) | instskip(NEXT) | instid1(VALU_DEP_1)
	v_fmac_f32_e32 v10, v8, v7
	v_fmac_f32_e32 v10, v11, v9
	v_mul_f32_e32 v14, 0x3f317218, v3
	v_ldexp_f32 v9, v6, 1
	s_delay_alu instid0(VALU_DEP_3) | instskip(NEXT) | instid1(VALU_DEP_3)
	v_add_f32_e32 v15, v16, v10
	v_fma_f32 v7, 0x3f317218, v3, -v14
	s_delay_alu instid0(VALU_DEP_2) | instskip(NEXT) | instid1(VALU_DEP_2)
	v_dual_mov_b32 v17, v9 :: v_dual_mov_b32 v11, v15
	v_fmamk_f32 v8, v3, 0xb102e308, v7
	v_ldexp_f32 v3, v18, 1
	s_delay_alu instid0(VALU_DEP_2) | instskip(NEXT) | instid1(VALU_DEP_1)
	v_pk_add_f32 v[6:7], v[14:15], v[8:9]
	v_dual_mov_b32 v12, v15 :: v_dual_mov_b32 v13, v7
	s_delay_alu instid0(VALU_DEP_2) | instskip(NEXT) | instid1(VALU_DEP_2)
	v_dual_mov_b32 v9, v6 :: v_dual_mov_b32 v20, v7
	v_pk_add_f32 v[12:13], v[12:13], v[16:17] neg_lo:[0,1] neg_hi:[0,1]
	s_delay_alu instid0(VALU_DEP_1) | instskip(NEXT) | instid1(VALU_DEP_1)
	v_pk_add_f32 v[10:11], v[10:11], v[12:13] neg_lo:[0,1] neg_hi:[0,1]
	v_add_f32_e32 v3, v3, v10
	s_delay_alu instid0(VALU_DEP_1) | instskip(NEXT) | instid1(VALU_DEP_1)
	v_add_f32_e32 v15, v3, v11
	v_pk_add_f32 v[10:11], v[6:7], v[14:15]
	v_pk_add_f32 v[12:13], v[6:7], v[14:15] neg_lo:[0,1] neg_hi:[0,1]
	s_delay_alu instid0(VALU_DEP_2) | instskip(NEXT) | instid1(VALU_DEP_1)
	v_mov_b32_e32 v13, v11
	v_pk_add_f32 v[16:17], v[8:9], v[12:13]
	v_mov_b32_e32 v16, v11
	v_pk_add_f32 v[8:9], v[8:9], v[12:13] neg_lo:[0,1] neg_hi:[0,1]
	s_delay_alu instid0(VALU_DEP_3) | instskip(NEXT) | instid1(VALU_DEP_1)
	v_dual_mov_b32 v14, v17 :: v_dual_mov_b32 v9, v17
	v_pk_add_f32 v[18:19], v[14:15], v[6:7] neg_lo:[0,1] neg_hi:[0,1]
	v_dual_mov_b32 v7, v6 :: v_dual_mov_b32 v6, v15
	s_delay_alu instid0(VALU_DEP_2) | instskip(NEXT) | instid1(VALU_DEP_1)
	v_dual_mov_b32 v21, v18 :: v_dual_mov_b32 v3, v18
	v_pk_add_f32 v[12:13], v[16:17], v[20:21] neg_lo:[0,1] neg_hi:[0,1]
	s_delay_alu instid0(VALU_DEP_2) | instskip(SKIP_1) | instid1(VALU_DEP_3)
	v_pk_add_f32 v[10:11], v[10:11], v[2:3] neg_lo:[0,1] neg_hi:[0,1]
	v_mov_b32_e32 v10, v8
	v_pk_add_f32 v[6:7], v[6:7], v[12:13] neg_lo:[0,1] neg_hi:[0,1]
	s_delay_alu instid0(VALU_DEP_1) | instskip(NEXT) | instid1(VALU_DEP_1)
	v_pk_add_f32 v[10:11], v[10:11], v[6:7]
	v_mov_b32_e32 v12, v11
	s_delay_alu instid0(VALU_DEP_1) | instskip(NEXT) | instid1(VALU_DEP_1)
	v_pk_add_f32 v[12:13], v[10:11], v[12:13]
	v_pk_add_f32 v[14:15], v[14:15], v[12:13]
	s_delay_alu instid0(VALU_DEP_1) | instskip(NEXT) | instid1(VALU_DEP_1)
	v_dual_mov_b32 v7, v12 :: v_dual_mov_b32 v11, v14
	v_pk_add_f32 v[16:17], v[10:11], v[8:9] neg_lo:[0,1] neg_hi:[0,1]
	s_delay_alu instid0(VALU_DEP_1) | instskip(NEXT) | instid1(VALU_DEP_2)
	v_sub_f32_e32 v3, v10, v16
	v_pk_add_f32 v[6:7], v[6:7], v[16:17] neg_lo:[0,1] neg_hi:[0,1]
	s_delay_alu instid0(VALU_DEP_2) | instskip(NEXT) | instid1(VALU_DEP_1)
	v_sub_f32_e32 v3, v8, v3
	v_add_f32_e32 v3, v6, v3
	s_delay_alu instid0(VALU_DEP_1) | instskip(NEXT) | instid1(VALU_DEP_1)
	v_add_f32_e32 v3, v3, v7
	v_add_f32_e32 v6, v14, v3
	s_delay_alu instid0(VALU_DEP_1) | instskip(NEXT) | instid1(VALU_DEP_1)
	v_sub_f32_e32 v7, v6, v14
	v_dual_mul_f32 v8, v5, v6 :: v_dual_sub_f32 v3, v3, v7
	s_delay_alu instid0(VALU_DEP_1) | instskip(SKIP_1) | instid1(VALU_DEP_2)
	v_fma_f32 v6, v5, v6, -v8
	v_cmp_class_f32_e64 vcc_lo, v8, 0x204
	v_fmac_f32_e32 v6, v5, v3
	s_delay_alu instid0(VALU_DEP_1) | instskip(NEXT) | instid1(VALU_DEP_1)
	v_add_f32_e32 v3, v8, v6
	v_cndmask_b32_e32 v7, v3, v8, vcc_lo
	s_delay_alu instid0(VALU_DEP_1) | instskip(SKIP_2) | instid1(VALU_DEP_2)
	v_cmp_eq_f32_e32 vcc_lo, 0x42b17218, v7
	v_cndmask_b32_e64 v9, 0, 0x37000000, vcc_lo
	v_cmp_neq_f32_e64 vcc_lo, 0x7f800000, |v7|
	v_sub_f32_e32 v10, v7, v9
	v_trunc_f32_e32 v7, v5
	s_delay_alu instid0(VALU_DEP_2) | instskip(NEXT) | instid1(VALU_DEP_1)
	v_mul_f32_e32 v11, 0x3fb8aa3b, v10
	v_fma_f32 v12, 0x3fb8aa3b, v10, -v11
	v_rndne_f32_e32 v13, v11
	s_delay_alu instid0(VALU_DEP_1) | instskip(SKIP_1) | instid1(VALU_DEP_1)
	v_dual_fmamk_f32 v12, v10, 0x32a5705f, v12 :: v_dual_sub_f32 v11, v11, v13
	v_sub_f32_e32 v3, v3, v8
	v_dual_add_f32 v11, v11, v12 :: v_dual_sub_f32 v3, v6, v3
	s_delay_alu instid0(VALU_DEP_1) | instskip(SKIP_2) | instid1(VALU_DEP_3)
	v_exp_f32_e32 v8, v11
	v_nop
	v_cvt_i32_f32_e32 v11, v13
	v_cndmask_b32_e32 v3, 0, v3, vcc_lo
	v_cmp_ngt_f32_e32 vcc_lo, 0xc2ce8ed0, v10
	s_delay_alu instid0(TRANS32_DEP_1) | instid1(VALU_DEP_3)
	v_ldexp_f32 v6, v8, v11
	s_delay_alu instid0(VALU_DEP_1) | instskip(NEXT) | instid1(VALU_DEP_1)
	v_dual_mul_f32 v8, 0.5, v5 :: v_dual_cndmask_b32 v6, 0, v6, vcc_lo
	v_trunc_f32_e32 v11, v8
	v_cmp_nlt_f32_e32 vcc_lo, 0x42b17218, v10
	s_delay_alu instid0(VALU_DEP_2) | instskip(NEXT) | instid1(VALU_DEP_4)
	v_cmp_neq_f32_e64 s0, v11, v8
	v_cndmask_b32_e32 v6, 0x7f800000, v6, vcc_lo
	v_cmp_eq_f32_e32 vcc_lo, v7, v5
	s_delay_alu instid0(VALU_DEP_2) | instskip(SKIP_1) | instid1(SALU_CYCLE_1)
	v_cmp_class_f32_e64 s1, v6, 0x204
	s_and_b32 s0, vcc_lo, s0
	v_dual_cndmask_b32 v7, 1.0, v4, s0 :: v_dual_add_f32 v3, v9, v3
	s_delay_alu instid0(VALU_DEP_1) | instskip(NEXT) | instid1(VALU_DEP_1)
	v_fma_f32 v3, v6, v3, v6
	v_cndmask_b32_e64 v3, v3, v6, s1
	v_cndmask_b32_e64 v6, 0x7f800000, 0, s18
	v_cmp_gt_f32_e64 s1, 0, v5
	s_delay_alu instid0(VALU_DEP_3) | instskip(SKIP_1) | instid1(SALU_CYCLE_1)
	v_bfi_b32 v3, 0x7fffffff, v3, v7
	s_xor_b32 s1, s1, s2
	v_cndmask_b32_e64 v8, 0x7f800000, 0, s1
	s_delay_alu instid0(VALU_DEP_2) | instskip(SKIP_3) | instid1(VALU_DEP_3)
	v_cndmask_b32_e32 v7, 0x7fc00000, v3, vcc_lo
	v_cmp_neq_f32_e64 vcc_lo, |v4|, 1.0
	v_cndmask_b32_e32 v6, 1.0, v6, vcc_lo
	v_cmp_gt_f32_e32 vcc_lo, 0, v4
	v_dual_cndmask_b32 v3, v3, v7, vcc_lo :: v_dual_cndmask_b32 v7, 0, v4, s0
	v_cmp_class_f32_e64 vcc_lo, v5, 0x204
	v_cmp_class_f32_e64 s0, v4, 0x204
	s_delay_alu instid0(VALU_DEP_3) | instskip(NEXT) | instid1(VALU_DEP_4)
	v_bfi_b32 v5, 0x7fffffff, v8, v7
	v_cndmask_b32_e32 v3, v3, v6, vcc_lo
	s_or_b32 vcc_lo, s2, s0
	s_delay_alu instid0(VALU_DEP_1) | instskip(SKIP_3) | instid1(VALU_DEP_3)
	v_cndmask_b32_e32 v3, v3, v5, vcc_lo
	v_cmp_o_f32_e32 vcc_lo, v4, v4
	s_wait_loadcnt 0x0
	v_cvt_f32_i32_e32 v5, v22
                                        ; implicit-def: $vgpr4
	v_cndmask_b32_e32 v3, 0x7fc00000, v3, vcc_lo
	s_delay_alu instid0(VALU_DEP_1)
	v_mul_f32_e32 v6, v3, v5
                                        ; implicit-def: $vgpr3
.LBB26_25:
	s_and_not1_saveexec_b32 s16, s16
	s_cbranch_execz .LBB26_27
; %bb.26:
	v_cvt_f32_i32_e32 v4, v4
	s_cmp_neq_f32 s5, 1.0
	s_mov_b32 s0, 0x3e76c4e1
	global_load_b32 v22, v3, s[20:21] scale_offset
	s_cselect_b32 vcc_lo, -1, 0
	v_mul_f32_e32 v4, 0.5, v4
	s_delay_alu instid0(VALU_DEP_1) | instskip(NEXT) | instid1(VALU_DEP_1)
	v_cndmask_b32_e32 v5, 1.0, v4, vcc_lo
	v_cmp_neq_f32_e32 vcc_lo, 0, v5
	v_cndmask_b32_e64 v4, 1.0, s5, vcc_lo
	s_delay_alu instid0(VALU_DEP_1) | instskip(SKIP_2) | instid1(VALU_DEP_3)
	v_frexp_mant_f32_e64 v6, |v4|
	v_cmp_lt_f32_e64 s19, |v4|, 1.0
	v_cmp_eq_f32_e64 s2, 0, v4
	v_cmp_gt_f32_e32 vcc_lo, 0x3f2aaaab, v6
	v_cndmask_b32_e64 v7, 1.0, 2.0, vcc_lo
	s_delay_alu instid0(VALU_DEP_1) | instskip(NEXT) | instid1(VALU_DEP_1)
	v_mul_f32_e32 v6, v6, v7
	v_dual_add_f32 v9, 1.0, v6 :: v_dual_add_f32 v7, -1.0, v6
	v_cmp_neq_f32_e64 s18, v5, |v5|
	s_delay_alu instid0(VALU_DEP_2)
	v_rcp_f32_e32 v12, v9
	v_add_f32_e32 v10, -1.0, v9
	s_xor_b32 s18, s18, s19
	s_delay_alu instid0(TRANS32_DEP_1) | instid1(VALU_DEP_1)
	v_dual_sub_f32 v6, v6, v10 :: v_dual_mul_f32 v13, v7, v12
	s_delay_alu instid0(VALU_DEP_1) | instskip(NEXT) | instid1(VALU_DEP_1)
	v_mul_f32_e32 v8, v9, v13
	v_fma_f32 v10, v13, v9, -v8
	s_delay_alu instid0(VALU_DEP_1) | instskip(NEXT) | instid1(VALU_DEP_1)
	v_fmac_f32_e32 v10, v13, v6
	v_add_f32_e32 v6, v8, v10
	s_delay_alu instid0(VALU_DEP_1) | instskip(NEXT) | instid1(VALU_DEP_1)
	v_dual_sub_f32 v9, v7, v6 :: v_dual_mov_b32 v11, v6
	v_pk_add_f32 v[6:7], v[6:7], v[8:9] neg_lo:[0,1] neg_hi:[0,1]
	s_delay_alu instid0(VALU_DEP_1) | instskip(NEXT) | instid1(VALU_DEP_1)
	v_pk_add_f32 v[6:7], v[6:7], v[10:11] neg_lo:[0,1] neg_hi:[0,1]
	v_add_f32_e32 v6, v6, v7
	s_delay_alu instid0(VALU_DEP_1) | instskip(NEXT) | instid1(VALU_DEP_1)
	v_add_f32_e32 v6, v9, v6
	v_mul_f32_e32 v7, v12, v6
	s_delay_alu instid0(VALU_DEP_1) | instskip(NEXT) | instid1(VALU_DEP_1)
	v_add_f32_e32 v6, v13, v7
	v_sub_f32_e32 v8, v6, v13
	s_delay_alu instid0(VALU_DEP_1) | instskip(NEXT) | instid1(VALU_DEP_1)
	v_sub_f32_e32 v18, v7, v8
	v_add_f32_e32 v8, v18, v18
	v_mul_f32_e32 v9, v6, v6
	s_delay_alu instid0(VALU_DEP_1) | instskip(NEXT) | instid1(VALU_DEP_1)
	v_fma_f32 v7, v6, v6, -v9
	v_fmac_f32_e32 v7, v6, v8
	s_delay_alu instid0(VALU_DEP_1) | instskip(NEXT) | instid1(VALU_DEP_1)
	v_add_f32_e32 v8, v9, v7
	v_dual_fmaak_f32 v10, s0, v8, 0x3e91f4c4 :: v_dual_sub_f32 v9, v8, v9
	s_delay_alu instid0(VALU_DEP_1) | instskip(SKIP_1) | instid1(VALU_DEP_2)
	v_fmaak_f32 v12, v8, v10, 0x3ecccdef
	v_cvt_f64_f32_e64 v[10:11], |v4|
	v_dual_sub_f32 v16, v7, v9 :: v_dual_mul_f32 v13, v8, v12
	s_delay_alu instid0(VALU_DEP_1) | instskip(NEXT) | instid1(VALU_DEP_1)
	v_fma_f32 v7, v8, v12, -v13
	v_fmac_f32_e32 v7, v16, v12
	s_wait_xcnt 0x0
	s_delay_alu instid0(VALU_DEP_1) | instskip(NEXT) | instid1(VALU_DEP_1)
	v_add_f32_e32 v3, v13, v7
	v_sub_f32_e32 v9, v3, v13
	v_add_f32_e32 v13, 0x3f2aaaaa, v3
	s_delay_alu instid0(VALU_DEP_2) | instskip(NEXT) | instid1(VALU_DEP_2)
	v_sub_f32_e32 v7, v7, v9
	v_add_f32_e32 v9, 0xbf2aaaaa, v13
	v_frexp_exp_i32_f64_e32 v17, v[10:11]
	s_delay_alu instid0(VALU_DEP_3) | instskip(NEXT) | instid1(VALU_DEP_3)
	v_add_f32_e32 v7, 0x31739010, v7
	v_sub_f32_e32 v9, v3, v9
	s_delay_alu instid0(VALU_DEP_1) | instskip(SKIP_1) | instid1(VALU_DEP_1)
	v_pk_mul_f32 v[10:11], v[6:7], v[8:9]
	v_pk_add_f32 v[14:15], v[6:7], v[8:9]
	v_dual_fma_f32 v12, v8, v6, -v10 :: v_dual_mov_b32 v11, v15
	s_delay_alu instid0(VALU_DEP_1) | instskip(NEXT) | instid1(VALU_DEP_1)
	v_fmac_f32_e32 v12, v8, v18
	v_fmac_f32_e32 v12, v16, v6
	s_delay_alu instid0(VALU_DEP_1) | instskip(SKIP_1) | instid1(VALU_DEP_2)
	v_pk_add_f32 v[8:9], v[10:11], v[12:13]
	v_subrev_co_ci_u32_e64 v3, null, 0, v17, vcc_lo
	v_mov_b32_e32 v14, v9
	s_delay_alu instid0(VALU_DEP_3) | instskip(NEXT) | instid1(VALU_DEP_3)
	v_dual_sub_f32 v7, v13, v9 :: v_dual_sub_f32 v11, v8, v10
	v_cvt_f32_i32_e32 v3, v3
	s_delay_alu instid0(VALU_DEP_3) | instskip(NEXT) | instid1(VALU_DEP_3)
	v_pk_mul_f32 v[16:17], v[8:9], v[14:15]
	v_add_f32_e32 v7, v15, v7
	s_delay_alu instid0(VALU_DEP_4) | instskip(NEXT) | instid1(VALU_DEP_3)
	v_sub_f32_e32 v11, v12, v11
	v_fma_f32 v10, v8, v9, -v16
	s_delay_alu instid0(VALU_DEP_1) | instskip(NEXT) | instid1(VALU_DEP_1)
	v_fmac_f32_e32 v10, v8, v7
	v_fmac_f32_e32 v10, v11, v9
	v_mul_f32_e32 v14, 0x3f317218, v3
	v_ldexp_f32 v9, v6, 1
	s_delay_alu instid0(VALU_DEP_3) | instskip(NEXT) | instid1(VALU_DEP_3)
	v_add_f32_e32 v15, v16, v10
	v_fma_f32 v7, 0x3f317218, v3, -v14
	s_delay_alu instid0(VALU_DEP_2) | instskip(NEXT) | instid1(VALU_DEP_2)
	v_dual_mov_b32 v17, v9 :: v_dual_mov_b32 v11, v15
	v_fmamk_f32 v8, v3, 0xb102e308, v7
	v_ldexp_f32 v3, v18, 1
	s_delay_alu instid0(VALU_DEP_2) | instskip(NEXT) | instid1(VALU_DEP_1)
	v_pk_add_f32 v[6:7], v[14:15], v[8:9]
	v_dual_mov_b32 v12, v15 :: v_dual_mov_b32 v13, v7
	s_delay_alu instid0(VALU_DEP_2) | instskip(NEXT) | instid1(VALU_DEP_2)
	v_dual_mov_b32 v9, v6 :: v_dual_mov_b32 v20, v7
	v_pk_add_f32 v[12:13], v[12:13], v[16:17] neg_lo:[0,1] neg_hi:[0,1]
	s_delay_alu instid0(VALU_DEP_1) | instskip(NEXT) | instid1(VALU_DEP_1)
	v_pk_add_f32 v[10:11], v[10:11], v[12:13] neg_lo:[0,1] neg_hi:[0,1]
	v_add_f32_e32 v3, v3, v10
	s_delay_alu instid0(VALU_DEP_1) | instskip(NEXT) | instid1(VALU_DEP_1)
	v_add_f32_e32 v15, v3, v11
	v_pk_add_f32 v[10:11], v[6:7], v[14:15]
	v_pk_add_f32 v[12:13], v[6:7], v[14:15] neg_lo:[0,1] neg_hi:[0,1]
	s_delay_alu instid0(VALU_DEP_2) | instskip(NEXT) | instid1(VALU_DEP_1)
	v_mov_b32_e32 v13, v11
	v_pk_add_f32 v[16:17], v[8:9], v[12:13]
	v_mov_b32_e32 v16, v11
	v_pk_add_f32 v[8:9], v[8:9], v[12:13] neg_lo:[0,1] neg_hi:[0,1]
	s_delay_alu instid0(VALU_DEP_3) | instskip(NEXT) | instid1(VALU_DEP_1)
	v_dual_mov_b32 v14, v17 :: v_dual_mov_b32 v9, v17
	v_pk_add_f32 v[18:19], v[14:15], v[6:7] neg_lo:[0,1] neg_hi:[0,1]
	v_dual_mov_b32 v7, v6 :: v_dual_mov_b32 v6, v15
	s_delay_alu instid0(VALU_DEP_2) | instskip(NEXT) | instid1(VALU_DEP_1)
	v_dual_mov_b32 v21, v18 :: v_dual_mov_b32 v3, v18
	v_pk_add_f32 v[12:13], v[16:17], v[20:21] neg_lo:[0,1] neg_hi:[0,1]
	s_delay_alu instid0(VALU_DEP_2) | instskip(SKIP_1) | instid1(VALU_DEP_3)
	v_pk_add_f32 v[10:11], v[10:11], v[2:3] neg_lo:[0,1] neg_hi:[0,1]
	v_mov_b32_e32 v10, v8
	v_pk_add_f32 v[6:7], v[6:7], v[12:13] neg_lo:[0,1] neg_hi:[0,1]
	s_delay_alu instid0(VALU_DEP_1) | instskip(NEXT) | instid1(VALU_DEP_1)
	v_pk_add_f32 v[10:11], v[10:11], v[6:7]
	v_mov_b32_e32 v12, v11
	s_delay_alu instid0(VALU_DEP_1) | instskip(NEXT) | instid1(VALU_DEP_1)
	v_pk_add_f32 v[12:13], v[10:11], v[12:13]
	v_pk_add_f32 v[14:15], v[14:15], v[12:13]
	s_delay_alu instid0(VALU_DEP_1) | instskip(NEXT) | instid1(VALU_DEP_1)
	v_dual_mov_b32 v7, v12 :: v_dual_mov_b32 v11, v14
	v_pk_add_f32 v[16:17], v[10:11], v[8:9] neg_lo:[0,1] neg_hi:[0,1]
	s_delay_alu instid0(VALU_DEP_1) | instskip(NEXT) | instid1(VALU_DEP_2)
	v_sub_f32_e32 v3, v10, v16
	v_pk_add_f32 v[6:7], v[6:7], v[16:17] neg_lo:[0,1] neg_hi:[0,1]
	s_delay_alu instid0(VALU_DEP_2) | instskip(NEXT) | instid1(VALU_DEP_1)
	v_sub_f32_e32 v3, v8, v3
	v_add_f32_e32 v3, v6, v3
	s_delay_alu instid0(VALU_DEP_1) | instskip(NEXT) | instid1(VALU_DEP_1)
	v_add_f32_e32 v3, v3, v7
	v_add_f32_e32 v6, v14, v3
	s_delay_alu instid0(VALU_DEP_1) | instskip(NEXT) | instid1(VALU_DEP_1)
	v_sub_f32_e32 v7, v6, v14
	v_dual_mul_f32 v8, v5, v6 :: v_dual_sub_f32 v3, v3, v7
	s_delay_alu instid0(VALU_DEP_1) | instskip(SKIP_1) | instid1(VALU_DEP_2)
	v_fma_f32 v6, v5, v6, -v8
	v_cmp_class_f32_e64 vcc_lo, v8, 0x204
	v_fmac_f32_e32 v6, v5, v3
	s_delay_alu instid0(VALU_DEP_1) | instskip(NEXT) | instid1(VALU_DEP_1)
	v_add_f32_e32 v3, v8, v6
	v_cndmask_b32_e32 v7, v3, v8, vcc_lo
	s_delay_alu instid0(VALU_DEP_1) | instskip(SKIP_2) | instid1(VALU_DEP_2)
	v_cmp_eq_f32_e32 vcc_lo, 0x42b17218, v7
	v_cndmask_b32_e64 v9, 0, 0x37000000, vcc_lo
	v_cmp_neq_f32_e64 vcc_lo, 0x7f800000, |v7|
	v_sub_f32_e32 v10, v7, v9
	v_trunc_f32_e32 v7, v5
	s_delay_alu instid0(VALU_DEP_2) | instskip(NEXT) | instid1(VALU_DEP_1)
	v_mul_f32_e32 v11, 0x3fb8aa3b, v10
	v_fma_f32 v12, 0x3fb8aa3b, v10, -v11
	v_rndne_f32_e32 v13, v11
	s_delay_alu instid0(VALU_DEP_1) | instskip(SKIP_1) | instid1(VALU_DEP_1)
	v_dual_fmamk_f32 v12, v10, 0x32a5705f, v12 :: v_dual_sub_f32 v11, v11, v13
	v_sub_f32_e32 v3, v3, v8
	v_dual_add_f32 v11, v11, v12 :: v_dual_sub_f32 v3, v6, v3
	s_delay_alu instid0(VALU_DEP_1) | instskip(SKIP_2) | instid1(VALU_DEP_3)
	v_exp_f32_e32 v8, v11
	v_nop
	v_cvt_i32_f32_e32 v11, v13
	v_cndmask_b32_e32 v3, 0, v3, vcc_lo
	v_cmp_ngt_f32_e32 vcc_lo, 0xc2ce8ed0, v10
	s_delay_alu instid0(TRANS32_DEP_1) | instid1(VALU_DEP_3)
	v_ldexp_f32 v6, v8, v11
	s_delay_alu instid0(VALU_DEP_1) | instskip(NEXT) | instid1(VALU_DEP_1)
	v_dual_mul_f32 v8, 0.5, v5 :: v_dual_cndmask_b32 v6, 0, v6, vcc_lo
	v_trunc_f32_e32 v11, v8
	v_cmp_nlt_f32_e32 vcc_lo, 0x42b17218, v10
	s_delay_alu instid0(VALU_DEP_2) | instskip(NEXT) | instid1(VALU_DEP_4)
	v_cmp_neq_f32_e64 s0, v11, v8
	v_cndmask_b32_e32 v6, 0x7f800000, v6, vcc_lo
	v_cmp_eq_f32_e32 vcc_lo, v7, v5
	s_delay_alu instid0(VALU_DEP_2) | instskip(SKIP_1) | instid1(SALU_CYCLE_1)
	v_cmp_class_f32_e64 s1, v6, 0x204
	s_and_b32 s0, vcc_lo, s0
	v_dual_cndmask_b32 v7, 1.0, v4, s0 :: v_dual_add_f32 v3, v9, v3
	s_delay_alu instid0(VALU_DEP_1) | instskip(NEXT) | instid1(VALU_DEP_1)
	v_fma_f32 v3, v6, v3, v6
	v_cndmask_b32_e64 v3, v3, v6, s1
	v_cndmask_b32_e64 v6, 0x7f800000, 0, s18
	v_cmp_gt_f32_e64 s1, 0, v5
	s_delay_alu instid0(VALU_DEP_3) | instskip(SKIP_1) | instid1(SALU_CYCLE_1)
	v_bfi_b32 v3, 0x7fffffff, v3, v7
	s_xor_b32 s1, s1, s2
	v_cndmask_b32_e64 v8, 0x7f800000, 0, s1
	s_delay_alu instid0(VALU_DEP_2) | instskip(SKIP_3) | instid1(VALU_DEP_3)
	v_cndmask_b32_e32 v7, 0x7fc00000, v3, vcc_lo
	v_cmp_neq_f32_e64 vcc_lo, |v4|, 1.0
	v_cndmask_b32_e32 v6, 1.0, v6, vcc_lo
	v_cmp_gt_f32_e32 vcc_lo, 0, v4
	v_dual_cndmask_b32 v3, v3, v7, vcc_lo :: v_dual_cndmask_b32 v7, 0, v4, s0
	v_cmp_class_f32_e64 vcc_lo, v5, 0x204
	v_cmp_class_f32_e64 s0, v4, 0x204
	s_delay_alu instid0(VALU_DEP_3) | instskip(NEXT) | instid1(VALU_DEP_4)
	v_bfi_b32 v5, 0x7fffffff, v8, v7
	v_cndmask_b32_e32 v3, v3, v6, vcc_lo
	s_or_b32 vcc_lo, s2, s0
	s_delay_alu instid0(VALU_DEP_1) | instskip(SKIP_3) | instid1(VALU_DEP_3)
	v_cndmask_b32_e32 v3, v3, v5, vcc_lo
	v_cmp_o_f32_e32 vcc_lo, v4, v4
	s_wait_loadcnt 0x0
	v_cvt_f32_i32_e32 v5, v22
	v_cndmask_b32_e32 v3, 0x7fc00000, v3, vcc_lo
	s_delay_alu instid0(VALU_DEP_1)
	v_mul_f32_e32 v6, v3, v5
.LBB26_27:
	s_or_b32 exec_lo, exec_lo, s16
                                        ; implicit-def: $vgpr3
                                        ; implicit-def: $vgpr4
.LBB26_28:
	s_and_not1_saveexec_b32 s16, s17
	s_cbranch_execz .LBB26_30
; %bb.29:
	v_cvt_f32_i32_e32 v4, v4
	s_cmp_neq_f32 s5, 1.0
	s_mov_b32 s0, 0x3e76c4e1
	v_lshl_add_u32 v3, s6, 1, v3
	s_cselect_b32 vcc_lo, -1, 0
	v_mul_f32_e32 v4, 0.5, v4
	global_load_b32 v22, v3, s[20:21] scale_offset
	v_cndmask_b32_e32 v5, 1.0, v4, vcc_lo
	s_delay_alu instid0(VALU_DEP_1) | instskip(SKIP_1) | instid1(VALU_DEP_1)
	v_cmp_neq_f32_e32 vcc_lo, 0, v5
	v_cndmask_b32_e64 v4, 1.0, s5, vcc_lo
	v_frexp_mant_f32_e64 v6, |v4|
	v_cmp_lt_f32_e64 s18, |v4|, 1.0
	v_cmp_eq_f32_e64 s2, 0, v4
	s_delay_alu instid0(VALU_DEP_3) | instskip(SKIP_1) | instid1(VALU_DEP_1)
	v_cmp_gt_f32_e32 vcc_lo, 0x3f2aaaab, v6
	v_cndmask_b32_e64 v7, 1.0, 2.0, vcc_lo
	v_mul_f32_e32 v6, v6, v7
	s_delay_alu instid0(VALU_DEP_1) | instskip(SKIP_1) | instid1(VALU_DEP_2)
	v_dual_add_f32 v9, 1.0, v6 :: v_dual_add_f32 v7, -1.0, v6
	v_cmp_neq_f32_e64 s17, v5, |v5|
	v_rcp_f32_e32 v12, v9
	v_add_f32_e32 v10, -1.0, v9
	s_xor_b32 s17, s17, s18
	s_delay_alu instid0(TRANS32_DEP_1) | instid1(VALU_DEP_1)
	v_dual_sub_f32 v6, v6, v10 :: v_dual_mul_f32 v13, v7, v12
	s_delay_alu instid0(VALU_DEP_1) | instskip(NEXT) | instid1(VALU_DEP_1)
	v_mul_f32_e32 v8, v9, v13
	v_fma_f32 v10, v13, v9, -v8
	s_delay_alu instid0(VALU_DEP_1) | instskip(NEXT) | instid1(VALU_DEP_1)
	v_fmac_f32_e32 v10, v13, v6
	v_add_f32_e32 v6, v8, v10
	s_delay_alu instid0(VALU_DEP_1) | instskip(NEXT) | instid1(VALU_DEP_1)
	v_dual_sub_f32 v9, v7, v6 :: v_dual_mov_b32 v11, v6
	v_pk_add_f32 v[6:7], v[6:7], v[8:9] neg_lo:[0,1] neg_hi:[0,1]
	s_delay_alu instid0(VALU_DEP_1) | instskip(NEXT) | instid1(VALU_DEP_1)
	v_pk_add_f32 v[6:7], v[6:7], v[10:11] neg_lo:[0,1] neg_hi:[0,1]
	v_add_f32_e32 v6, v6, v7
	s_delay_alu instid0(VALU_DEP_1) | instskip(NEXT) | instid1(VALU_DEP_1)
	v_add_f32_e32 v6, v9, v6
	v_mul_f32_e32 v7, v12, v6
	s_delay_alu instid0(VALU_DEP_1) | instskip(NEXT) | instid1(VALU_DEP_1)
	v_add_f32_e32 v6, v13, v7
	v_sub_f32_e32 v8, v6, v13
	s_delay_alu instid0(VALU_DEP_1) | instskip(NEXT) | instid1(VALU_DEP_1)
	v_sub_f32_e32 v18, v7, v8
	v_add_f32_e32 v8, v18, v18
	v_mul_f32_e32 v9, v6, v6
	s_delay_alu instid0(VALU_DEP_1) | instskip(NEXT) | instid1(VALU_DEP_1)
	v_fma_f32 v7, v6, v6, -v9
	v_fmac_f32_e32 v7, v6, v8
	s_delay_alu instid0(VALU_DEP_1) | instskip(NEXT) | instid1(VALU_DEP_1)
	v_add_f32_e32 v8, v9, v7
	v_dual_fmaak_f32 v10, s0, v8, 0x3e91f4c4 :: v_dual_sub_f32 v9, v8, v9
	s_delay_alu instid0(VALU_DEP_1) | instskip(SKIP_1) | instid1(VALU_DEP_2)
	v_fmaak_f32 v12, v8, v10, 0x3ecccdef
	v_cvt_f64_f32_e64 v[10:11], |v4|
	v_dual_sub_f32 v16, v7, v9 :: v_dual_mul_f32 v13, v8, v12
	s_delay_alu instid0(VALU_DEP_1) | instskip(NEXT) | instid1(VALU_DEP_1)
	v_fma_f32 v7, v8, v12, -v13
	v_fmac_f32_e32 v7, v16, v12
	s_wait_xcnt 0x0
	s_delay_alu instid0(VALU_DEP_1) | instskip(NEXT) | instid1(VALU_DEP_1)
	v_add_f32_e32 v3, v13, v7
	v_sub_f32_e32 v9, v3, v13
	v_add_f32_e32 v13, 0x3f2aaaaa, v3
	s_delay_alu instid0(VALU_DEP_2) | instskip(NEXT) | instid1(VALU_DEP_2)
	v_sub_f32_e32 v7, v7, v9
	v_add_f32_e32 v9, 0xbf2aaaaa, v13
	v_frexp_exp_i32_f64_e32 v17, v[10:11]
	s_delay_alu instid0(VALU_DEP_3) | instskip(NEXT) | instid1(VALU_DEP_3)
	v_add_f32_e32 v7, 0x31739010, v7
	v_sub_f32_e32 v9, v3, v9
	s_delay_alu instid0(VALU_DEP_1) | instskip(SKIP_1) | instid1(VALU_DEP_1)
	v_pk_mul_f32 v[10:11], v[6:7], v[8:9]
	v_pk_add_f32 v[14:15], v[6:7], v[8:9]
	v_dual_fma_f32 v12, v8, v6, -v10 :: v_dual_mov_b32 v11, v15
	s_delay_alu instid0(VALU_DEP_1) | instskip(NEXT) | instid1(VALU_DEP_1)
	v_fmac_f32_e32 v12, v8, v18
	v_fmac_f32_e32 v12, v16, v6
	s_delay_alu instid0(VALU_DEP_1) | instskip(SKIP_1) | instid1(VALU_DEP_2)
	v_pk_add_f32 v[8:9], v[10:11], v[12:13]
	v_subrev_co_ci_u32_e64 v3, null, 0, v17, vcc_lo
	v_mov_b32_e32 v14, v9
	s_delay_alu instid0(VALU_DEP_3) | instskip(NEXT) | instid1(VALU_DEP_3)
	v_dual_sub_f32 v7, v13, v9 :: v_dual_sub_f32 v11, v8, v10
	v_cvt_f32_i32_e32 v3, v3
	s_delay_alu instid0(VALU_DEP_3) | instskip(NEXT) | instid1(VALU_DEP_3)
	v_pk_mul_f32 v[16:17], v[8:9], v[14:15]
	v_add_f32_e32 v7, v15, v7
	s_delay_alu instid0(VALU_DEP_4) | instskip(NEXT) | instid1(VALU_DEP_3)
	v_sub_f32_e32 v11, v12, v11
	v_fma_f32 v10, v8, v9, -v16
	s_delay_alu instid0(VALU_DEP_1) | instskip(NEXT) | instid1(VALU_DEP_1)
	v_fmac_f32_e32 v10, v8, v7
	v_fmac_f32_e32 v10, v11, v9
	v_mul_f32_e32 v14, 0x3f317218, v3
	v_ldexp_f32 v9, v6, 1
	s_delay_alu instid0(VALU_DEP_3) | instskip(NEXT) | instid1(VALU_DEP_3)
	v_add_f32_e32 v15, v16, v10
	v_fma_f32 v7, 0x3f317218, v3, -v14
	s_delay_alu instid0(VALU_DEP_2) | instskip(NEXT) | instid1(VALU_DEP_2)
	v_dual_mov_b32 v17, v9 :: v_dual_mov_b32 v11, v15
	v_fmamk_f32 v8, v3, 0xb102e308, v7
	v_ldexp_f32 v3, v18, 1
	s_delay_alu instid0(VALU_DEP_2) | instskip(NEXT) | instid1(VALU_DEP_1)
	v_pk_add_f32 v[6:7], v[14:15], v[8:9]
	v_dual_mov_b32 v12, v15 :: v_dual_mov_b32 v13, v7
	s_delay_alu instid0(VALU_DEP_2) | instskip(NEXT) | instid1(VALU_DEP_2)
	v_dual_mov_b32 v9, v6 :: v_dual_mov_b32 v20, v7
	v_pk_add_f32 v[12:13], v[12:13], v[16:17] neg_lo:[0,1] neg_hi:[0,1]
	s_delay_alu instid0(VALU_DEP_1) | instskip(NEXT) | instid1(VALU_DEP_1)
	v_pk_add_f32 v[10:11], v[10:11], v[12:13] neg_lo:[0,1] neg_hi:[0,1]
	v_add_f32_e32 v3, v3, v10
	s_delay_alu instid0(VALU_DEP_1) | instskip(NEXT) | instid1(VALU_DEP_1)
	v_add_f32_e32 v15, v3, v11
	v_pk_add_f32 v[10:11], v[6:7], v[14:15]
	v_pk_add_f32 v[12:13], v[6:7], v[14:15] neg_lo:[0,1] neg_hi:[0,1]
	s_delay_alu instid0(VALU_DEP_2) | instskip(NEXT) | instid1(VALU_DEP_1)
	v_mov_b32_e32 v13, v11
	v_pk_add_f32 v[16:17], v[8:9], v[12:13]
	v_mov_b32_e32 v16, v11
	v_pk_add_f32 v[8:9], v[8:9], v[12:13] neg_lo:[0,1] neg_hi:[0,1]
	s_delay_alu instid0(VALU_DEP_3) | instskip(NEXT) | instid1(VALU_DEP_1)
	v_dual_mov_b32 v14, v17 :: v_dual_mov_b32 v9, v17
	v_pk_add_f32 v[18:19], v[14:15], v[6:7] neg_lo:[0,1] neg_hi:[0,1]
	v_dual_mov_b32 v7, v6 :: v_dual_mov_b32 v6, v15
	s_delay_alu instid0(VALU_DEP_2) | instskip(NEXT) | instid1(VALU_DEP_1)
	v_dual_mov_b32 v21, v18 :: v_dual_mov_b32 v3, v18
	v_pk_add_f32 v[12:13], v[16:17], v[20:21] neg_lo:[0,1] neg_hi:[0,1]
	s_delay_alu instid0(VALU_DEP_2) | instskip(SKIP_1) | instid1(VALU_DEP_3)
	v_pk_add_f32 v[10:11], v[10:11], v[2:3] neg_lo:[0,1] neg_hi:[0,1]
	v_mov_b32_e32 v10, v8
	v_pk_add_f32 v[6:7], v[6:7], v[12:13] neg_lo:[0,1] neg_hi:[0,1]
	s_delay_alu instid0(VALU_DEP_1) | instskip(NEXT) | instid1(VALU_DEP_1)
	v_pk_add_f32 v[10:11], v[10:11], v[6:7]
	v_mov_b32_e32 v12, v11
	s_delay_alu instid0(VALU_DEP_1) | instskip(NEXT) | instid1(VALU_DEP_1)
	v_pk_add_f32 v[12:13], v[10:11], v[12:13]
	v_pk_add_f32 v[14:15], v[14:15], v[12:13]
	s_delay_alu instid0(VALU_DEP_1) | instskip(NEXT) | instid1(VALU_DEP_1)
	v_dual_mov_b32 v7, v12 :: v_dual_mov_b32 v11, v14
	v_pk_add_f32 v[16:17], v[10:11], v[8:9] neg_lo:[0,1] neg_hi:[0,1]
	s_delay_alu instid0(VALU_DEP_1) | instskip(NEXT) | instid1(VALU_DEP_2)
	v_sub_f32_e32 v3, v10, v16
	v_pk_add_f32 v[6:7], v[6:7], v[16:17] neg_lo:[0,1] neg_hi:[0,1]
	s_delay_alu instid0(VALU_DEP_2) | instskip(NEXT) | instid1(VALU_DEP_1)
	v_sub_f32_e32 v3, v8, v3
	v_add_f32_e32 v3, v6, v3
	s_delay_alu instid0(VALU_DEP_1) | instskip(NEXT) | instid1(VALU_DEP_1)
	v_add_f32_e32 v3, v3, v7
	v_add_f32_e32 v6, v14, v3
	s_delay_alu instid0(VALU_DEP_1) | instskip(NEXT) | instid1(VALU_DEP_1)
	v_sub_f32_e32 v7, v6, v14
	v_dual_mul_f32 v8, v5, v6 :: v_dual_sub_f32 v3, v3, v7
	s_delay_alu instid0(VALU_DEP_1) | instskip(SKIP_1) | instid1(VALU_DEP_2)
	v_fma_f32 v6, v5, v6, -v8
	v_cmp_class_f32_e64 vcc_lo, v8, 0x204
	v_fmac_f32_e32 v6, v5, v3
	s_delay_alu instid0(VALU_DEP_1) | instskip(NEXT) | instid1(VALU_DEP_1)
	v_add_f32_e32 v3, v8, v6
	v_cndmask_b32_e32 v7, v3, v8, vcc_lo
	s_delay_alu instid0(VALU_DEP_1) | instskip(SKIP_2) | instid1(VALU_DEP_2)
	v_cmp_eq_f32_e32 vcc_lo, 0x42b17218, v7
	v_cndmask_b32_e64 v9, 0, 0x37000000, vcc_lo
	v_cmp_neq_f32_e64 vcc_lo, 0x7f800000, |v7|
	v_sub_f32_e32 v10, v7, v9
	v_trunc_f32_e32 v7, v5
	s_delay_alu instid0(VALU_DEP_2) | instskip(NEXT) | instid1(VALU_DEP_1)
	v_mul_f32_e32 v11, 0x3fb8aa3b, v10
	v_fma_f32 v12, 0x3fb8aa3b, v10, -v11
	v_rndne_f32_e32 v13, v11
	s_delay_alu instid0(VALU_DEP_1) | instskip(SKIP_1) | instid1(VALU_DEP_1)
	v_dual_fmamk_f32 v12, v10, 0x32a5705f, v12 :: v_dual_sub_f32 v11, v11, v13
	v_sub_f32_e32 v3, v3, v8
	v_dual_add_f32 v11, v11, v12 :: v_dual_sub_f32 v3, v6, v3
	s_delay_alu instid0(VALU_DEP_1) | instskip(SKIP_2) | instid1(VALU_DEP_3)
	v_exp_f32_e32 v8, v11
	v_nop
	v_cvt_i32_f32_e32 v11, v13
	v_cndmask_b32_e32 v3, 0, v3, vcc_lo
	v_cmp_ngt_f32_e32 vcc_lo, 0xc2ce8ed0, v10
	s_delay_alu instid0(TRANS32_DEP_1) | instid1(VALU_DEP_3)
	v_ldexp_f32 v6, v8, v11
	s_delay_alu instid0(VALU_DEP_1) | instskip(NEXT) | instid1(VALU_DEP_1)
	v_dual_mul_f32 v8, 0.5, v5 :: v_dual_cndmask_b32 v6, 0, v6, vcc_lo
	v_trunc_f32_e32 v11, v8
	v_cmp_nlt_f32_e32 vcc_lo, 0x42b17218, v10
	s_delay_alu instid0(VALU_DEP_2) | instskip(NEXT) | instid1(VALU_DEP_4)
	v_cmp_neq_f32_e64 s0, v11, v8
	v_cndmask_b32_e32 v6, 0x7f800000, v6, vcc_lo
	v_cmp_eq_f32_e32 vcc_lo, v7, v5
	s_delay_alu instid0(VALU_DEP_2) | instskip(SKIP_1) | instid1(SALU_CYCLE_1)
	v_cmp_class_f32_e64 s1, v6, 0x204
	s_and_b32 s0, vcc_lo, s0
	v_dual_cndmask_b32 v7, 1.0, v4, s0 :: v_dual_add_f32 v3, v9, v3
	s_delay_alu instid0(VALU_DEP_1) | instskip(NEXT) | instid1(VALU_DEP_1)
	v_fma_f32 v3, v6, v3, v6
	v_cndmask_b32_e64 v3, v3, v6, s1
	v_cndmask_b32_e64 v6, 0x7f800000, 0, s17
	v_cmp_gt_f32_e64 s1, 0, v5
	s_delay_alu instid0(VALU_DEP_3) | instskip(SKIP_1) | instid1(SALU_CYCLE_1)
	v_bfi_b32 v3, 0x7fffffff, v3, v7
	s_xor_b32 s1, s1, s2
	v_cndmask_b32_e64 v8, 0x7f800000, 0, s1
	s_delay_alu instid0(VALU_DEP_2) | instskip(SKIP_3) | instid1(VALU_DEP_3)
	v_cndmask_b32_e32 v7, 0x7fc00000, v3, vcc_lo
	v_cmp_neq_f32_e64 vcc_lo, |v4|, 1.0
	v_cndmask_b32_e32 v6, 1.0, v6, vcc_lo
	v_cmp_gt_f32_e32 vcc_lo, 0, v4
	v_dual_cndmask_b32 v3, v3, v7, vcc_lo :: v_dual_cndmask_b32 v7, 0, v4, s0
	v_cmp_class_f32_e64 vcc_lo, v5, 0x204
	v_cmp_class_f32_e64 s0, v4, 0x204
	s_delay_alu instid0(VALU_DEP_3) | instskip(NEXT) | instid1(VALU_DEP_4)
	v_bfi_b32 v5, 0x7fffffff, v8, v7
	v_cndmask_b32_e32 v3, v3, v6, vcc_lo
	s_or_b32 vcc_lo, s2, s0
	s_delay_alu instid0(VALU_DEP_1) | instskip(SKIP_3) | instid1(VALU_DEP_3)
	v_cndmask_b32_e32 v3, v3, v5, vcc_lo
	v_cmp_o_f32_e32 vcc_lo, v4, v4
	s_wait_loadcnt 0x0
	v_cvt_f32_i32_e32 v5, v22
	v_cndmask_b32_e32 v3, 0x7fc00000, v3, vcc_lo
	s_delay_alu instid0(VALU_DEP_1)
	v_mul_f32_e32 v6, v3, v5
.LBB26_30:
	s_or_b32 exec_lo, exec_lo, s16
                                        ; implicit-def: $vgpr3
                                        ; implicit-def: $vgpr4
.LBB26_31:
	s_and_not1_saveexec_b32 s7, s7
	s_cbranch_execz .LBB26_33
; %bb.32:
	v_cvt_f32_i32_e32 v4, v4
	s_cmp_neq_f32 s5, 1.0
	s_mov_b32 s0, 0x3e76c4e1
	s_delay_alu instid0(VALU_DEP_1) | instskip(SKIP_3) | instid1(VALU_DEP_1)
	v_dual_mul_f32 v4, 0.5, v4 :: v_dual_add_nc_u32 v3, s6, v3
	s_cselect_b32 vcc_lo, -1, 0
	global_load_b32 v22, v3, s[20:21] scale_offset
	v_cndmask_b32_e32 v5, 1.0, v4, vcc_lo
	v_cmp_neq_f32_e32 vcc_lo, 0, v5
	v_cndmask_b32_e64 v4, 1.0, s5, vcc_lo
	s_delay_alu instid0(VALU_DEP_1) | instskip(SKIP_2) | instid1(VALU_DEP_3)
	v_frexp_mant_f32_e64 v6, |v4|
	v_cmp_lt_f32_e64 s6, |v4|, 1.0
	v_cmp_eq_f32_e64 s2, 0, v4
	v_cmp_gt_f32_e32 vcc_lo, 0x3f2aaaab, v6
	v_cndmask_b32_e64 v7, 1.0, 2.0, vcc_lo
	s_delay_alu instid0(VALU_DEP_1) | instskip(NEXT) | instid1(VALU_DEP_1)
	v_mul_f32_e32 v6, v6, v7
	v_dual_add_f32 v9, 1.0, v6 :: v_dual_add_f32 v7, -1.0, v6
	v_cmp_neq_f32_e64 s5, v5, |v5|
	s_delay_alu instid0(VALU_DEP_2)
	v_rcp_f32_e32 v12, v9
	v_add_f32_e32 v10, -1.0, v9
	s_xor_b32 s5, s5, s6
	s_delay_alu instid0(TRANS32_DEP_1) | instid1(VALU_DEP_1)
	v_dual_sub_f32 v6, v6, v10 :: v_dual_mul_f32 v13, v7, v12
	s_delay_alu instid0(VALU_DEP_1) | instskip(NEXT) | instid1(VALU_DEP_1)
	v_mul_f32_e32 v8, v9, v13
	v_fma_f32 v10, v13, v9, -v8
	s_delay_alu instid0(VALU_DEP_1) | instskip(NEXT) | instid1(VALU_DEP_1)
	v_fmac_f32_e32 v10, v13, v6
	v_add_f32_e32 v6, v8, v10
	s_delay_alu instid0(VALU_DEP_1) | instskip(NEXT) | instid1(VALU_DEP_1)
	v_dual_sub_f32 v9, v7, v6 :: v_dual_mov_b32 v11, v6
	v_pk_add_f32 v[6:7], v[6:7], v[8:9] neg_lo:[0,1] neg_hi:[0,1]
	s_delay_alu instid0(VALU_DEP_1) | instskip(NEXT) | instid1(VALU_DEP_1)
	v_pk_add_f32 v[6:7], v[6:7], v[10:11] neg_lo:[0,1] neg_hi:[0,1]
	v_add_f32_e32 v6, v6, v7
	s_delay_alu instid0(VALU_DEP_1) | instskip(NEXT) | instid1(VALU_DEP_1)
	v_add_f32_e32 v6, v9, v6
	v_mul_f32_e32 v7, v12, v6
	s_delay_alu instid0(VALU_DEP_1) | instskip(NEXT) | instid1(VALU_DEP_1)
	v_add_f32_e32 v6, v13, v7
	v_sub_f32_e32 v8, v6, v13
	s_delay_alu instid0(VALU_DEP_1) | instskip(NEXT) | instid1(VALU_DEP_1)
	v_sub_f32_e32 v18, v7, v8
	v_add_f32_e32 v8, v18, v18
	v_mul_f32_e32 v9, v6, v6
	s_delay_alu instid0(VALU_DEP_1) | instskip(NEXT) | instid1(VALU_DEP_1)
	v_fma_f32 v7, v6, v6, -v9
	v_fmac_f32_e32 v7, v6, v8
	s_delay_alu instid0(VALU_DEP_1) | instskip(NEXT) | instid1(VALU_DEP_1)
	v_add_f32_e32 v8, v9, v7
	v_dual_fmaak_f32 v10, s0, v8, 0x3e91f4c4 :: v_dual_sub_f32 v9, v8, v9
	s_delay_alu instid0(VALU_DEP_1) | instskip(SKIP_1) | instid1(VALU_DEP_2)
	v_fmaak_f32 v12, v8, v10, 0x3ecccdef
	v_cvt_f64_f32_e64 v[10:11], |v4|
	v_dual_sub_f32 v16, v7, v9 :: v_dual_mul_f32 v13, v8, v12
	s_delay_alu instid0(VALU_DEP_1) | instskip(NEXT) | instid1(VALU_DEP_1)
	v_fma_f32 v7, v8, v12, -v13
	v_fmac_f32_e32 v7, v16, v12
	s_wait_xcnt 0x0
	s_delay_alu instid0(VALU_DEP_1) | instskip(NEXT) | instid1(VALU_DEP_1)
	v_add_f32_e32 v3, v13, v7
	v_sub_f32_e32 v9, v3, v13
	v_add_f32_e32 v13, 0x3f2aaaaa, v3
	s_delay_alu instid0(VALU_DEP_2) | instskip(NEXT) | instid1(VALU_DEP_2)
	v_sub_f32_e32 v7, v7, v9
	v_add_f32_e32 v9, 0xbf2aaaaa, v13
	v_frexp_exp_i32_f64_e32 v17, v[10:11]
	s_delay_alu instid0(VALU_DEP_3) | instskip(NEXT) | instid1(VALU_DEP_3)
	v_add_f32_e32 v7, 0x31739010, v7
	v_sub_f32_e32 v9, v3, v9
	s_delay_alu instid0(VALU_DEP_1) | instskip(SKIP_1) | instid1(VALU_DEP_2)
	v_pk_mul_f32 v[10:11], v[6:7], v[8:9]
	v_pk_add_f32 v[14:15], v[6:7], v[8:9]
	v_fma_f32 v12, v8, v6, -v10
	s_delay_alu instid0(VALU_DEP_1) | instskip(NEXT) | instid1(VALU_DEP_1)
	v_dual_fmac_f32 v12, v8, v18 :: v_dual_mov_b32 v11, v15
	v_fmac_f32_e32 v12, v16, v6
	s_delay_alu instid0(VALU_DEP_1) | instskip(SKIP_1) | instid1(VALU_DEP_2)
	v_pk_add_f32 v[8:9], v[10:11], v[12:13]
	v_subrev_co_ci_u32_e64 v3, null, 0, v17, vcc_lo
	v_mov_b32_e32 v14, v9
	s_delay_alu instid0(VALU_DEP_3) | instskip(NEXT) | instid1(VALU_DEP_3)
	v_dual_sub_f32 v7, v13, v9 :: v_dual_sub_f32 v11, v8, v10
	v_cvt_f32_i32_e32 v3, v3
	s_delay_alu instid0(VALU_DEP_3) | instskip(NEXT) | instid1(VALU_DEP_3)
	v_pk_mul_f32 v[16:17], v[8:9], v[14:15]
	v_add_f32_e32 v7, v15, v7
	s_delay_alu instid0(VALU_DEP_4) | instskip(NEXT) | instid1(VALU_DEP_3)
	v_sub_f32_e32 v11, v12, v11
	v_fma_f32 v10, v8, v9, -v16
	s_delay_alu instid0(VALU_DEP_1) | instskip(NEXT) | instid1(VALU_DEP_1)
	v_fmac_f32_e32 v10, v8, v7
	v_fmac_f32_e32 v10, v11, v9
	v_mul_f32_e32 v14, 0x3f317218, v3
	v_ldexp_f32 v9, v6, 1
	s_delay_alu instid0(VALU_DEP_3) | instskip(NEXT) | instid1(VALU_DEP_3)
	v_add_f32_e32 v15, v16, v10
	v_fma_f32 v7, 0x3f317218, v3, -v14
	s_delay_alu instid0(VALU_DEP_2) | instskip(NEXT) | instid1(VALU_DEP_2)
	v_dual_mov_b32 v17, v9 :: v_dual_mov_b32 v12, v15
	v_fmamk_f32 v8, v3, 0xb102e308, v7
	v_ldexp_f32 v3, v18, 1
	v_mov_b32_e32 v11, v15
	s_delay_alu instid0(VALU_DEP_3) | instskip(NEXT) | instid1(VALU_DEP_1)
	v_pk_add_f32 v[6:7], v[14:15], v[8:9]
	v_dual_mov_b32 v13, v7 :: v_dual_mov_b32 v9, v6
	v_mov_b32_e32 v20, v7
	s_delay_alu instid0(VALU_DEP_2) | instskip(NEXT) | instid1(VALU_DEP_1)
	v_pk_add_f32 v[12:13], v[12:13], v[16:17] neg_lo:[0,1] neg_hi:[0,1]
	v_pk_add_f32 v[10:11], v[10:11], v[12:13] neg_lo:[0,1] neg_hi:[0,1]
	s_delay_alu instid0(VALU_DEP_1) | instskip(NEXT) | instid1(VALU_DEP_1)
	v_add_f32_e32 v3, v3, v10
	v_add_f32_e32 v15, v3, v11
	s_delay_alu instid0(VALU_DEP_1) | instskip(SKIP_1) | instid1(VALU_DEP_2)
	v_pk_add_f32 v[10:11], v[6:7], v[14:15]
	v_pk_add_f32 v[12:13], v[6:7], v[14:15] neg_lo:[0,1] neg_hi:[0,1]
	v_mov_b32_e32 v13, v11
	s_delay_alu instid0(VALU_DEP_1) | instskip(SKIP_2) | instid1(VALU_DEP_3)
	v_pk_add_f32 v[16:17], v[8:9], v[12:13]
	v_mov_b32_e32 v16, v11
	v_pk_add_f32 v[8:9], v[8:9], v[12:13] neg_lo:[0,1] neg_hi:[0,1]
	v_mov_b32_e32 v14, v17
	s_delay_alu instid0(VALU_DEP_1) | instskip(NEXT) | instid1(VALU_DEP_1)
	v_pk_add_f32 v[18:19], v[14:15], v[6:7] neg_lo:[0,1] neg_hi:[0,1]
	v_dual_mov_b32 v7, v6 :: v_dual_mov_b32 v21, v18
	v_dual_mov_b32 v6, v15 :: v_dual_mov_b32 v3, v18
	s_delay_alu instid0(VALU_DEP_2) | instskip(NEXT) | instid1(VALU_DEP_2)
	v_pk_add_f32 v[12:13], v[16:17], v[20:21] neg_lo:[0,1] neg_hi:[0,1]
	v_pk_add_f32 v[10:11], v[10:11], v[2:3] neg_lo:[0,1] neg_hi:[0,1]
	v_mov_b32_e32 v10, v8
	s_delay_alu instid0(VALU_DEP_3) | instskip(NEXT) | instid1(VALU_DEP_1)
	v_pk_add_f32 v[6:7], v[6:7], v[12:13] neg_lo:[0,1] neg_hi:[0,1]
	v_pk_add_f32 v[10:11], v[10:11], v[6:7]
	s_delay_alu instid0(VALU_DEP_1) | instskip(NEXT) | instid1(VALU_DEP_1)
	v_mov_b32_e32 v12, v11
	v_pk_add_f32 v[12:13], v[10:11], v[12:13]
	s_delay_alu instid0(VALU_DEP_1) | instskip(NEXT) | instid1(VALU_DEP_1)
	v_pk_add_f32 v[14:15], v[14:15], v[12:13]
	v_dual_mov_b32 v9, v17 :: v_dual_mov_b32 v11, v14
	s_delay_alu instid0(VALU_DEP_1) | instskip(NEXT) | instid1(VALU_DEP_1)
	v_pk_add_f32 v[16:17], v[10:11], v[8:9] neg_lo:[0,1] neg_hi:[0,1]
	v_dual_mov_b32 v7, v12 :: v_dual_sub_f32 v3, v10, v16
	s_delay_alu instid0(VALU_DEP_1) | instskip(NEXT) | instid1(VALU_DEP_2)
	v_pk_add_f32 v[6:7], v[6:7], v[16:17] neg_lo:[0,1] neg_hi:[0,1]
	v_sub_f32_e32 v3, v8, v3
	s_delay_alu instid0(VALU_DEP_1) | instskip(NEXT) | instid1(VALU_DEP_1)
	v_add_f32_e32 v3, v6, v3
	v_add_f32_e32 v3, v3, v7
	s_delay_alu instid0(VALU_DEP_1) | instskip(NEXT) | instid1(VALU_DEP_1)
	v_add_f32_e32 v6, v14, v3
	v_sub_f32_e32 v7, v6, v14
	v_mul_f32_e32 v8, v5, v6
	s_delay_alu instid0(VALU_DEP_1) | instskip(SKIP_1) | instid1(VALU_DEP_2)
	v_dual_fma_f32 v6, v5, v6, -v8 :: v_dual_sub_f32 v3, v3, v7
	v_cmp_class_f32_e64 vcc_lo, v8, 0x204
	v_fmac_f32_e32 v6, v5, v3
	s_delay_alu instid0(VALU_DEP_1) | instskip(NEXT) | instid1(VALU_DEP_1)
	v_add_f32_e32 v3, v8, v6
	v_cndmask_b32_e32 v7, v3, v8, vcc_lo
	s_delay_alu instid0(VALU_DEP_1) | instskip(SKIP_2) | instid1(VALU_DEP_2)
	v_cmp_eq_f32_e32 vcc_lo, 0x42b17218, v7
	v_cndmask_b32_e64 v9, 0, 0x37000000, vcc_lo
	v_cmp_neq_f32_e64 vcc_lo, 0x7f800000, |v7|
	v_sub_f32_e32 v10, v7, v9
	v_trunc_f32_e32 v7, v5
	s_delay_alu instid0(VALU_DEP_2) | instskip(NEXT) | instid1(VALU_DEP_1)
	v_mul_f32_e32 v11, 0x3fb8aa3b, v10
	v_fma_f32 v12, 0x3fb8aa3b, v10, -v11
	v_rndne_f32_e32 v13, v11
	s_delay_alu instid0(VALU_DEP_1) | instskip(SKIP_1) | instid1(VALU_DEP_1)
	v_dual_fmamk_f32 v12, v10, 0x32a5705f, v12 :: v_dual_sub_f32 v11, v11, v13
	v_sub_f32_e32 v3, v3, v8
	v_dual_add_f32 v11, v11, v12 :: v_dual_sub_f32 v3, v6, v3
	s_delay_alu instid0(VALU_DEP_1) | instskip(SKIP_2) | instid1(VALU_DEP_3)
	v_exp_f32_e32 v8, v11
	v_nop
	v_cvt_i32_f32_e32 v11, v13
	v_cndmask_b32_e32 v3, 0, v3, vcc_lo
	v_cmp_ngt_f32_e32 vcc_lo, 0xc2ce8ed0, v10
	s_delay_alu instid0(TRANS32_DEP_1) | instid1(VALU_DEP_3)
	v_ldexp_f32 v6, v8, v11
	s_delay_alu instid0(VALU_DEP_1) | instskip(NEXT) | instid1(VALU_DEP_1)
	v_dual_mul_f32 v8, 0.5, v5 :: v_dual_cndmask_b32 v6, 0, v6, vcc_lo
	v_trunc_f32_e32 v11, v8
	v_cmp_nlt_f32_e32 vcc_lo, 0x42b17218, v10
	s_delay_alu instid0(VALU_DEP_2) | instskip(NEXT) | instid1(VALU_DEP_4)
	v_cmp_neq_f32_e64 s0, v11, v8
	v_cndmask_b32_e32 v6, 0x7f800000, v6, vcc_lo
	v_cmp_eq_f32_e32 vcc_lo, v7, v5
	s_delay_alu instid0(VALU_DEP_2) | instskip(SKIP_1) | instid1(SALU_CYCLE_1)
	v_cmp_class_f32_e64 s1, v6, 0x204
	s_and_b32 s0, vcc_lo, s0
	v_dual_cndmask_b32 v7, 1.0, v4, s0 :: v_dual_add_f32 v3, v9, v3
	s_delay_alu instid0(VALU_DEP_1) | instskip(NEXT) | instid1(VALU_DEP_1)
	v_fma_f32 v3, v6, v3, v6
	v_cndmask_b32_e64 v3, v3, v6, s1
	v_cndmask_b32_e64 v6, 0x7f800000, 0, s5
	v_cmp_gt_f32_e64 s1, 0, v5
	s_delay_alu instid0(VALU_DEP_3) | instskip(SKIP_1) | instid1(SALU_CYCLE_1)
	v_bfi_b32 v3, 0x7fffffff, v3, v7
	s_xor_b32 s1, s1, s2
	v_cndmask_b32_e64 v8, 0x7f800000, 0, s1
	s_delay_alu instid0(VALU_DEP_2) | instskip(SKIP_3) | instid1(VALU_DEP_3)
	v_cndmask_b32_e32 v7, 0x7fc00000, v3, vcc_lo
	v_cmp_neq_f32_e64 vcc_lo, |v4|, 1.0
	v_cndmask_b32_e32 v6, 1.0, v6, vcc_lo
	v_cmp_gt_f32_e32 vcc_lo, 0, v4
	v_dual_cndmask_b32 v3, v3, v7, vcc_lo :: v_dual_cndmask_b32 v7, 0, v4, s0
	v_cmp_class_f32_e64 vcc_lo, v5, 0x204
	v_cmp_class_f32_e64 s0, v4, 0x204
	s_delay_alu instid0(VALU_DEP_3) | instskip(NEXT) | instid1(VALU_DEP_4)
	v_bfi_b32 v5, 0x7fffffff, v8, v7
	v_cndmask_b32_e32 v3, v3, v6, vcc_lo
	s_or_b32 vcc_lo, s2, s0
	s_delay_alu instid0(VALU_DEP_1) | instskip(SKIP_3) | instid1(VALU_DEP_3)
	v_cndmask_b32_e32 v3, v3, v5, vcc_lo
	v_cmp_o_f32_e32 vcc_lo, v4, v4
	s_wait_loadcnt 0x0
	v_cvt_f32_i32_e32 v5, v22
	v_cndmask_b32_e32 v3, 0x7fc00000, v3, vcc_lo
	s_delay_alu instid0(VALU_DEP_1)
	v_mul_f32_e32 v6, v3, v5
.LBB26_33:
	s_or_b32 exec_lo, exec_lo, s7
	s_delay_alu instid0(VALU_DEP_1)
	v_mul_f32_e32 v4, s8, v6
	s_cmp_eq_f32 s9, 0
	s_cbranch_scc0 .LBB26_19
.LBB26_34:
	v_mov_b32_e32 v5, s10
.LBB26_35:
	s_delay_alu instid0(VALU_DEP_1) | instskip(SKIP_1) | instid1(VALU_DEP_2)
	v_and_b32_e32 v1, 0x7fffffff, v4
	v_cmp_ngt_f32_e64 s2, 0x48000000, |v4|
                                        ; implicit-def: $vgpr7
                                        ; implicit-def: $vgpr6
	v_lshrrev_b32_e32 v3, 23, v1
	s_and_saveexec_b32 s0, s2
	s_delay_alu instid0(SALU_CYCLE_1)
	s_xor_b32 s4, exec_lo, s0
	s_cbranch_execz .LBB26_37
; %bb.36:
	s_mov_b32 s0, 0x7fffff
	v_mov_b32_e32 v7, 0
	v_and_or_b32 v6, v1, s0, 0x800000
	s_mov_b64 s[0:1], 0xfe5163ab
	s_delay_alu instid0(VALU_DEP_1) | instid1(SALU_CYCLE_1)
	v_mul_u64_e32 v[8:9], s[0:1], v[6:7]
	s_delay_alu instid0(VALU_DEP_1) | instskip(SKIP_2) | instid1(VALU_DEP_3)
	v_dual_mov_b32 v10, v9 :: v_dual_mov_b32 v11, v7
	v_dual_mov_b32 v13, v7 :: v_dual_mov_b32 v15, v7
	;; [unrolled: 1-line block ×3, first 2 shown]
	v_mad_nc_u64_u32 v[10:11], 0x3c439041, v6, v[10:11]
	v_add_nc_u32_e32 v9, 0xffffff88, v3
	s_delay_alu instid0(VALU_DEP_1) | instskip(NEXT) | instid1(VALU_DEP_3)
	v_cmp_lt_u32_e32 vcc_lo, 63, v9
	v_mov_b32_e32 v12, v11
	v_cndmask_b32_e64 v11, 0, 0xffffffc0, vcc_lo
	s_delay_alu instid0(VALU_DEP_2) | instskip(NEXT) | instid1(VALU_DEP_1)
	v_mad_nc_u64_u32 v[12:13], 0xdb629599, v6, v[12:13]
	v_dual_mov_b32 v14, v13 :: v_dual_cndmask_b32 v8, v12, v8, vcc_lo
	s_delay_alu instid0(VALU_DEP_1) | instskip(NEXT) | instid1(VALU_DEP_1)
	v_mad_nc_u64_u32 v[14:15], 0xf534ddc0, v6, v[14:15]
	v_dual_mov_b32 v16, v15 :: v_dual_cndmask_b32 v10, v14, v10, vcc_lo
	s_delay_alu instid0(VALU_DEP_1) | instskip(NEXT) | instid1(VALU_DEP_1)
	v_mad_nc_u64_u32 v[16:17], 0xfc2757d1, v6, v[16:17]
	v_dual_mov_b32 v18, v17 :: v_dual_cndmask_b32 v15, v16, v12
	s_delay_alu instid0(VALU_DEP_1) | instskip(SKIP_1) | instid1(VALU_DEP_2)
	v_mad_nc_u64_u32 v[18:19], 0x4e441529, v6, v[18:19]
	v_add_nc_u32_e32 v9, v11, v9
	v_dual_mov_b32 v21, v7 :: v_dual_mov_b32 v20, v19
	s_delay_alu instid0(VALU_DEP_3) | instskip(NEXT) | instid1(VALU_DEP_3)
	v_cndmask_b32_e32 v13, v18, v14, vcc_lo
	v_cmp_lt_u32_e64 s0, 31, v9
	s_delay_alu instid0(VALU_DEP_3) | instskip(NEXT) | instid1(VALU_DEP_2)
	v_mad_nc_u64_u32 v[6:7], 0xa2f9836e, v6, v[20:21]
	v_cndmask_b32_e64 v11, 0, 0xffffffe0, s0
	s_delay_alu instid0(VALU_DEP_1) | instskip(NEXT) | instid1(VALU_DEP_3)
	v_dual_cndmask_b32 v8, v10, v8, s0 :: v_dual_add_nc_u32 v9, v11, v9
	v_cndmask_b32_e32 v6, v6, v16, vcc_lo
	s_delay_alu instid0(VALU_DEP_2) | instskip(SKIP_1) | instid1(VALU_DEP_2)
	v_cmp_lt_u32_e64 s1, 31, v9
	v_cndmask_b32_e32 v7, v7, v18, vcc_lo
	v_cndmask_b32_e64 v11, 0, 0xffffffe0, s1
	s_delay_alu instid0(VALU_DEP_1) | instskip(NEXT) | instid1(VALU_DEP_3)
	v_add_nc_u32_e32 v9, v11, v9
	v_dual_cndmask_b32 v11, v6, v13, s0 :: v_dual_cndmask_b32 v6, v7, v6, s0
	v_dual_cndmask_b32 v7, v13, v15, s0 :: v_dual_cndmask_b32 v14, v15, v10, s0
	s_delay_alu instid0(VALU_DEP_3) | instskip(SKIP_1) | instid1(VALU_DEP_4)
	v_sub_nc_u32_e32 v13, 32, v9
	v_cmp_eq_u32_e32 vcc_lo, 0, v9
	v_cndmask_b32_e64 v6, v6, v11, s1
	s_delay_alu instid0(VALU_DEP_4) | instskip(SKIP_1) | instid1(VALU_DEP_2)
	v_cndmask_b32_e64 v11, v11, v7, s1
	v_cndmask_b32_e64 v7, v7, v14, s1
	v_alignbit_b32 v15, v6, v11, v13
	s_delay_alu instid0(VALU_DEP_2) | instskip(NEXT) | instid1(VALU_DEP_1)
	v_alignbit_b32 v12, v11, v7, v13
	v_dual_cndmask_b32 v6, v15, v6 :: v_dual_cndmask_b32 v9, v12, v11
	s_delay_alu instid0(VALU_DEP_1) | instskip(SKIP_1) | instid1(VALU_DEP_3)
	v_bfe_u32 v10, v6, 29, 1
	v_cndmask_b32_e64 v8, v14, v8, s1
	v_alignbit_b32 v11, v6, v9, 30
	s_delay_alu instid0(VALU_DEP_3) | instskip(NEXT) | instid1(VALU_DEP_3)
	v_sub_nc_u32_e32 v12, 0, v10
	v_alignbit_b32 v13, v7, v8, v13
	s_delay_alu instid0(VALU_DEP_1) | instskip(NEXT) | instid1(VALU_DEP_1)
	v_dual_cndmask_b32 v7, v13, v7, vcc_lo :: v_dual_bitop2_b32 v11, v11, v12 bitop3:0x14
	v_clz_i32_u32_e32 v13, v11
	s_delay_alu instid0(VALU_DEP_2) | instskip(SKIP_1) | instid1(VALU_DEP_3)
	v_alignbit_b32 v9, v9, v7, 30
	v_alignbit_b32 v7, v7, v8, 30
	v_min_u32_e32 v13, 32, v13
	s_delay_alu instid0(VALU_DEP_3) | instskip(NEXT) | instid1(VALU_DEP_3)
	v_xor_b32_e32 v8, v9, v12
	v_dual_lshrrev_b32 v12, 29, v6 :: v_dual_bitop2_b32 v7, v7, v12 bitop3:0x14
	s_delay_alu instid0(VALU_DEP_3) | instskip(NEXT) | instid1(VALU_DEP_1)
	v_dual_sub_nc_u32 v9, 31, v13 :: v_dual_lshlrev_b32 v14, 23, v13
	v_alignbit_b32 v11, v11, v8, v9
	s_delay_alu instid0(VALU_DEP_3) | instskip(NEXT) | instid1(VALU_DEP_4)
	v_alignbit_b32 v7, v8, v7, v9
	v_lshlrev_b32_e32 v8, 31, v12
	s_delay_alu instid0(VALU_DEP_2) | instskip(NEXT) | instid1(VALU_DEP_2)
	v_alignbit_b32 v9, v11, v7, 9
	v_dual_lshrrev_b32 v11, 9, v11 :: v_dual_bitop2_b32 v12, 0.5, v8 bitop3:0x54
	v_or_b32_e32 v8, 0x33000000, v8
	s_delay_alu instid0(VALU_DEP_3) | instskip(NEXT) | instid1(VALU_DEP_3)
	v_clz_i32_u32_e32 v15, v9
	v_sub_nc_u32_e32 v12, v12, v14
	s_delay_alu instid0(VALU_DEP_2) | instskip(NEXT) | instid1(VALU_DEP_1)
	v_min_u32_e32 v14, 32, v15
	v_add_lshl_u32 v13, v14, v13, 23
	s_delay_alu instid0(VALU_DEP_3) | instskip(SKIP_1) | instid1(VALU_DEP_2)
	v_or_b32_e32 v11, v11, v12
	v_not_b32_e32 v12, v14
	v_dual_mul_f32 v15, 0x3fc90fda, v11 :: v_dual_sub_nc_u32 v8, v8, v13
	s_delay_alu instid0(VALU_DEP_2) | instskip(NEXT) | instid1(VALU_DEP_2)
	v_alignbit_b32 v7, v9, v7, v12
	v_fma_f32 v9, 0x3fc90fda, v11, -v15
	s_delay_alu instid0(VALU_DEP_2) | instskip(NEXT) | instid1(VALU_DEP_2)
	v_lshrrev_b32_e32 v7, 9, v7
	v_fmamk_f32 v9, v11, 0x33a22168, v9
	s_delay_alu instid0(VALU_DEP_2) | instskip(NEXT) | instid1(VALU_DEP_1)
	v_or_b32_e32 v7, v8, v7
	v_fmac_f32_e32 v9, 0x3fc90fda, v7
	s_delay_alu instid0(VALU_DEP_1) | instskip(NEXT) | instid1(VALU_DEP_1)
	v_dual_add_f32 v6, v15, v9 :: v_dual_lshrrev_b32 v7, 30, v6
	v_add_nc_u32_e32 v7, v10, v7
	s_or_saveexec_b32 s0, s4
	v_mul_f32_e64 v10, 0x3f22f983, |v4|
	s_xor_b32 exec_lo, exec_lo, s0
	s_branch .LBB26_38
.LBB26_37:
	s_or_saveexec_b32 s0, s4
	v_mul_f32_e64 v10, 0x3f22f983, |v4|
	s_xor_b32 exec_lo, exec_lo, s0
.LBB26_38:
	s_delay_alu instid0(VALU_DEP_1) | instskip(NEXT) | instid1(VALU_DEP_1)
	v_rndne_f32_e32 v7, v10
	v_fma_f32 v6, 0xbfc90fda, v7, |v4|
	s_delay_alu instid0(VALU_DEP_1) | instskip(NEXT) | instid1(VALU_DEP_1)
	v_fmamk_f32 v6, v7, 0xb3a22168, v6
	v_fmamk_f32 v6, v7, 0xa7c234c4, v6
	v_cvt_i32_f32_e32 v7, v7
; %bb.39:
	s_or_b32 exec_lo, exec_lo, s0
                                        ; implicit-def: $vgpr9
                                        ; implicit-def: $vgpr8
	s_and_saveexec_b32 s0, s2
	s_delay_alu instid0(SALU_CYCLE_1)
	s_xor_b32 s2, exec_lo, s0
	s_cbranch_execz .LBB26_41
; %bb.40:
	s_mov_b32 s0, 0x7fffff
	v_mov_b32_e32 v9, 0
	v_and_or_b32 v8, v1, s0, 0x800000
	s_mov_b64 s[0:1], 0xfe5163ab
	v_add_nc_u32_e32 v3, 0xffffff88, v3
	s_delay_alu instid0(VALU_DEP_2) | instskip(NEXT) | instid1(VALU_DEP_2)
	v_mul_u64_e32 v[10:11], s[0:1], v[8:9]
	v_cmp_lt_u32_e32 vcc_lo, 63, v3
	s_delay_alu instid0(VALU_DEP_2) | instskip(SKIP_2) | instid1(VALU_DEP_3)
	v_dual_mov_b32 v12, v11 :: v_dual_mov_b32 v13, v9
	v_dual_mov_b32 v15, v9 :: v_dual_mov_b32 v17, v9
	v_dual_mov_b32 v19, v9 :: v_dual_mov_b32 v21, v9
	v_mad_nc_u64_u32 v[12:13], 0x3c439041, v8, v[12:13]
	v_cndmask_b32_e64 v11, 0, 0xffffffc0, vcc_lo
	s_delay_alu instid0(VALU_DEP_1) | instskip(NEXT) | instid1(VALU_DEP_3)
	v_dual_mov_b32 v23, v9 :: v_dual_add_nc_u32 v3, v11, v3
	v_mov_b32_e32 v14, v13
	s_delay_alu instid0(VALU_DEP_2) | instskip(NEXT) | instid1(VALU_DEP_2)
	v_cmp_lt_u32_e64 s0, 31, v3
	v_mad_nc_u64_u32 v[14:15], 0xdb629599, v8, v[14:15]
	s_delay_alu instid0(VALU_DEP_2) | instskip(NEXT) | instid1(VALU_DEP_1)
	v_cndmask_b32_e64 v11, 0, 0xffffffe0, s0
	v_add_nc_u32_e32 v3, v11, v3
	s_delay_alu instid0(VALU_DEP_3) | instskip(NEXT) | instid1(VALU_DEP_2)
	v_mov_b32_e32 v16, v15
	v_cmp_lt_u32_e64 s1, 31, v3
	v_cndmask_b32_e32 v10, v14, v10, vcc_lo
	s_delay_alu instid0(VALU_DEP_3) | instskip(NEXT) | instid1(VALU_DEP_3)
	v_mad_nc_u64_u32 v[16:17], 0xf534ddc0, v8, v[16:17]
	v_cndmask_b32_e64 v11, 0, 0xffffffe0, s1
	s_delay_alu instid0(VALU_DEP_1) | instskip(NEXT) | instid1(VALU_DEP_3)
	v_dual_add_nc_u32 v3, v11, v3 :: v_dual_cndmask_b32 v11, v16, v12, vcc_lo
	v_mov_b32_e32 v18, v17
	s_delay_alu instid0(VALU_DEP_1) | instskip(NEXT) | instid1(VALU_DEP_1)
	v_mad_nc_u64_u32 v[18:19], 0xfc2757d1, v8, v[18:19]
	v_dual_mov_b32 v20, v19 :: v_dual_cndmask_b32 v15, v18, v14
	s_delay_alu instid0(VALU_DEP_1) | instskip(NEXT) | instid1(VALU_DEP_1)
	v_mad_nc_u64_u32 v[20:21], 0x4e441529, v8, v[20:21]
	v_dual_mov_b32 v22, v21 :: v_dual_cndmask_b32 v13, v20, v16
	s_delay_alu instid0(VALU_DEP_1) | instskip(NEXT) | instid1(VALU_DEP_1)
	v_mad_nc_u64_u32 v[8:9], 0xa2f9836e, v8, v[22:23]
	v_dual_cndmask_b32 v8, v8, v18 :: v_dual_cndmask_b32 v9, v9, v20
	v_cmp_eq_u32_e32 vcc_lo, 0, v3
	s_delay_alu instid0(VALU_DEP_2) | instskip(SKIP_2) | instid1(VALU_DEP_3)
	v_dual_cndmask_b32 v12, v8, v13, s0 :: v_dual_cndmask_b32 v8, v9, v8, s0
	v_cndmask_b32_e64 v9, v13, v15, s0
	v_sub_nc_u32_e32 v13, 32, v3
	v_dual_cndmask_b32 v15, v15, v11, s0 :: v_dual_cndmask_b32 v8, v8, v12, s1
	s_delay_alu instid0(VALU_DEP_3) | instskip(NEXT) | instid1(VALU_DEP_1)
	v_cndmask_b32_e64 v12, v12, v9, s1
	v_alignbit_b32 v16, v8, v12, v13
	s_delay_alu instid0(VALU_DEP_1) | instskip(NEXT) | instid1(VALU_DEP_1)
	v_dual_cndmask_b32 v9, v9, v15, s1 :: v_dual_cndmask_b32 v3, v16, v8, vcc_lo
	v_alignbit_b32 v14, v12, v9, v13
	v_cndmask_b32_e64 v8, v11, v10, s0
	s_delay_alu instid0(VALU_DEP_3) | instskip(NEXT) | instid1(VALU_DEP_3)
	v_bfe_u32 v11, v3, 29, 1
	v_cndmask_b32_e32 v10, v14, v12, vcc_lo
	s_delay_alu instid0(VALU_DEP_2) | instskip(NEXT) | instid1(VALU_DEP_2)
	v_dual_cndmask_b32 v8, v15, v8, s1 :: v_dual_sub_nc_u32 v14, 0, v11
	v_alignbit_b32 v12, v3, v10, 30
	s_delay_alu instid0(VALU_DEP_2) | instskip(NEXT) | instid1(VALU_DEP_1)
	v_alignbit_b32 v13, v9, v8, v13
	v_dual_cndmask_b32 v9, v13, v9, vcc_lo :: v_dual_bitop2_b32 v12, v12, v14 bitop3:0x14
	s_delay_alu instid0(VALU_DEP_1) | instskip(NEXT) | instid1(VALU_DEP_2)
	v_clz_i32_u32_e32 v13, v12
	v_alignbit_b32 v10, v10, v9, 30
	v_alignbit_b32 v8, v9, v8, 30
	s_delay_alu instid0(VALU_DEP_3) | instskip(NEXT) | instid1(VALU_DEP_3)
	v_min_u32_e32 v13, 32, v13
	v_xor_b32_e32 v9, v10, v14
	s_delay_alu instid0(VALU_DEP_3) | instskip(NEXT) | instid1(VALU_DEP_3)
	v_dual_lshrrev_b32 v14, 29, v3 :: v_dual_bitop2_b32 v8, v8, v14 bitop3:0x14
	v_dual_lshrrev_b32 v3, 30, v3 :: v_dual_sub_nc_u32 v10, 31, v13
	v_lshlrev_b32_e32 v15, 23, v13
	s_delay_alu instid0(VALU_DEP_2) | instskip(NEXT) | instid1(VALU_DEP_4)
	v_alignbit_b32 v12, v12, v9, v10
	v_alignbit_b32 v8, v9, v8, v10
	v_lshlrev_b32_e32 v9, 31, v14
	s_delay_alu instid0(VALU_DEP_2) | instskip(NEXT) | instid1(VALU_DEP_2)
	v_alignbit_b32 v10, v12, v8, 9
	v_dual_lshrrev_b32 v12, 9, v12 :: v_dual_bitop2_b32 v14, 0.5, v9 bitop3:0x54
	v_or_b32_e32 v9, 0x33000000, v9
	s_delay_alu instid0(VALU_DEP_3) | instskip(NEXT) | instid1(VALU_DEP_3)
	v_clz_i32_u32_e32 v16, v10
	v_sub_nc_u32_e32 v14, v14, v15
	s_delay_alu instid0(VALU_DEP_2) | instskip(NEXT) | instid1(VALU_DEP_1)
	v_min_u32_e32 v15, 32, v16
	v_add_lshl_u32 v13, v15, v13, 23
	s_delay_alu instid0(VALU_DEP_1) | instskip(SKIP_1) | instid1(VALU_DEP_1)
	v_dual_sub_nc_u32 v9, v9, v13 :: v_dual_bitop2_b32 v12, v12, v14 bitop3:0x54
	v_not_b32_e32 v14, v15
	v_alignbit_b32 v8, v10, v8, v14
	s_delay_alu instid0(VALU_DEP_1) | instskip(NEXT) | instid1(VALU_DEP_4)
	v_lshrrev_b32_e32 v8, 9, v8
	v_mul_f32_e32 v16, 0x3fc90fda, v12
	s_delay_alu instid0(VALU_DEP_2) | instskip(NEXT) | instid1(VALU_DEP_2)
	v_or_b32_e32 v8, v9, v8
	v_fma_f32 v10, 0x3fc90fda, v12, -v16
	s_delay_alu instid0(VALU_DEP_1) | instskip(NEXT) | instid1(VALU_DEP_1)
	v_dual_fmamk_f32 v10, v12, 0x33a22168, v10 :: v_dual_add_nc_u32 v9, v11, v3
	v_fmac_f32_e32 v10, 0x3fc90fda, v8
	s_delay_alu instid0(VALU_DEP_1)
	v_add_f32_e32 v8, v16, v10
                                        ; implicit-def: $vgpr10
	s_and_not1_saveexec_b32 s0, s2
	s_cbranch_execnz .LBB26_42
	s_branch .LBB26_43
.LBB26_41:
	s_and_not1_saveexec_b32 s0, s2
.LBB26_42:
	v_rndne_f32_e32 v3, v10
	s_delay_alu instid0(VALU_DEP_1) | instskip(SKIP_1) | instid1(VALU_DEP_2)
	v_fma_f32 v8, 0xbfc90fda, v3, |v4|
	v_cvt_i32_f32_e32 v9, v3
	v_fmamk_f32 v8, v3, 0xb3a22168, v8
	s_delay_alu instid0(VALU_DEP_1)
	v_fmamk_f32 v8, v3, 0xa7c234c4, v8
.LBB26_43:
	s_or_b32 exec_lo, exec_lo, s0
	v_ashrrev_i32_e32 v3, 31, v2
	s_lshr_b32 s0, s3, 31
	s_mov_b32 s2, 0xb94c1982
	s_add_co_i32 s0, s3, s0
	s_mov_b32 s3, 0x37d75334
	s_ashr_i32 s0, s0, 1
	v_lshl_add_u64 v[10:11], v[2:3], 2, s[12:13]
	s_ashr_i32 s1, s0, 31
	v_mul_f32_e32 v3, v8, v8
	s_lshl_b64 s[0:1], s[0:1], 2
	s_delay_alu instid0(VALU_DEP_2) | instid1(SALU_CYCLE_1)
	v_add_nc_u64_e32 v[10:11], s[0:1], v[10:11]
	s_clause 0x1
	global_load_b32 v12, v[10:11], off
	global_load_b32 v13, v2, s[12:13] scale_offset
	s_wait_xcnt 0x0
	v_dual_mul_f32 v2, v6, v6 :: v_dual_bitop2_b32 v10, 1, v7 bitop3:0x40
	v_lshlrev_b32_e32 v7, 30, v7
	v_fmaak_f32 v15, s2, v3, 0x3c0881c4
	v_fmaak_f32 v16, s3, v3, 0xbab64f3b
	s_delay_alu instid0(VALU_DEP_4) | instskip(SKIP_1) | instid1(VALU_DEP_4)
	v_fmaak_f32 v14, s3, v2, 0xbab64f3b
	v_cmp_eq_u32_e32 vcc_lo, 0, v10
	v_fmaak_f32 v15, v3, v15, 0xbe2aaa9d
	s_delay_alu instid0(VALU_DEP_1) | instskip(NEXT) | instid1(VALU_DEP_1)
	v_dual_fmaak_f32 v14, v2, v14, 0x3d2aabf7 :: v_dual_mul_f32 v15, v3, v15
	v_dual_fmaak_f32 v11, s2, v2, 0x3c0881c4 :: v_dual_fmac_f32 v8, v8, v15
	s_delay_alu instid0(VALU_DEP_1) | instskip(SKIP_1) | instid1(VALU_DEP_2)
	v_fmaak_f32 v11, v2, v11, 0xbe2aaa9d
	v_dual_lshlrev_b32 v9, 30, v9 :: v_dual_bitop2_b32 v17, 1, v9 bitop3:0x40
	v_dual_fmaak_f32 v16, v3, v16, 0x3d2aabf7 :: v_dual_mul_f32 v11, v2, v11
	v_xor_b32_e32 v1, v1, v4
	s_delay_alu instid0(VALU_DEP_3) | instskip(NEXT) | instid1(VALU_DEP_3)
	v_and_b32_e32 v9, 0x80000000, v9
	v_fmaak_f32 v16, v3, v16, 0xbf000004
	s_delay_alu instid0(VALU_DEP_4) | instskip(NEXT) | instid1(VALU_DEP_2)
	v_fmac_f32_e32 v6, v6, v11
	v_fma_f32 v3, v3, v16, 1.0
	v_fmaak_f32 v14, v2, v14, 0xbf000004
	s_delay_alu instid0(VALU_DEP_1) | instskip(NEXT) | instid1(VALU_DEP_1)
	v_fma_f32 v2, v2, v14, 1.0
	v_cndmask_b32_e64 v2, -v6, v2, vcc_lo
	v_cmp_eq_u32_e32 vcc_lo, 0, v17
	s_delay_alu instid0(VALU_DEP_2) | instskip(SKIP_2) | instid1(VALU_DEP_2)
	v_bitop3_b32 v2, v7, v2, 0x80000000 bitop3:0x6c
	v_cndmask_b32_e32 v3, v3, v8, vcc_lo
	v_cmp_class_f32_e64 vcc_lo, v4, 0x1f8
	v_xor3_b32 v1, v1, v9, v3
	s_delay_alu instid0(VALU_DEP_4) | instskip(NEXT) | instid1(VALU_DEP_2)
	v_cndmask_b32_e32 v4, 0x7fc00000, v2, vcc_lo
	v_dual_cndmask_b32 v2, 0x7fc00000, v1 :: v_dual_ashrrev_i32 v1, 31, v0
	s_delay_alu instid0(VALU_DEP_1) | instskip(NEXT) | instid1(VALU_DEP_2)
	v_mul_f32_e64 v6, v2, -v5
	v_lshl_add_u64 v[2:3], v[0:1], 2, s[14:15]
	s_delay_alu instid0(VALU_DEP_4) | instskip(NEXT) | instid1(VALU_DEP_2)
	v_mul_f32_e32 v1, v5, v4
	v_add_nc_u64_e32 v[2:3], s[0:1], v[2:3]
	s_wait_loadcnt 0x0
	v_dual_mul_f32 v4, v12, v6 :: v_dual_mul_f32 v5, v13, v6
	s_delay_alu instid0(VALU_DEP_1)
	v_dual_fma_f32 v4, v1, v13, -v4 :: v_dual_fmac_f32 v5, v1, v12
	s_clause 0x1
	global_store_b32 v0, v4, s[14:15] scale_offset
	global_store_b32 v[2:3], v5, off
.LBB26_44:
	s_endpgm
	.section	.rodata,"a",@progbits
	.p2align	6, 0x0
	.amdhsa_kernel _ZL10rope_multiILb0ELb0EfEvPKT1_PS0_iiiiiiiiiiPKifff14rope_corr_dimsfPKf14mrope_sectionsb
		.amdhsa_group_segment_fixed_size 0
		.amdhsa_private_segment_fixed_size 0
		.amdhsa_kernarg_size 376
		.amdhsa_user_sgpr_count 2
		.amdhsa_user_sgpr_dispatch_ptr 0
		.amdhsa_user_sgpr_queue_ptr 0
		.amdhsa_user_sgpr_kernarg_segment_ptr 1
		.amdhsa_user_sgpr_dispatch_id 0
		.amdhsa_user_sgpr_kernarg_preload_length 0
		.amdhsa_user_sgpr_kernarg_preload_offset 0
		.amdhsa_user_sgpr_private_segment_size 0
		.amdhsa_wavefront_size32 1
		.amdhsa_uses_dynamic_stack 0
		.amdhsa_enable_private_segment 0
		.amdhsa_system_sgpr_workgroup_id_x 1
		.amdhsa_system_sgpr_workgroup_id_y 1
		.amdhsa_system_sgpr_workgroup_id_z 0
		.amdhsa_system_sgpr_workgroup_info 0
		.amdhsa_system_vgpr_workitem_id 1
		.amdhsa_next_free_vgpr 25
		.amdhsa_next_free_sgpr 25
		.amdhsa_named_barrier_count 0
		.amdhsa_reserve_vcc 1
		.amdhsa_float_round_mode_32 0
		.amdhsa_float_round_mode_16_64 0
		.amdhsa_float_denorm_mode_32 3
		.amdhsa_float_denorm_mode_16_64 3
		.amdhsa_fp16_overflow 0
		.amdhsa_memory_ordered 1
		.amdhsa_forward_progress 1
		.amdhsa_inst_pref_size 105
		.amdhsa_round_robin_scheduling 0
		.amdhsa_exception_fp_ieee_invalid_op 0
		.amdhsa_exception_fp_denorm_src 0
		.amdhsa_exception_fp_ieee_div_zero 0
		.amdhsa_exception_fp_ieee_overflow 0
		.amdhsa_exception_fp_ieee_underflow 0
		.amdhsa_exception_fp_ieee_inexact 0
		.amdhsa_exception_int_div_zero 0
	.end_amdhsa_kernel
	.section	.text._ZL10rope_multiILb0ELb0EfEvPKT1_PS0_iiiiiiiiiiPKifff14rope_corr_dimsfPKf14mrope_sectionsb,"axG",@progbits,_ZL10rope_multiILb0ELb0EfEvPKT1_PS0_iiiiiiiiiiPKifff14rope_corr_dimsfPKf14mrope_sectionsb,comdat
.Lfunc_end26:
	.size	_ZL10rope_multiILb0ELb0EfEvPKT1_PS0_iiiiiiiiiiPKifff14rope_corr_dimsfPKf14mrope_sectionsb, .Lfunc_end26-_ZL10rope_multiILb0ELb0EfEvPKT1_PS0_iiiiiiiiiiPKifff14rope_corr_dimsfPKf14mrope_sectionsb
                                        ; -- End function
	.set _ZL10rope_multiILb0ELb0EfEvPKT1_PS0_iiiiiiiiiiPKifff14rope_corr_dimsfPKf14mrope_sectionsb.num_vgpr, 25
	.set _ZL10rope_multiILb0ELb0EfEvPKT1_PS0_iiiiiiiiiiPKifff14rope_corr_dimsfPKf14mrope_sectionsb.num_agpr, 0
	.set _ZL10rope_multiILb0ELb0EfEvPKT1_PS0_iiiiiiiiiiPKifff14rope_corr_dimsfPKf14mrope_sectionsb.numbered_sgpr, 25
	.set _ZL10rope_multiILb0ELb0EfEvPKT1_PS0_iiiiiiiiiiPKifff14rope_corr_dimsfPKf14mrope_sectionsb.num_named_barrier, 0
	.set _ZL10rope_multiILb0ELb0EfEvPKT1_PS0_iiiiiiiiiiPKifff14rope_corr_dimsfPKf14mrope_sectionsb.private_seg_size, 0
	.set _ZL10rope_multiILb0ELb0EfEvPKT1_PS0_iiiiiiiiiiPKifff14rope_corr_dimsfPKf14mrope_sectionsb.uses_vcc, 1
	.set _ZL10rope_multiILb0ELb0EfEvPKT1_PS0_iiiiiiiiiiPKifff14rope_corr_dimsfPKf14mrope_sectionsb.uses_flat_scratch, 0
	.set _ZL10rope_multiILb0ELb0EfEvPKT1_PS0_iiiiiiiiiiPKifff14rope_corr_dimsfPKf14mrope_sectionsb.has_dyn_sized_stack, 0
	.set _ZL10rope_multiILb0ELb0EfEvPKT1_PS0_iiiiiiiiiiPKifff14rope_corr_dimsfPKf14mrope_sectionsb.has_recursion, 0
	.set _ZL10rope_multiILb0ELb0EfEvPKT1_PS0_iiiiiiiiiiPKifff14rope_corr_dimsfPKf14mrope_sectionsb.has_indirect_call, 0
	.section	.AMDGPU.csdata,"",@progbits
; Kernel info:
; codeLenInByte = 13384
; TotalNumSgprs: 27
; NumVgprs: 25
; ScratchSize: 0
; MemoryBound: 0
; FloatMode: 240
; IeeeMode: 1
; LDSByteSize: 0 bytes/workgroup (compile time only)
; SGPRBlocks: 0
; VGPRBlocks: 1
; NumSGPRsForWavesPerEU: 27
; NumVGPRsForWavesPerEU: 25
; NamedBarCnt: 0
; Occupancy: 16
; WaveLimiterHint : 0
; COMPUTE_PGM_RSRC2:SCRATCH_EN: 0
; COMPUTE_PGM_RSRC2:USER_SGPR: 2
; COMPUTE_PGM_RSRC2:TRAP_HANDLER: 0
; COMPUTE_PGM_RSRC2:TGID_X_EN: 1
; COMPUTE_PGM_RSRC2:TGID_Y_EN: 1
; COMPUTE_PGM_RSRC2:TGID_Z_EN: 0
; COMPUTE_PGM_RSRC2:TIDIG_COMP_CNT: 1
	.section	.text._ZL10rope_multiILb0ELb1EfEvPKT1_PS0_iiiiiiiiiiPKifff14rope_corr_dimsfPKf14mrope_sectionsb,"axG",@progbits,_ZL10rope_multiILb0ELb1EfEvPKT1_PS0_iiiiiiiiiiPKifff14rope_corr_dimsfPKf14mrope_sectionsb,comdat
	.globl	_ZL10rope_multiILb0ELb1EfEvPKT1_PS0_iiiiiiiiiiPKifff14rope_corr_dimsfPKf14mrope_sectionsb ; -- Begin function _ZL10rope_multiILb0ELb1EfEvPKT1_PS0_iiiiiiiiiiPKifff14rope_corr_dimsfPKf14mrope_sectionsb
	.p2align	8
	.type	_ZL10rope_multiILb0ELb1EfEvPKT1_PS0_iiiiiiiiiiPKifff14rope_corr_dimsfPKf14mrope_sectionsb,@function
_ZL10rope_multiILb0ELb1EfEvPKT1_PS0_iiiiiiiiiiPKifff14rope_corr_dimsfPKf14mrope_sectionsb: ; @_ZL10rope_multiILb0ELb1EfEvPKT1_PS0_iiiiiiiiiiPKifff14rope_corr_dimsfPKf14mrope_sectionsb
; %bb.0:
	s_clause 0x1
	s_load_u16 s3, s[0:1], 0x86
	s_load_b256 s[4:11], s[0:1], 0x10
	s_bfe_u32 s2, ttmp6, 0x40010
	s_bfe_u32 s13, ttmp6, 0x40004
	s_add_co_i32 s2, s2, 1
	v_bfe_u32 v1, v0, 10, 10
	s_mul_i32 s12, ttmp7, s2
	s_getreg_b32 s2, hwreg(HW_REG_IB_STS2, 6, 4)
	s_add_co_i32 s13, s13, s12
	s_cmp_eq_u32 s2, 0
	s_cselect_b32 s12, ttmp7, s13
	s_wait_kmcnt 0x0
	s_mul_i32 s12, s12, s3
	s_mov_b32 s3, exec_lo
	v_add_lshl_u32 v4, s12, v1, 1
	s_delay_alu instid0(VALU_DEP_1)
	v_cmpx_gt_i32_e64 s4, v4
	s_cbranch_execz .LBB27_44
; %bb.1:
	s_add_nc_u64 s[12:13], s[0:1], 0x78
	s_bfe_u32 s4, ttmp6, 0x4000c
	s_load_b32 s3, s[12:13], 0xc
	s_add_co_i32 s4, s4, 1
	s_wait_xcnt 0x0
	s_and_b32 s12, ttmp6, 15
	s_mul_i32 s4, ttmp9, s4
	v_and_b32_e32 v0, 0x3ff, v0
	s_add_co_i32 s12, s12, s4
	s_load_b64 s[20:21], s[0:1], 0x30
	s_wait_kmcnt 0x0
	s_and_b32 s3, s3, 0xffff
	s_cmp_eq_u32 s2, 0
	s_mul_i32 s2, s6, s5
	s_cselect_b32 s4, ttmp9, s12
	s_abs_i32 s12, s2
	v_mad_u32 v0, s4, s3, v0
	s_cvt_f32_u32 s13, s12
	s_sub_co_i32 s4, 0, s12
	s_delay_alu instid0(SALU_CYCLE_2) | instskip(SKIP_1) | instid1(TRANS32_DEP_1)
	v_rcp_iflag_f32_e32 v1, s13
	v_nop
	v_readfirstlane_b32 s3, v1
	s_delay_alu instid0(VALU_DEP_3) | instskip(SKIP_1) | instid1(VALU_DEP_1)
	v_sub_nc_u32_e32 v1, 0, v0
	s_mul_f32 s3, s3, 0x4f7ffffe
	v_max_i32_e32 v1, v0, v1
	s_delay_alu instid0(SALU_CYCLE_2) | instskip(NEXT) | instid1(SALU_CYCLE_3)
	s_cvt_u32_f32 s3, s3
	s_mul_i32 s4, s4, s3
	s_delay_alu instid0(SALU_CYCLE_1) | instskip(NEXT) | instid1(SALU_CYCLE_1)
	s_mul_hi_u32 s4, s3, s4
	s_add_co_i32 s3, s3, s4
	s_delay_alu instid0(SALU_CYCLE_1) | instskip(SKIP_1) | instid1(VALU_DEP_1)
	v_mul_hi_u32 v2, v1, s3
	s_cvt_f32_u32 s3, s5
	v_mul_lo_u32 v3, v2, s12
	s_delay_alu instid0(VALU_DEP_1) | instskip(NEXT) | instid1(VALU_DEP_1)
	v_dual_sub_nc_u32 v1, v1, v3 :: v_dual_add_nc_u32 v3, 1, v2
	v_cmp_le_u32_e32 vcc_lo, s12, v1
	s_delay_alu instid0(VALU_DEP_2) | instskip(SKIP_1) | instid1(VALU_DEP_1)
	v_dual_cndmask_b32 v2, v2, v3, vcc_lo :: v_dual_bitop2_b32 v3, s2, v0 bitop3:0x14
	v_subrev_nc_u32_e32 v5, s12, v1
	v_dual_cndmask_b32 v1, v1, v5, vcc_lo :: v_dual_add_nc_u32 v5, 1, v2
	s_delay_alu instid0(VALU_DEP_1) | instskip(NEXT) | instid1(VALU_DEP_4)
	v_cmp_le_u32_e32 vcc_lo, s12, v1
	v_ashrrev_i32_e32 v3, 31, v3
	s_load_b128 s[12:15], s[0:1], 0x0
	s_delay_alu instid0(VALU_DEP_3) | instskip(SKIP_1) | instid1(VALU_DEP_1)
	v_cndmask_b32_e32 v1, v2, v5, vcc_lo
	v_rcp_iflag_f32_e32 v2, s3
	v_xor_b32_e32 v1, v1, v3
	s_delay_alu instid0(TRANS32_DEP_1) | instskip(NEXT) | instid1(VALU_DEP_2)
	v_readfirstlane_b32 s3, v2
	v_sub_nc_u32_e32 v3, v1, v3
	s_delay_alu instid0(VALU_DEP_1) | instskip(SKIP_2) | instid1(SALU_CYCLE_2)
	v_mul_lo_u32 v1, s2, v3
	s_mul_f32 s2, s3, 0x4f7ffffe
	s_sub_co_i32 s3, 0, s5
	s_cvt_u32_f32 s2, s2
	s_delay_alu instid0(SALU_CYCLE_3) | instskip(NEXT) | instid1(VALU_DEP_1)
	s_mul_i32 s3, s3, s2
	v_sub_nc_u32_e32 v0, v0, v1
	s_mul_hi_u32 s3, s2, s3
	s_delay_alu instid0(SALU_CYCLE_1)
	s_add_co_i32 s2, s2, s3
	s_delay_alu instid0(VALU_DEP_1) | instid1(SALU_CYCLE_1)
	v_mul_hi_u32 v1, v0, s2
	s_mov_b32 s2, exec_lo
	s_delay_alu instid0(VALU_DEP_1) | instskip(NEXT) | instid1(VALU_DEP_1)
	v_mul_lo_u32 v2, v1, s5
	v_dual_add_nc_u32 v5, 1, v1 :: v_dual_sub_nc_u32 v2, v0, v2
	s_delay_alu instid0(VALU_DEP_1) | instskip(SKIP_1) | instid1(VALU_DEP_2)
	v_subrev_nc_u32_e32 v6, s5, v2
	v_cmp_le_u32_e32 vcc_lo, s5, v2
	v_dual_cndmask_b32 v5, v1, v5 :: v_dual_cndmask_b32 v2, v2, v6
	s_delay_alu instid0(VALU_DEP_1) | instskip(NEXT) | instid1(VALU_DEP_2)
	v_dual_ashrrev_i32 v1, 1, v4 :: v_dual_add_nc_u32 v6, 1, v5
	v_cmp_le_u32_e32 vcc_lo, s5, v2
	s_delay_alu instid0(VALU_DEP_2) | instskip(SKIP_1) | instid1(VALU_DEP_4)
	v_mad_u32 v7, v3, s20, v1
	v_mad_u32 v8, v3, s9, v1
	v_cndmask_b32_e32 v3, v5, v6, vcc_lo
	s_delay_alu instid0(VALU_DEP_1) | instskip(NEXT) | instid1(VALU_DEP_4)
	v_mul_lo_u32 v2, v3, s5
	v_mad_u32 v5, v3, s11, v7
	s_delay_alu instid0(VALU_DEP_4) | instskip(NEXT) | instid1(VALU_DEP_3)
	v_mad_u32 v6, v3, s8, v8
	v_sub_nc_u32_e32 v2, v0, v2
	s_delay_alu instid0(VALU_DEP_1) | instskip(NEXT) | instid1(VALU_DEP_3)
	v_mad_u32 v0, v2, s10, v5
	v_mad_u32 v2, v2, s7, v6
	v_cmpx_le_i32_e64 s21, v4
	s_xor_b32 s2, exec_lo, s2
	s_cbranch_execz .LBB27_3
; %bb.2:
	s_delay_alu instid0(VALU_DEP_2)
	v_dual_add_nc_u32 v2, v2, v1 :: v_dual_add_nc_u32 v0, v0, v1
                                        ; implicit-def: $vgpr4
	s_wait_kmcnt 0x0
	global_load_b32 v3, v2, s[12:13] scale_offset
	s_wait_loadcnt 0x0
	global_store_b32 v0, v3, s[14:15] scale_offset
	global_load_b32 v1, v2, s[12:13] offset:4 scale_offset
                                        ; implicit-def: $vgpr2
                                        ; implicit-def: $vgpr3
	s_wait_loadcnt 0x0
	global_store_b32 v0, v1, s[14:15] offset:4 scale_offset
                                        ; implicit-def: $vgpr0
                                        ; implicit-def: $vgpr1
.LBB27_3:
	s_wait_xcnt 0x0
	s_and_not1_saveexec_b32 s2, s2
	s_cbranch_execz .LBB27_44
; %bb.4:
	s_clause 0x3
	s_load_b128 s[16:19], s[0:1], 0x60
	s_load_b64 s[22:23], s[0:1], 0x50
	s_load_b64 s[24:25], s[0:1], 0x38
	s_load_b128 s[8:11], s[0:1], 0x40
	v_ashrrev_i32_e32 v7, 31, v1
	s_wait_kmcnt 0x0
	s_add_co_i32 s2, s17, s16
	s_delay_alu instid0(SALU_CYCLE_1) | instskip(NEXT) | instid1(SALU_CYCLE_1)
	s_add_co_i32 s7, s2, s18
	s_add_co_i32 s3, s7, s19
	s_delay_alu instid0(SALU_CYCLE_1) | instskip(NEXT) | instid1(SALU_CYCLE_1)
	s_abs_i32 s3, s3
	s_cvt_f32_u32 s4, s3
	s_sub_co_i32 s5, 0, s3
	s_delay_alu instid0(SALU_CYCLE_2) | instskip(SKIP_1) | instid1(TRANS32_DEP_1)
	v_rcp_iflag_f32_e32 v5, s4
	v_nop
	v_readfirstlane_b32 s4, v5
	v_sub_nc_u32_e32 v5, 0, v1
	s_mul_f32 s4, s4, 0x4f7ffffe
	s_delay_alu instid0(VALU_DEP_1) | instskip(NEXT) | instid1(SALU_CYCLE_2)
	v_max_i32_e32 v5, v1, v5
	s_cvt_u32_f32 s4, s4
	s_delay_alu instid0(SALU_CYCLE_3) | instskip(NEXT) | instid1(SALU_CYCLE_1)
	s_mul_i32 s5, s5, s4
	s_mul_hi_u32 s5, s4, s5
	s_delay_alu instid0(SALU_CYCLE_1) | instskip(NEXT) | instid1(SALU_CYCLE_1)
	s_add_co_i32 s4, s4, s5
	v_mul_hi_u32 v6, v5, s4
	s_load_b32 s4, s[0:1], 0x70
	s_delay_alu instid0(VALU_DEP_1) | instskip(NEXT) | instid1(VALU_DEP_1)
	v_mul_lo_u32 v6, v6, s3
	v_sub_nc_u32_e32 v5, v5, v6
	s_delay_alu instid0(VALU_DEP_1) | instskip(SKIP_1) | instid1(VALU_DEP_2)
	v_subrev_nc_u32_e32 v6, s3, v5
	v_cmp_le_u32_e32 vcc_lo, s3, v5
	v_cndmask_b32_e32 v5, v5, v6, vcc_lo
	s_delay_alu instid0(VALU_DEP_1) | instskip(SKIP_3) | instid1(SALU_CYCLE_1)
	v_subrev_nc_u32_e32 v6, s3, v5
	v_cmp_le_u32_e32 vcc_lo, s3, v5
	s_wait_kmcnt 0x0
	s_and_b32 s3, s4, 1
	s_cmp_eq_u32 s3, 0
	v_cndmask_b32_e32 v5, v5, v6, vcc_lo
	s_delay_alu instid0(VALU_DEP_1) | instskip(NEXT) | instid1(VALU_DEP_1)
	v_xor_b32_e32 v5, v5, v7
	v_sub_nc_u32_e32 v5, v5, v7
	s_cbranch_scc0 .LBB27_18
; %bb.5:
                                        ; implicit-def: $vgpr6
	s_mov_b32 s3, exec_lo
	s_delay_alu instid0(VALU_DEP_1)
	v_cmpx_le_i32_e64 s16, v5
	s_xor_b32 s5, exec_lo, s3
	s_cbranch_execz .LBB27_15
; %bb.6:
	v_cmp_le_i32_e32 vcc_lo, s2, v5
                                        ; implicit-def: $vgpr6
	s_and_saveexec_b32 s2, vcc_lo
	s_delay_alu instid0(SALU_CYCLE_1)
	s_xor_b32 s19, exec_lo, s2
	s_cbranch_execz .LBB27_12
; %bb.7:
	v_cvt_f32_i32_e32 v6, v4
	s_cmp_neq_f32 s23, 1.0
	s_mov_b32 s2, 0x3e76c4e1
	s_cselect_b32 vcc_lo, -1, 0
	s_delay_alu instid0(VALU_DEP_1) | instskip(NEXT) | instid1(VALU_DEP_1)
	v_mul_f32_e32 v6, 0.5, v6
	v_cndmask_b32_e32 v7, 1.0, v6, vcc_lo
	s_delay_alu instid0(VALU_DEP_1) | instskip(SKIP_1) | instid1(VALU_DEP_1)
	v_cmp_neq_f32_e32 vcc_lo, 0, v7
	v_cndmask_b32_e64 v6, 1.0, s23, vcc_lo
	v_frexp_mant_f32_e64 v8, |v6|
	v_cmp_lt_f32_e64 s26, |v6|, 1.0
	v_cmp_eq_f32_e64 s4, 0, v6
	s_delay_alu instid0(VALU_DEP_3) | instskip(SKIP_1) | instid1(VALU_DEP_1)
	v_cmp_gt_f32_e32 vcc_lo, 0x3f2aaaab, v8
	v_cndmask_b32_e64 v9, 1.0, 2.0, vcc_lo
	v_mul_f32_e32 v8, v8, v9
	s_delay_alu instid0(VALU_DEP_1) | instskip(SKIP_1) | instid1(VALU_DEP_2)
	v_dual_add_f32 v11, 1.0, v8 :: v_dual_add_f32 v9, -1.0, v8
	v_cmp_neq_f32_e64 s20, v7, |v7|
	v_rcp_f32_e32 v14, v11
	v_add_f32_e32 v12, -1.0, v11
	s_xor_b32 s20, s20, s26
	s_delay_alu instid0(TRANS32_DEP_1) | instid1(VALU_DEP_1)
	v_dual_sub_f32 v8, v8, v12 :: v_dual_mul_f32 v15, v9, v14
	s_delay_alu instid0(VALU_DEP_1) | instskip(NEXT) | instid1(VALU_DEP_1)
	v_mul_f32_e32 v10, v11, v15
	v_fma_f32 v12, v15, v11, -v10
	s_delay_alu instid0(VALU_DEP_1) | instskip(NEXT) | instid1(VALU_DEP_1)
	v_fmac_f32_e32 v12, v15, v8
	v_add_f32_e32 v8, v10, v12
	s_delay_alu instid0(VALU_DEP_1) | instskip(NEXT) | instid1(VALU_DEP_1)
	v_dual_sub_f32 v11, v9, v8 :: v_dual_mov_b32 v13, v8
	v_pk_add_f32 v[8:9], v[8:9], v[10:11] neg_lo:[0,1] neg_hi:[0,1]
	s_delay_alu instid0(VALU_DEP_1) | instskip(NEXT) | instid1(VALU_DEP_1)
	v_pk_add_f32 v[8:9], v[8:9], v[12:13] neg_lo:[0,1] neg_hi:[0,1]
	v_add_f32_e32 v8, v8, v9
	s_delay_alu instid0(VALU_DEP_1) | instskip(NEXT) | instid1(VALU_DEP_1)
	v_add_f32_e32 v8, v11, v8
	v_mul_f32_e32 v9, v14, v8
	s_delay_alu instid0(VALU_DEP_1) | instskip(NEXT) | instid1(VALU_DEP_1)
	v_add_f32_e32 v8, v15, v9
	v_sub_f32_e32 v10, v8, v15
	s_delay_alu instid0(VALU_DEP_1) | instskip(NEXT) | instid1(VALU_DEP_1)
	v_sub_f32_e32 v20, v9, v10
	v_add_f32_e32 v10, v20, v20
	v_mul_f32_e32 v11, v8, v8
	s_delay_alu instid0(VALU_DEP_1) | instskip(NEXT) | instid1(VALU_DEP_1)
	v_fma_f32 v9, v8, v8, -v11
	v_fmac_f32_e32 v9, v8, v10
	s_delay_alu instid0(VALU_DEP_1) | instskip(NEXT) | instid1(VALU_DEP_1)
	v_add_f32_e32 v10, v11, v9
	v_dual_fmaak_f32 v12, s2, v10, 0x3e91f4c4 :: v_dual_sub_f32 v11, v10, v11
	s_delay_alu instid0(VALU_DEP_1) | instskip(SKIP_1) | instid1(VALU_DEP_2)
	v_fmaak_f32 v14, v10, v12, 0x3ecccdef
	v_cvt_f64_f32_e64 v[12:13], |v6|
	v_dual_sub_f32 v18, v9, v11 :: v_dual_mul_f32 v15, v10, v14
	s_delay_alu instid0(VALU_DEP_1) | instskip(NEXT) | instid1(VALU_DEP_1)
	v_fma_f32 v9, v10, v14, -v15
	v_fmac_f32_e32 v9, v18, v14
	s_delay_alu instid0(VALU_DEP_1) | instskip(NEXT) | instid1(VALU_DEP_1)
	v_add_f32_e32 v11, v15, v9
	v_sub_f32_e32 v14, v11, v15
	v_add_f32_e32 v15, 0x3f2aaaaa, v11
	s_delay_alu instid0(VALU_DEP_1) | instskip(SKIP_1) | instid1(VALU_DEP_2)
	v_dual_sub_f32 v9, v9, v14 :: v_dual_add_f32 v14, 0xbf2aaaaa, v15
	v_frexp_exp_i32_f64_e32 v19, v[12:13]
	v_sub_f32_e32 v11, v11, v14
	s_delay_alu instid0(VALU_DEP_3) | instskip(NEXT) | instid1(VALU_DEP_1)
	v_add_f32_e32 v9, 0x31739010, v9
	v_pk_mul_f32 v[12:13], v[8:9], v[10:11]
	s_delay_alu instid0(VALU_DEP_1) | instskip(NEXT) | instid1(VALU_DEP_1)
	v_fma_f32 v14, v10, v8, -v12
	v_fmac_f32_e32 v14, v10, v20
	s_delay_alu instid0(VALU_DEP_1) | instskip(SKIP_1) | instid1(VALU_DEP_1)
	v_fmac_f32_e32 v14, v18, v8
	v_pk_add_f32 v[16:17], v[8:9], v[10:11]
	v_mov_b32_e32 v13, v17
	v_subrev_co_ci_u32_e64 v9, null, 0, v19, vcc_lo
	s_delay_alu instid0(VALU_DEP_2) | instskip(NEXT) | instid1(VALU_DEP_2)
	v_pk_add_f32 v[10:11], v[12:13], v[14:15]
	v_cvt_f32_i32_e32 v9, v9
	s_delay_alu instid0(VALU_DEP_2) | instskip(NEXT) | instid1(VALU_DEP_3)
	v_mov_b32_e32 v16, v11
	v_dual_sub_f32 v13, v15, v11 :: v_dual_sub_f32 v15, v10, v12
	s_delay_alu instid0(VALU_DEP_2) | instskip(NEXT) | instid1(VALU_DEP_2)
	v_pk_mul_f32 v[18:19], v[10:11], v[16:17]
	v_dual_add_f32 v13, v17, v13 :: v_dual_sub_f32 v14, v14, v15
	s_delay_alu instid0(VALU_DEP_2) | instskip(NEXT) | instid1(VALU_DEP_1)
	v_fma_f32 v12, v10, v11, -v18
	v_fmac_f32_e32 v12, v10, v13
	s_delay_alu instid0(VALU_DEP_1) | instskip(SKIP_2) | instid1(VALU_DEP_3)
	v_fmac_f32_e32 v12, v14, v11
	v_mul_f32_e32 v16, 0x3f317218, v9
	v_ldexp_f32 v11, v8, 1
	v_add_f32_e32 v17, v18, v12
	s_delay_alu instid0(VALU_DEP_3) | instskip(NEXT) | instid1(VALU_DEP_2)
	v_fma_f32 v10, 0x3f317218, v9, -v16
	v_dual_mov_b32 v19, v11 :: v_dual_mov_b32 v14, v17
	s_delay_alu instid0(VALU_DEP_2) | instskip(NEXT) | instid1(VALU_DEP_1)
	v_fmamk_f32 v10, v9, 0xb102e308, v10
	v_pk_add_f32 v[8:9], v[16:17], v[10:11]
	v_mov_b32_e32 v13, v17
	v_ldexp_f32 v11, v20, 1
	s_delay_alu instid0(VALU_DEP_3) | instskip(NEXT) | instid1(VALU_DEP_1)
	v_dual_mov_b32 v15, v9 :: v_dual_mov_b32 v22, v9
	v_pk_add_f32 v[14:15], v[14:15], v[18:19] neg_lo:[0,1] neg_hi:[0,1]
	s_delay_alu instid0(VALU_DEP_1) | instskip(NEXT) | instid1(VALU_DEP_1)
	v_pk_add_f32 v[12:13], v[12:13], v[14:15] neg_lo:[0,1] neg_hi:[0,1]
	v_add_f32_e32 v11, v11, v12
	s_delay_alu instid0(VALU_DEP_1) | instskip(NEXT) | instid1(VALU_DEP_1)
	v_dual_add_f32 v17, v11, v13 :: v_dual_mov_b32 v11, v8
	v_pk_add_f32 v[12:13], v[8:9], v[16:17]
	v_pk_add_f32 v[14:15], v[8:9], v[16:17] neg_lo:[0,1] neg_hi:[0,1]
	s_delay_alu instid0(VALU_DEP_2) | instskip(NEXT) | instid1(VALU_DEP_1)
	v_mov_b32_e32 v15, v13
	v_pk_add_f32 v[18:19], v[10:11], v[14:15]
	v_pk_add_f32 v[10:11], v[10:11], v[14:15] neg_lo:[0,1] neg_hi:[0,1]
	s_delay_alu instid0(VALU_DEP_2) | instskip(NEXT) | instid1(VALU_DEP_1)
	v_dual_mov_b32 v16, v19 :: v_dual_mov_b32 v11, v19
	v_pk_add_f32 v[20:21], v[16:17], v[8:9] neg_lo:[0,1] neg_hi:[0,1]
	v_dual_mov_b32 v18, v13 :: v_dual_mov_b32 v9, v8
	s_delay_alu instid0(VALU_DEP_2) | instskip(SKIP_1) | instid1(VALU_DEP_2)
	v_dual_mov_b32 v8, v17 :: v_dual_mov_b32 v23, v20
	v_mov_b32_e32 v17, v20
	v_pk_add_f32 v[14:15], v[18:19], v[22:23] neg_lo:[0,1] neg_hi:[0,1]
	s_delay_alu instid0(VALU_DEP_2) | instskip(SKIP_1) | instid1(VALU_DEP_3)
	v_pk_add_f32 v[12:13], v[12:13], v[16:17] neg_lo:[0,1] neg_hi:[0,1]
	v_mov_b32_e32 v12, v10
	v_pk_add_f32 v[8:9], v[8:9], v[14:15] neg_lo:[0,1] neg_hi:[0,1]
	s_delay_alu instid0(VALU_DEP_1) | instskip(NEXT) | instid1(VALU_DEP_1)
	v_pk_add_f32 v[12:13], v[12:13], v[8:9]
	v_mov_b32_e32 v14, v13
	s_delay_alu instid0(VALU_DEP_1) | instskip(NEXT) | instid1(VALU_DEP_1)
	v_pk_add_f32 v[14:15], v[12:13], v[14:15]
	v_pk_add_f32 v[16:17], v[16:17], v[14:15]
	s_delay_alu instid0(VALU_DEP_1) | instskip(NEXT) | instid1(VALU_DEP_1)
	v_dual_mov_b32 v9, v14 :: v_dual_mov_b32 v13, v16
	v_pk_add_f32 v[18:19], v[12:13], v[10:11] neg_lo:[0,1] neg_hi:[0,1]
	s_delay_alu instid0(VALU_DEP_1) | instskip(NEXT) | instid1(VALU_DEP_2)
	v_sub_f32_e32 v11, v12, v18
	v_pk_add_f32 v[8:9], v[8:9], v[18:19] neg_lo:[0,1] neg_hi:[0,1]
	s_delay_alu instid0(VALU_DEP_2) | instskip(NEXT) | instid1(VALU_DEP_1)
	v_sub_f32_e32 v10, v10, v11
	v_add_f32_e32 v8, v8, v10
	s_delay_alu instid0(VALU_DEP_1) | instskip(NEXT) | instid1(VALU_DEP_1)
	v_add_f32_e32 v8, v8, v9
	v_add_f32_e32 v9, v16, v8
	s_delay_alu instid0(VALU_DEP_1) | instskip(NEXT) | instid1(VALU_DEP_1)
	v_dual_sub_f32 v10, v9, v16 :: v_dual_mul_f32 v11, v7, v9
	v_dual_sub_f32 v8, v8, v10 :: v_dual_fma_f32 v9, v7, v9, -v11
	v_cmp_class_f32_e64 vcc_lo, v11, 0x204
	s_delay_alu instid0(VALU_DEP_2) | instskip(NEXT) | instid1(VALU_DEP_1)
	v_fmac_f32_e32 v9, v7, v8
	v_add_f32_e32 v8, v11, v9
	s_delay_alu instid0(VALU_DEP_1) | instskip(NEXT) | instid1(VALU_DEP_1)
	v_cndmask_b32_e32 v10, v8, v11, vcc_lo
	v_cmp_eq_f32_e32 vcc_lo, 0x42b17218, v10
	v_cndmask_b32_e64 v12, 0, 0x37000000, vcc_lo
	v_cmp_neq_f32_e64 vcc_lo, 0x7f800000, |v10|
	s_delay_alu instid0(VALU_DEP_2) | instskip(SKIP_1) | instid1(VALU_DEP_2)
	v_dual_sub_f32 v13, v10, v12 :: v_dual_sub_f32 v8, v8, v11
	v_trunc_f32_e32 v10, v7
	v_mul_f32_e32 v14, 0x3fb8aa3b, v13
	s_delay_alu instid0(VALU_DEP_3) | instskip(NEXT) | instid1(VALU_DEP_2)
	v_sub_f32_e32 v8, v9, v8
	v_fma_f32 v15, 0x3fb8aa3b, v13, -v14
	v_rndne_f32_e32 v16, v14
	s_delay_alu instid0(VALU_DEP_3) | instskip(SKIP_1) | instid1(VALU_DEP_3)
	v_cndmask_b32_e32 v8, 0, v8, vcc_lo
	v_cmp_ngt_f32_e32 vcc_lo, 0xc2ce8ed0, v13
	v_dual_fmamk_f32 v15, v13, 0x32a5705f, v15 :: v_dual_sub_f32 v14, v14, v16
	s_delay_alu instid0(VALU_DEP_1) | instskip(NEXT) | instid1(VALU_DEP_1)
	v_add_f32_e32 v14, v14, v15
	v_exp_f32_e32 v11, v14
	v_nop
	v_cvt_i32_f32_e32 v14, v16
	s_delay_alu instid0(TRANS32_DEP_1) | instid1(VALU_DEP_1)
	v_ldexp_f32 v9, v11, v14
	s_delay_alu instid0(VALU_DEP_1) | instskip(NEXT) | instid1(VALU_DEP_1)
	v_dual_mul_f32 v11, 0.5, v7 :: v_dual_cndmask_b32 v9, 0, v9, vcc_lo
	v_trunc_f32_e32 v14, v11
	v_cmp_nlt_f32_e32 vcc_lo, 0x42b17218, v13
	v_add_f32_e32 v8, v12, v8
	s_delay_alu instid0(VALU_DEP_3) | instskip(SKIP_2) | instid1(VALU_DEP_2)
	v_cmp_neq_f32_e64 s2, v14, v11
	v_cndmask_b32_e32 v9, 0x7f800000, v9, vcc_lo
	v_cmp_eq_f32_e32 vcc_lo, v10, v7
	v_cmp_class_f32_e64 s3, v9, 0x204
	s_and_b32 s2, vcc_lo, s2
	s_delay_alu instid0(SALU_CYCLE_1) | instskip(NEXT) | instid1(VALU_DEP_1)
	v_dual_fma_f32 v8, v9, v8, v9 :: v_dual_cndmask_b32 v10, 1.0, v6, s2
	v_cndmask_b32_e64 v8, v8, v9, s3
	v_cndmask_b32_e64 v9, 0x7f800000, 0, s20
	v_cmp_gt_f32_e64 s3, 0, v7
	s_delay_alu instid0(VALU_DEP_3) | instskip(SKIP_1) | instid1(SALU_CYCLE_1)
	v_bfi_b32 v8, 0x7fffffff, v8, v10
	s_xor_b32 s3, s3, s4
	v_cndmask_b32_e64 v11, 0x7f800000, 0, s3
	s_delay_alu instid0(VALU_DEP_2) | instskip(SKIP_3) | instid1(VALU_DEP_4)
	v_cndmask_b32_e32 v10, 0x7fc00000, v8, vcc_lo
	v_cmp_neq_f32_e64 vcc_lo, |v6|, 1.0
	v_cndmask_b32_e32 v9, 1.0, v9, vcc_lo
	v_cmp_gt_f32_e32 vcc_lo, 0, v6
	v_cndmask_b32_e32 v8, v8, v10, vcc_lo
	v_cmp_class_f32_e64 vcc_lo, v7, 0x204
	v_cndmask_b32_e64 v10, 0, v6, s2
	v_cmp_class_f32_e64 s2, v6, 0x204
	s_delay_alu instid0(VALU_DEP_4) | instskip(NEXT) | instid1(VALU_DEP_3)
	v_cndmask_b32_e32 v7, v8, v9, vcc_lo
	v_bfi_b32 v8, 0x7fffffff, v11, v10
	s_or_b32 vcc_lo, s4, s2
	v_cmp_o_f32_e64 s2, v6, v6
                                        ; implicit-def: $vgpr6
	s_delay_alu instid0(VALU_DEP_2) | instskip(NEXT) | instid1(VALU_DEP_1)
	v_cndmask_b32_e32 v7, v7, v8, vcc_lo
	v_cndmask_b32_e64 v7, 0x7fc00000, v7, s2
	s_mov_b32 s2, exec_lo
	v_cmpx_le_i32_e64 s7, v5
	s_xor_b32 s2, exec_lo, s2
	s_cbranch_execz .LBB27_9
; %bb.8:
	v_mad_u32 v6, s6, 3, v3
	global_load_b32 v6, v6, s[24:25] scale_offset
	s_wait_loadcnt 0x0
	v_cvt_f32_i32_e32 v6, v6
	s_delay_alu instid0(VALU_DEP_1)
	v_mul_f32_e32 v6, v7, v6
                                        ; implicit-def: $vgpr7
.LBB27_9:
	s_and_not1_saveexec_b32 s2, s2
	s_cbranch_execz .LBB27_11
; %bb.10:
	v_lshl_add_u32 v6, s6, 1, v3
	global_load_b32 v6, v6, s[24:25] scale_offset
	s_wait_loadcnt 0x0
	v_cvt_f32_i32_e32 v6, v6
	s_delay_alu instid0(VALU_DEP_1)
	v_mul_f32_e32 v6, v7, v6
.LBB27_11:
	s_or_b32 exec_lo, exec_lo, s2
.LBB27_12:
	s_and_not1_saveexec_b32 s7, s19
	s_cbranch_execz .LBB27_14
; %bb.13:
	v_cvt_f32_i32_e32 v6, v4
	s_cmp_neq_f32 s23, 1.0
	s_mov_b32 s2, 0x3e76c4e1
	s_cselect_b32 vcc_lo, -1, 0
	s_delay_alu instid0(VALU_DEP_1) | instskip(NEXT) | instid1(VALU_DEP_1)
	v_mul_f32_e32 v6, 0.5, v6
	v_cndmask_b32_e32 v7, 1.0, v6, vcc_lo
	s_delay_alu instid0(VALU_DEP_1) | instskip(SKIP_1) | instid1(VALU_DEP_1)
	v_cmp_neq_f32_e32 vcc_lo, 0, v7
	v_cndmask_b32_e64 v6, 1.0, s23, vcc_lo
	v_frexp_mant_f32_e64 v8, |v6|
	v_cmp_lt_f32_e64 s20, |v6|, 1.0
	v_cmp_eq_f32_e64 s4, 0, v6
	s_delay_alu instid0(VALU_DEP_3) | instskip(SKIP_1) | instid1(VALU_DEP_1)
	v_cmp_gt_f32_e32 vcc_lo, 0x3f2aaaab, v8
	v_cndmask_b32_e64 v9, 1.0, 2.0, vcc_lo
	v_mul_f32_e32 v8, v8, v9
	s_delay_alu instid0(VALU_DEP_1) | instskip(SKIP_1) | instid1(VALU_DEP_2)
	v_dual_add_f32 v11, 1.0, v8 :: v_dual_add_f32 v9, -1.0, v8
	v_cmp_neq_f32_e64 s19, v7, |v7|
	v_rcp_f32_e32 v14, v11
	v_add_f32_e32 v12, -1.0, v11
	s_xor_b32 s19, s19, s20
	s_delay_alu instid0(TRANS32_DEP_1) | instid1(VALU_DEP_1)
	v_dual_sub_f32 v8, v8, v12 :: v_dual_mul_f32 v15, v9, v14
	s_delay_alu instid0(VALU_DEP_1) | instskip(NEXT) | instid1(VALU_DEP_1)
	v_mul_f32_e32 v10, v11, v15
	v_fma_f32 v12, v15, v11, -v10
	s_delay_alu instid0(VALU_DEP_1) | instskip(NEXT) | instid1(VALU_DEP_1)
	v_fmac_f32_e32 v12, v15, v8
	v_add_f32_e32 v8, v10, v12
	s_delay_alu instid0(VALU_DEP_1) | instskip(NEXT) | instid1(VALU_DEP_1)
	v_dual_sub_f32 v11, v9, v8 :: v_dual_mov_b32 v13, v8
	v_pk_add_f32 v[8:9], v[8:9], v[10:11] neg_lo:[0,1] neg_hi:[0,1]
	s_delay_alu instid0(VALU_DEP_1) | instskip(NEXT) | instid1(VALU_DEP_1)
	v_pk_add_f32 v[8:9], v[8:9], v[12:13] neg_lo:[0,1] neg_hi:[0,1]
	v_add_f32_e32 v8, v8, v9
	s_delay_alu instid0(VALU_DEP_1) | instskip(NEXT) | instid1(VALU_DEP_1)
	v_add_f32_e32 v8, v11, v8
	v_mul_f32_e32 v9, v14, v8
	s_delay_alu instid0(VALU_DEP_1) | instskip(NEXT) | instid1(VALU_DEP_1)
	v_add_f32_e32 v8, v15, v9
	v_sub_f32_e32 v10, v8, v15
	s_delay_alu instid0(VALU_DEP_1) | instskip(NEXT) | instid1(VALU_DEP_1)
	v_sub_f32_e32 v20, v9, v10
	v_add_f32_e32 v10, v20, v20
	v_mul_f32_e32 v11, v8, v8
	s_delay_alu instid0(VALU_DEP_1) | instskip(NEXT) | instid1(VALU_DEP_1)
	v_fma_f32 v9, v8, v8, -v11
	v_fmac_f32_e32 v9, v8, v10
	s_delay_alu instid0(VALU_DEP_1) | instskip(NEXT) | instid1(VALU_DEP_1)
	v_add_f32_e32 v10, v11, v9
	v_dual_fmaak_f32 v12, s2, v10, 0x3e91f4c4 :: v_dual_sub_f32 v11, v10, v11
	s_delay_alu instid0(VALU_DEP_1) | instskip(NEXT) | instid1(VALU_DEP_2)
	v_fmaak_f32 v14, v10, v12, 0x3ecccdef
	v_sub_f32_e32 v18, v9, v11
	v_add_nc_u32_e32 v11, s6, v3
	v_cvt_f64_f32_e64 v[12:13], |v6|
	s_delay_alu instid0(VALU_DEP_4) | instskip(SKIP_2) | instid1(VALU_DEP_1)
	v_mul_f32_e32 v15, v10, v14
	global_load_b32 v24, v11, s[24:25] scale_offset
	v_fma_f32 v9, v10, v14, -v15
	v_fmac_f32_e32 v9, v18, v14
	s_wait_xcnt 0x0
	s_delay_alu instid0(VALU_DEP_1) | instskip(NEXT) | instid1(VALU_DEP_1)
	v_add_f32_e32 v11, v15, v9
	v_sub_f32_e32 v14, v11, v15
	v_add_f32_e32 v15, 0x3f2aaaaa, v11
	s_delay_alu instid0(VALU_DEP_1) | instskip(SKIP_1) | instid1(VALU_DEP_2)
	v_dual_sub_f32 v9, v9, v14 :: v_dual_add_f32 v14, 0xbf2aaaaa, v15
	v_frexp_exp_i32_f64_e32 v19, v[12:13]
	v_add_f32_e32 v9, 0x31739010, v9
	s_delay_alu instid0(VALU_DEP_3) | instskip(NEXT) | instid1(VALU_DEP_1)
	v_sub_f32_e32 v11, v11, v14
	v_pk_mul_f32 v[12:13], v[8:9], v[10:11]
	s_delay_alu instid0(VALU_DEP_1) | instskip(NEXT) | instid1(VALU_DEP_1)
	v_fma_f32 v14, v10, v8, -v12
	v_fmac_f32_e32 v14, v10, v20
	s_delay_alu instid0(VALU_DEP_1) | instskip(SKIP_1) | instid1(VALU_DEP_1)
	v_fmac_f32_e32 v14, v18, v8
	v_pk_add_f32 v[16:17], v[8:9], v[10:11]
	v_mov_b32_e32 v13, v17
	v_subrev_co_ci_u32_e64 v9, null, 0, v19, vcc_lo
	s_delay_alu instid0(VALU_DEP_2) | instskip(NEXT) | instid1(VALU_DEP_2)
	v_pk_add_f32 v[10:11], v[12:13], v[14:15]
	v_cvt_f32_i32_e32 v9, v9
	s_delay_alu instid0(VALU_DEP_2) | instskip(NEXT) | instid1(VALU_DEP_3)
	v_mov_b32_e32 v16, v11
	v_dual_sub_f32 v13, v15, v11 :: v_dual_sub_f32 v15, v10, v12
	s_delay_alu instid0(VALU_DEP_2) | instskip(NEXT) | instid1(VALU_DEP_2)
	v_pk_mul_f32 v[18:19], v[10:11], v[16:17]
	v_sub_f32_e32 v14, v14, v15
	s_delay_alu instid0(VALU_DEP_2) | instskip(NEXT) | instid1(VALU_DEP_1)
	v_dual_fma_f32 v12, v10, v11, -v18 :: v_dual_add_f32 v13, v17, v13
	v_fmac_f32_e32 v12, v10, v13
	s_delay_alu instid0(VALU_DEP_1) | instskip(SKIP_2) | instid1(VALU_DEP_3)
	v_fmac_f32_e32 v12, v14, v11
	v_mul_f32_e32 v16, 0x3f317218, v9
	v_ldexp_f32 v11, v8, 1
	v_add_f32_e32 v17, v18, v12
	s_delay_alu instid0(VALU_DEP_3) | instskip(NEXT) | instid1(VALU_DEP_2)
	v_fma_f32 v10, 0x3f317218, v9, -v16
	v_dual_mov_b32 v19, v11 :: v_dual_mov_b32 v14, v17
	s_delay_alu instid0(VALU_DEP_2) | instskip(NEXT) | instid1(VALU_DEP_1)
	v_fmamk_f32 v10, v9, 0xb102e308, v10
	v_pk_add_f32 v[8:9], v[16:17], v[10:11]
	v_ldexp_f32 v11, v20, 1
	s_delay_alu instid0(VALU_DEP_2) | instskip(NEXT) | instid1(VALU_DEP_1)
	v_dual_mov_b32 v13, v17 :: v_dual_mov_b32 v15, v9
	v_pk_add_f32 v[14:15], v[14:15], v[18:19] neg_lo:[0,1] neg_hi:[0,1]
	s_delay_alu instid0(VALU_DEP_1) | instskip(NEXT) | instid1(VALU_DEP_1)
	v_pk_add_f32 v[12:13], v[12:13], v[14:15] neg_lo:[0,1] neg_hi:[0,1]
	v_add_f32_e32 v11, v11, v12
	s_delay_alu instid0(VALU_DEP_1) | instskip(NEXT) | instid1(VALU_DEP_1)
	v_dual_add_f32 v17, v11, v13 :: v_dual_mov_b32 v11, v8
	v_pk_add_f32 v[12:13], v[8:9], v[16:17]
	v_pk_add_f32 v[14:15], v[8:9], v[16:17] neg_lo:[0,1] neg_hi:[0,1]
	s_delay_alu instid0(VALU_DEP_2) | instskip(NEXT) | instid1(VALU_DEP_1)
	v_dual_mov_b32 v22, v9 :: v_dual_mov_b32 v15, v13
	v_pk_add_f32 v[18:19], v[10:11], v[14:15]
	s_delay_alu instid0(VALU_DEP_1) | instskip(SKIP_1) | instid1(VALU_DEP_2)
	v_dual_mov_b32 v18, v13 :: v_dual_mov_b32 v16, v19
	v_pk_add_f32 v[10:11], v[10:11], v[14:15] neg_lo:[0,1] neg_hi:[0,1]
	v_pk_add_f32 v[20:21], v[16:17], v[8:9] neg_lo:[0,1] neg_hi:[0,1]
	v_dual_mov_b32 v9, v8 :: v_dual_mov_b32 v8, v17
	s_delay_alu instid0(VALU_DEP_2) | instskip(NEXT) | instid1(VALU_DEP_1)
	v_dual_mov_b32 v17, v20 :: v_dual_mov_b32 v23, v20
	v_pk_add_f32 v[12:13], v[12:13], v[16:17] neg_lo:[0,1] neg_hi:[0,1]
	s_delay_alu instid0(VALU_DEP_2) | instskip(SKIP_1) | instid1(VALU_DEP_2)
	v_pk_add_f32 v[14:15], v[18:19], v[22:23] neg_lo:[0,1] neg_hi:[0,1]
	v_mov_b32_e32 v12, v10
	v_pk_add_f32 v[8:9], v[8:9], v[14:15] neg_lo:[0,1] neg_hi:[0,1]
	s_delay_alu instid0(VALU_DEP_1) | instskip(NEXT) | instid1(VALU_DEP_1)
	v_pk_add_f32 v[12:13], v[12:13], v[8:9]
	v_mov_b32_e32 v14, v13
	s_delay_alu instid0(VALU_DEP_1) | instskip(NEXT) | instid1(VALU_DEP_1)
	v_pk_add_f32 v[14:15], v[12:13], v[14:15]
	v_pk_add_f32 v[16:17], v[16:17], v[14:15]
	s_delay_alu instid0(VALU_DEP_1) | instskip(NEXT) | instid1(VALU_DEP_1)
	v_dual_mov_b32 v11, v19 :: v_dual_mov_b32 v13, v16
	v_pk_add_f32 v[18:19], v[12:13], v[10:11] neg_lo:[0,1] neg_hi:[0,1]
	s_delay_alu instid0(VALU_DEP_1) | instskip(NEXT) | instid1(VALU_DEP_1)
	v_dual_mov_b32 v9, v14 :: v_dual_sub_f32 v11, v12, v18
	v_pk_add_f32 v[8:9], v[8:9], v[18:19] neg_lo:[0,1] neg_hi:[0,1]
	s_delay_alu instid0(VALU_DEP_2) | instskip(NEXT) | instid1(VALU_DEP_1)
	v_sub_f32_e32 v10, v10, v11
	v_add_f32_e32 v8, v8, v10
	s_delay_alu instid0(VALU_DEP_1) | instskip(NEXT) | instid1(VALU_DEP_1)
	v_add_f32_e32 v8, v8, v9
	v_add_f32_e32 v9, v16, v8
	s_delay_alu instid0(VALU_DEP_1) | instskip(NEXT) | instid1(VALU_DEP_1)
	v_dual_sub_f32 v10, v9, v16 :: v_dual_mul_f32 v11, v7, v9
	v_sub_f32_e32 v8, v8, v10
	s_delay_alu instid0(VALU_DEP_2) | instskip(SKIP_1) | instid1(VALU_DEP_1)
	v_cmp_class_f32_e64 vcc_lo, v11, 0x204
	v_fma_f32 v9, v7, v9, -v11
	v_fmac_f32_e32 v9, v7, v8
	s_delay_alu instid0(VALU_DEP_1) | instskip(NEXT) | instid1(VALU_DEP_1)
	v_add_f32_e32 v8, v11, v9
	v_cndmask_b32_e32 v10, v8, v11, vcc_lo
	s_delay_alu instid0(VALU_DEP_1) | instskip(SKIP_2) | instid1(VALU_DEP_2)
	v_cmp_eq_f32_e32 vcc_lo, 0x42b17218, v10
	v_cndmask_b32_e64 v12, 0, 0x37000000, vcc_lo
	v_cmp_neq_f32_e64 vcc_lo, 0x7f800000, |v10|
	v_dual_sub_f32 v13, v10, v12 :: v_dual_sub_f32 v8, v8, v11
	v_trunc_f32_e32 v10, v7
	s_delay_alu instid0(VALU_DEP_2) | instskip(NEXT) | instid1(VALU_DEP_1)
	v_mul_f32_e32 v14, 0x3fb8aa3b, v13
	v_fma_f32 v15, 0x3fb8aa3b, v13, -v14
	v_rndne_f32_e32 v16, v14
	s_delay_alu instid0(VALU_DEP_1) | instskip(NEXT) | instid1(VALU_DEP_1)
	v_dual_fmamk_f32 v15, v13, 0x32a5705f, v15 :: v_dual_sub_f32 v14, v14, v16
	v_dual_add_f32 v14, v14, v15 :: v_dual_sub_f32 v8, v9, v8
	s_delay_alu instid0(VALU_DEP_1)
	v_exp_f32_e32 v11, v14
	v_nop
	v_cvt_i32_f32_e32 v14, v16
	s_delay_alu instid0(TRANS32_DEP_1) | instid1(VALU_DEP_1)
	v_ldexp_f32 v9, v11, v14
	v_dual_mul_f32 v11, 0.5, v7 :: v_dual_cndmask_b32 v8, 0, v8
	v_cmp_ngt_f32_e32 vcc_lo, 0xc2ce8ed0, v13
	s_delay_alu instid0(VALU_DEP_2) | instskip(NEXT) | instid1(VALU_DEP_4)
	v_trunc_f32_e32 v14, v11
	v_cndmask_b32_e32 v9, 0, v9, vcc_lo
	v_cmp_nlt_f32_e32 vcc_lo, 0x42b17218, v13
	s_delay_alu instid0(VALU_DEP_3) | instskip(NEXT) | instid1(VALU_DEP_3)
	v_cmp_neq_f32_e64 s2, v14, v11
	v_cndmask_b32_e32 v9, 0x7f800000, v9, vcc_lo
	v_cmp_eq_f32_e32 vcc_lo, v10, v7
	s_delay_alu instid0(VALU_DEP_2) | instskip(SKIP_1) | instid1(SALU_CYCLE_1)
	v_cmp_class_f32_e64 s3, v9, 0x204
	s_and_b32 s2, vcc_lo, s2
	v_dual_cndmask_b32 v10, 1.0, v6, s2 :: v_dual_add_f32 v8, v12, v8
	s_delay_alu instid0(VALU_DEP_1) | instskip(NEXT) | instid1(VALU_DEP_1)
	v_fma_f32 v8, v9, v8, v9
	v_cndmask_b32_e64 v8, v8, v9, s3
	v_cndmask_b32_e64 v9, 0x7f800000, 0, s19
	v_cmp_gt_f32_e64 s3, 0, v7
	s_delay_alu instid0(VALU_DEP_3) | instskip(SKIP_1) | instid1(SALU_CYCLE_1)
	v_bfi_b32 v8, 0x7fffffff, v8, v10
	s_xor_b32 s3, s3, s4
	v_cndmask_b32_e64 v11, 0x7f800000, 0, s3
	s_delay_alu instid0(VALU_DEP_2) | instskip(SKIP_3) | instid1(VALU_DEP_4)
	v_cndmask_b32_e32 v10, 0x7fc00000, v8, vcc_lo
	v_cmp_neq_f32_e64 vcc_lo, |v6|, 1.0
	v_cndmask_b32_e32 v9, 1.0, v9, vcc_lo
	v_cmp_gt_f32_e32 vcc_lo, 0, v6
	v_cndmask_b32_e32 v8, v8, v10, vcc_lo
	v_cndmask_b32_e64 v10, 0, v6, s2
	v_cmp_class_f32_e64 vcc_lo, v7, 0x204
	v_cmp_class_f32_e64 s2, v6, 0x204
	s_delay_alu instid0(VALU_DEP_4) | instskip(NEXT) | instid1(VALU_DEP_4)
	v_cndmask_b32_e32 v7, v8, v9, vcc_lo
	v_bfi_b32 v8, 0x7fffffff, v11, v10
	s_or_b32 vcc_lo, s4, s2
	s_delay_alu instid0(VALU_DEP_1) | instskip(SKIP_3) | instid1(VALU_DEP_3)
	v_cndmask_b32_e32 v7, v7, v8, vcc_lo
	v_cmp_o_f32_e32 vcc_lo, v6, v6
	s_wait_loadcnt 0x0
	v_cvt_f32_i32_e32 v8, v24
	v_cndmask_b32_e32 v6, 0x7fc00000, v7, vcc_lo
	s_delay_alu instid0(VALU_DEP_1)
	v_mul_f32_e32 v6, v6, v8
.LBB27_14:
	s_or_b32 exec_lo, exec_lo, s7
.LBB27_15:
	s_and_not1_saveexec_b32 s5, s5
	s_cbranch_execz .LBB27_17
; %bb.16:
	v_cvt_f32_i32_e32 v6, v4
	s_cmp_neq_f32 s23, 1.0
	s_mov_b32 s2, 0x3e76c4e1
	global_load_b32 v24, v3, s[24:25] scale_offset
	s_cselect_b32 vcc_lo, -1, 0
	v_mul_f32_e32 v6, 0.5, v6
	s_delay_alu instid0(VALU_DEP_1) | instskip(NEXT) | instid1(VALU_DEP_1)
	v_cndmask_b32_e32 v7, 1.0, v6, vcc_lo
	v_cmp_neq_f32_e32 vcc_lo, 0, v7
	v_cndmask_b32_e64 v6, 1.0, s23, vcc_lo
	s_delay_alu instid0(VALU_DEP_1) | instskip(SKIP_2) | instid1(VALU_DEP_3)
	v_frexp_mant_f32_e64 v8, |v6|
	v_cmp_lt_f32_e64 s19, |v6|, 1.0
	v_cmp_eq_f32_e64 s4, 0, v6
	v_cmp_gt_f32_e32 vcc_lo, 0x3f2aaaab, v8
	v_cndmask_b32_e64 v9, 1.0, 2.0, vcc_lo
	s_delay_alu instid0(VALU_DEP_1) | instskip(NEXT) | instid1(VALU_DEP_1)
	v_mul_f32_e32 v8, v8, v9
	v_dual_add_f32 v11, 1.0, v8 :: v_dual_add_f32 v9, -1.0, v8
	v_cmp_neq_f32_e64 s7, v7, |v7|
	s_delay_alu instid0(VALU_DEP_2)
	v_rcp_f32_e32 v14, v11
	v_add_f32_e32 v12, -1.0, v11
	s_xor_b32 s7, s7, s19
	s_delay_alu instid0(TRANS32_DEP_1) | instid1(VALU_DEP_1)
	v_dual_sub_f32 v8, v8, v12 :: v_dual_mul_f32 v15, v9, v14
	s_delay_alu instid0(VALU_DEP_1) | instskip(NEXT) | instid1(VALU_DEP_1)
	v_mul_f32_e32 v10, v11, v15
	v_fma_f32 v12, v15, v11, -v10
	s_delay_alu instid0(VALU_DEP_1) | instskip(NEXT) | instid1(VALU_DEP_1)
	v_fmac_f32_e32 v12, v15, v8
	v_add_f32_e32 v8, v10, v12
	s_delay_alu instid0(VALU_DEP_1) | instskip(NEXT) | instid1(VALU_DEP_1)
	v_dual_sub_f32 v11, v9, v8 :: v_dual_mov_b32 v13, v8
	v_pk_add_f32 v[8:9], v[8:9], v[10:11] neg_lo:[0,1] neg_hi:[0,1]
	s_delay_alu instid0(VALU_DEP_1) | instskip(NEXT) | instid1(VALU_DEP_1)
	v_pk_add_f32 v[8:9], v[8:9], v[12:13] neg_lo:[0,1] neg_hi:[0,1]
	v_add_f32_e32 v8, v8, v9
	s_delay_alu instid0(VALU_DEP_1) | instskip(NEXT) | instid1(VALU_DEP_1)
	v_add_f32_e32 v8, v11, v8
	v_mul_f32_e32 v9, v14, v8
	s_delay_alu instid0(VALU_DEP_1) | instskip(NEXT) | instid1(VALU_DEP_1)
	v_add_f32_e32 v8, v15, v9
	v_sub_f32_e32 v10, v8, v15
	s_delay_alu instid0(VALU_DEP_1) | instskip(NEXT) | instid1(VALU_DEP_1)
	v_sub_f32_e32 v20, v9, v10
	v_add_f32_e32 v10, v20, v20
	v_mul_f32_e32 v11, v8, v8
	s_delay_alu instid0(VALU_DEP_1) | instskip(NEXT) | instid1(VALU_DEP_1)
	v_fma_f32 v9, v8, v8, -v11
	v_fmac_f32_e32 v9, v8, v10
	s_delay_alu instid0(VALU_DEP_1) | instskip(NEXT) | instid1(VALU_DEP_1)
	v_add_f32_e32 v10, v11, v9
	v_dual_fmaak_f32 v12, s2, v10, 0x3e91f4c4 :: v_dual_sub_f32 v11, v10, v11
	s_delay_alu instid0(VALU_DEP_1) | instskip(SKIP_1) | instid1(VALU_DEP_2)
	v_fmaak_f32 v14, v10, v12, 0x3ecccdef
	v_cvt_f64_f32_e64 v[12:13], |v6|
	v_dual_sub_f32 v18, v9, v11 :: v_dual_mul_f32 v15, v10, v14
	s_delay_alu instid0(VALU_DEP_1) | instskip(NEXT) | instid1(VALU_DEP_1)
	v_fma_f32 v9, v10, v14, -v15
	v_fmac_f32_e32 v9, v18, v14
	s_delay_alu instid0(VALU_DEP_1) | instskip(NEXT) | instid1(VALU_DEP_1)
	v_add_f32_e32 v11, v15, v9
	v_sub_f32_e32 v14, v11, v15
	v_add_f32_e32 v15, 0x3f2aaaaa, v11
	s_delay_alu instid0(VALU_DEP_1) | instskip(SKIP_1) | instid1(VALU_DEP_2)
	v_dual_sub_f32 v9, v9, v14 :: v_dual_add_f32 v14, 0xbf2aaaaa, v15
	v_frexp_exp_i32_f64_e32 v19, v[12:13]
	v_sub_f32_e32 v11, v11, v14
	s_delay_alu instid0(VALU_DEP_3) | instskip(NEXT) | instid1(VALU_DEP_1)
	v_add_f32_e32 v9, 0x31739010, v9
	v_pk_mul_f32 v[12:13], v[8:9], v[10:11]
	s_delay_alu instid0(VALU_DEP_1) | instskip(NEXT) | instid1(VALU_DEP_1)
	v_fma_f32 v14, v10, v8, -v12
	v_fmac_f32_e32 v14, v10, v20
	s_delay_alu instid0(VALU_DEP_1) | instskip(SKIP_1) | instid1(VALU_DEP_1)
	v_fmac_f32_e32 v14, v18, v8
	v_pk_add_f32 v[16:17], v[8:9], v[10:11]
	v_mov_b32_e32 v13, v17
	v_subrev_co_ci_u32_e64 v9, null, 0, v19, vcc_lo
	s_delay_alu instid0(VALU_DEP_2) | instskip(NEXT) | instid1(VALU_DEP_2)
	v_pk_add_f32 v[10:11], v[12:13], v[14:15]
	v_cvt_f32_i32_e32 v9, v9
	s_delay_alu instid0(VALU_DEP_2) | instskip(NEXT) | instid1(VALU_DEP_3)
	v_mov_b32_e32 v16, v11
	v_dual_sub_f32 v13, v15, v11 :: v_dual_sub_f32 v15, v10, v12
	s_delay_alu instid0(VALU_DEP_2) | instskip(NEXT) | instid1(VALU_DEP_2)
	v_pk_mul_f32 v[18:19], v[10:11], v[16:17]
	v_dual_add_f32 v13, v17, v13 :: v_dual_sub_f32 v14, v14, v15
	s_delay_alu instid0(VALU_DEP_2) | instskip(NEXT) | instid1(VALU_DEP_1)
	v_fma_f32 v12, v10, v11, -v18
	v_fmac_f32_e32 v12, v10, v13
	s_delay_alu instid0(VALU_DEP_1) | instskip(SKIP_2) | instid1(VALU_DEP_3)
	v_fmac_f32_e32 v12, v14, v11
	v_mul_f32_e32 v16, 0x3f317218, v9
	v_ldexp_f32 v11, v8, 1
	v_add_f32_e32 v17, v18, v12
	s_delay_alu instid0(VALU_DEP_3) | instskip(NEXT) | instid1(VALU_DEP_2)
	v_fma_f32 v10, 0x3f317218, v9, -v16
	v_dual_mov_b32 v19, v11 :: v_dual_mov_b32 v14, v17
	s_delay_alu instid0(VALU_DEP_2) | instskip(NEXT) | instid1(VALU_DEP_1)
	v_fmamk_f32 v10, v9, 0xb102e308, v10
	v_pk_add_f32 v[8:9], v[16:17], v[10:11]
	v_mov_b32_e32 v13, v17
	v_ldexp_f32 v11, v20, 1
	s_delay_alu instid0(VALU_DEP_3) | instskip(NEXT) | instid1(VALU_DEP_1)
	v_dual_mov_b32 v15, v9 :: v_dual_mov_b32 v22, v9
	v_pk_add_f32 v[14:15], v[14:15], v[18:19] neg_lo:[0,1] neg_hi:[0,1]
	s_delay_alu instid0(VALU_DEP_1) | instskip(NEXT) | instid1(VALU_DEP_1)
	v_pk_add_f32 v[12:13], v[12:13], v[14:15] neg_lo:[0,1] neg_hi:[0,1]
	v_add_f32_e32 v11, v11, v12
	s_delay_alu instid0(VALU_DEP_1) | instskip(NEXT) | instid1(VALU_DEP_1)
	v_dual_add_f32 v17, v11, v13 :: v_dual_mov_b32 v11, v8
	v_pk_add_f32 v[12:13], v[8:9], v[16:17]
	v_pk_add_f32 v[14:15], v[8:9], v[16:17] neg_lo:[0,1] neg_hi:[0,1]
	s_delay_alu instid0(VALU_DEP_2) | instskip(NEXT) | instid1(VALU_DEP_1)
	v_mov_b32_e32 v15, v13
	v_pk_add_f32 v[18:19], v[10:11], v[14:15]
	v_pk_add_f32 v[10:11], v[10:11], v[14:15] neg_lo:[0,1] neg_hi:[0,1]
	s_delay_alu instid0(VALU_DEP_2) | instskip(NEXT) | instid1(VALU_DEP_1)
	v_dual_mov_b32 v16, v19 :: v_dual_mov_b32 v11, v19
	v_pk_add_f32 v[20:21], v[16:17], v[8:9] neg_lo:[0,1] neg_hi:[0,1]
	v_dual_mov_b32 v18, v13 :: v_dual_mov_b32 v9, v8
	s_delay_alu instid0(VALU_DEP_2) | instskip(SKIP_1) | instid1(VALU_DEP_2)
	v_dual_mov_b32 v8, v17 :: v_dual_mov_b32 v23, v20
	v_mov_b32_e32 v17, v20
	v_pk_add_f32 v[14:15], v[18:19], v[22:23] neg_lo:[0,1] neg_hi:[0,1]
	s_delay_alu instid0(VALU_DEP_2) | instskip(SKIP_1) | instid1(VALU_DEP_3)
	v_pk_add_f32 v[12:13], v[12:13], v[16:17] neg_lo:[0,1] neg_hi:[0,1]
	v_mov_b32_e32 v12, v10
	v_pk_add_f32 v[8:9], v[8:9], v[14:15] neg_lo:[0,1] neg_hi:[0,1]
	s_delay_alu instid0(VALU_DEP_1) | instskip(NEXT) | instid1(VALU_DEP_1)
	v_pk_add_f32 v[12:13], v[12:13], v[8:9]
	v_mov_b32_e32 v14, v13
	s_delay_alu instid0(VALU_DEP_1) | instskip(NEXT) | instid1(VALU_DEP_1)
	v_pk_add_f32 v[14:15], v[12:13], v[14:15]
	v_pk_add_f32 v[16:17], v[16:17], v[14:15]
	s_delay_alu instid0(VALU_DEP_1) | instskip(NEXT) | instid1(VALU_DEP_1)
	v_dual_mov_b32 v9, v14 :: v_dual_mov_b32 v13, v16
	v_pk_add_f32 v[18:19], v[12:13], v[10:11] neg_lo:[0,1] neg_hi:[0,1]
	s_delay_alu instid0(VALU_DEP_1) | instskip(NEXT) | instid1(VALU_DEP_2)
	v_sub_f32_e32 v11, v12, v18
	v_pk_add_f32 v[8:9], v[8:9], v[18:19] neg_lo:[0,1] neg_hi:[0,1]
	s_delay_alu instid0(VALU_DEP_2) | instskip(NEXT) | instid1(VALU_DEP_1)
	v_sub_f32_e32 v10, v10, v11
	v_add_f32_e32 v8, v8, v10
	s_delay_alu instid0(VALU_DEP_1) | instskip(NEXT) | instid1(VALU_DEP_1)
	v_add_f32_e32 v8, v8, v9
	v_add_f32_e32 v9, v16, v8
	s_delay_alu instid0(VALU_DEP_1) | instskip(NEXT) | instid1(VALU_DEP_1)
	v_dual_sub_f32 v10, v9, v16 :: v_dual_mul_f32 v11, v7, v9
	v_dual_sub_f32 v8, v8, v10 :: v_dual_fma_f32 v9, v7, v9, -v11
	v_cmp_class_f32_e64 vcc_lo, v11, 0x204
	s_delay_alu instid0(VALU_DEP_2) | instskip(NEXT) | instid1(VALU_DEP_1)
	v_fmac_f32_e32 v9, v7, v8
	v_add_f32_e32 v8, v11, v9
	s_delay_alu instid0(VALU_DEP_1) | instskip(NEXT) | instid1(VALU_DEP_1)
	v_cndmask_b32_e32 v10, v8, v11, vcc_lo
	v_cmp_eq_f32_e32 vcc_lo, 0x42b17218, v10
	v_cndmask_b32_e64 v12, 0, 0x37000000, vcc_lo
	v_cmp_neq_f32_e64 vcc_lo, 0x7f800000, |v10|
	s_delay_alu instid0(VALU_DEP_2) | instskip(SKIP_1) | instid1(VALU_DEP_2)
	v_dual_sub_f32 v13, v10, v12 :: v_dual_sub_f32 v8, v8, v11
	v_trunc_f32_e32 v10, v7
	v_mul_f32_e32 v14, 0x3fb8aa3b, v13
	s_delay_alu instid0(VALU_DEP_3) | instskip(NEXT) | instid1(VALU_DEP_2)
	v_sub_f32_e32 v8, v9, v8
	v_fma_f32 v15, 0x3fb8aa3b, v13, -v14
	v_rndne_f32_e32 v16, v14
	s_delay_alu instid0(VALU_DEP_3) | instskip(SKIP_1) | instid1(VALU_DEP_3)
	v_cndmask_b32_e32 v8, 0, v8, vcc_lo
	v_cmp_ngt_f32_e32 vcc_lo, 0xc2ce8ed0, v13
	v_dual_fmamk_f32 v15, v13, 0x32a5705f, v15 :: v_dual_sub_f32 v14, v14, v16
	s_delay_alu instid0(VALU_DEP_1) | instskip(NEXT) | instid1(VALU_DEP_1)
	v_add_f32_e32 v14, v14, v15
	v_exp_f32_e32 v11, v14
	v_nop
	v_cvt_i32_f32_e32 v14, v16
	s_delay_alu instid0(TRANS32_DEP_1) | instid1(VALU_DEP_1)
	v_ldexp_f32 v9, v11, v14
	s_delay_alu instid0(VALU_DEP_1) | instskip(NEXT) | instid1(VALU_DEP_1)
	v_dual_mul_f32 v11, 0.5, v7 :: v_dual_cndmask_b32 v9, 0, v9, vcc_lo
	v_trunc_f32_e32 v14, v11
	v_cmp_nlt_f32_e32 vcc_lo, 0x42b17218, v13
	v_add_f32_e32 v8, v12, v8
	s_delay_alu instid0(VALU_DEP_3) | instskip(SKIP_2) | instid1(VALU_DEP_2)
	v_cmp_neq_f32_e64 s2, v14, v11
	v_cndmask_b32_e32 v9, 0x7f800000, v9, vcc_lo
	v_cmp_eq_f32_e32 vcc_lo, v10, v7
	v_cmp_class_f32_e64 s3, v9, 0x204
	s_and_b32 s2, vcc_lo, s2
	s_delay_alu instid0(SALU_CYCLE_1) | instskip(NEXT) | instid1(VALU_DEP_1)
	v_dual_fma_f32 v8, v9, v8, v9 :: v_dual_cndmask_b32 v10, 1.0, v6, s2
	v_cndmask_b32_e64 v8, v8, v9, s3
	v_cndmask_b32_e64 v9, 0x7f800000, 0, s7
	v_cmp_gt_f32_e64 s3, 0, v7
	s_delay_alu instid0(VALU_DEP_3) | instskip(SKIP_1) | instid1(SALU_CYCLE_1)
	v_bfi_b32 v8, 0x7fffffff, v8, v10
	s_xor_b32 s3, s3, s4
	v_cndmask_b32_e64 v11, 0x7f800000, 0, s3
	s_delay_alu instid0(VALU_DEP_2) | instskip(SKIP_3) | instid1(VALU_DEP_4)
	v_cndmask_b32_e32 v10, 0x7fc00000, v8, vcc_lo
	v_cmp_neq_f32_e64 vcc_lo, |v6|, 1.0
	v_cndmask_b32_e32 v9, 1.0, v9, vcc_lo
	v_cmp_gt_f32_e32 vcc_lo, 0, v6
	v_cndmask_b32_e32 v8, v8, v10, vcc_lo
	v_cmp_class_f32_e64 vcc_lo, v7, 0x204
	v_cndmask_b32_e64 v10, 0, v6, s2
	v_cmp_class_f32_e64 s2, v6, 0x204
	s_delay_alu instid0(VALU_DEP_4) | instskip(NEXT) | instid1(VALU_DEP_3)
	v_cndmask_b32_e32 v7, v8, v9, vcc_lo
	v_bfi_b32 v8, 0x7fffffff, v11, v10
	s_or_b32 vcc_lo, s4, s2
	s_delay_alu instid0(VALU_DEP_1) | instskip(SKIP_3) | instid1(VALU_DEP_3)
	v_cndmask_b32_e32 v7, v7, v8, vcc_lo
	v_cmp_o_f32_e32 vcc_lo, v6, v6
	s_wait_loadcnt 0x0
	v_cvt_f32_i32_e32 v8, v24
	v_cndmask_b32_e32 v6, 0x7fc00000, v7, vcc_lo
	s_delay_alu instid0(VALU_DEP_1)
	v_mul_f32_e32 v6, v6, v8
.LBB27_17:
	s_wait_xcnt 0x0
	s_or_b32 exec_lo, exec_lo, s5
	s_cbranch_execz .LBB27_19
	s_branch .LBB27_32
.LBB27_18:
                                        ; implicit-def: $vgpr6
.LBB27_19:
	s_delay_alu instid0(VALU_DEP_1) | instskip(SKIP_1) | instid1(SALU_CYCLE_1)
	v_mul_hi_i32 v6, 0x55555556, v5
	s_mul_i32 s2, s17, 3
	v_cmp_le_i32_e64 s2, s2, v5
	s_delay_alu instid0(VALU_DEP_2) | instskip(NEXT) | instid1(VALU_DEP_1)
	v_lshrrev_b32_e32 v7, 31, v6
	v_add_nc_u32_e32 v6, v6, v7
	s_delay_alu instid0(VALU_DEP_1) | instskip(NEXT) | instid1(VALU_DEP_1)
	v_lshl_add_u32 v6, v6, 1, v6
	v_sub_nc_u32_e32 v7, v5, v6
                                        ; implicit-def: $vgpr6
	s_delay_alu instid0(VALU_DEP_1) | instskip(SKIP_1) | instid1(SALU_CYCLE_1)
	v_cmp_ne_u32_e32 vcc_lo, 1, v7
	s_or_b32 s2, vcc_lo, s2
	s_and_saveexec_b32 s3, s2
	s_delay_alu instid0(SALU_CYCLE_1)
	s_xor_b32 s5, exec_lo, s3
	s_cbranch_execz .LBB27_29
; %bb.20:
	s_mul_i32 s2, s18, 3
	v_cmp_ne_u32_e32 vcc_lo, 2, v7
	v_cmp_le_i32_e64 s2, s2, v5
                                        ; implicit-def: $vgpr6
	s_or_b32 s2, vcc_lo, s2
	s_delay_alu instid0(SALU_CYCLE_1) | instskip(NEXT) | instid1(SALU_CYCLE_1)
	s_and_saveexec_b32 s3, s2
	s_xor_b32 s7, exec_lo, s3
	s_cbranch_execz .LBB27_26
; %bb.21:
	s_mul_i32 s2, s16, 3
	v_cmp_ne_u32_e32 vcc_lo, 0, v7
	v_cmp_le_i32_e64 s2, s2, v5
                                        ; implicit-def: $vgpr6
	s_or_b32 s2, vcc_lo, s2
	s_delay_alu instid0(SALU_CYCLE_1) | instskip(NEXT) | instid1(SALU_CYCLE_1)
	s_and_saveexec_b32 s3, s2
	s_xor_b32 s16, exec_lo, s3
	s_cbranch_execz .LBB27_23
; %bb.22:
	v_cvt_f32_i32_e32 v4, v4
	s_cmp_neq_f32 s23, 1.0
	s_mov_b32 s2, 0x3e76c4e1
	v_mad_u32 v3, s6, 3, v3
	s_cselect_b32 vcc_lo, -1, 0
	v_mul_f32_e32 v4, 0.5, v4
	s_delay_alu instid0(VALU_DEP_1) | instskip(SKIP_3) | instid1(VALU_DEP_1)
	v_cndmask_b32_e32 v5, 1.0, v4, vcc_lo
	global_load_b32 v22, v3, s[24:25] scale_offset
	v_cmp_neq_f32_e32 vcc_lo, 0, v5
	v_cndmask_b32_e64 v4, 1.0, s23, vcc_lo
	v_frexp_mant_f32_e64 v6, |v4|
	v_cmp_lt_f32_e64 s18, |v4|, 1.0
	v_cmp_eq_f32_e64 s4, 0, v4
	s_delay_alu instid0(VALU_DEP_3) | instskip(SKIP_1) | instid1(VALU_DEP_1)
	v_cmp_gt_f32_e32 vcc_lo, 0x3f2aaaab, v6
	v_cndmask_b32_e64 v7, 1.0, 2.0, vcc_lo
	v_mul_f32_e32 v6, v6, v7
	s_delay_alu instid0(VALU_DEP_1) | instskip(SKIP_1) | instid1(VALU_DEP_2)
	v_dual_add_f32 v9, 1.0, v6 :: v_dual_add_f32 v7, -1.0, v6
	v_cmp_neq_f32_e64 s17, v5, |v5|
	v_rcp_f32_e32 v12, v9
	v_add_f32_e32 v10, -1.0, v9
	s_xor_b32 s17, s17, s18
	s_delay_alu instid0(TRANS32_DEP_1) | instid1(VALU_DEP_1)
	v_dual_sub_f32 v6, v6, v10 :: v_dual_mul_f32 v13, v7, v12
	s_delay_alu instid0(VALU_DEP_1) | instskip(NEXT) | instid1(VALU_DEP_1)
	v_mul_f32_e32 v8, v9, v13
	v_fma_f32 v10, v13, v9, -v8
	s_delay_alu instid0(VALU_DEP_1) | instskip(NEXT) | instid1(VALU_DEP_1)
	v_fmac_f32_e32 v10, v13, v6
	v_add_f32_e32 v6, v8, v10
	s_delay_alu instid0(VALU_DEP_1) | instskip(NEXT) | instid1(VALU_DEP_1)
	v_dual_sub_f32 v9, v7, v6 :: v_dual_mov_b32 v11, v6
	v_pk_add_f32 v[6:7], v[6:7], v[8:9] neg_lo:[0,1] neg_hi:[0,1]
	s_delay_alu instid0(VALU_DEP_1) | instskip(NEXT) | instid1(VALU_DEP_1)
	v_pk_add_f32 v[6:7], v[6:7], v[10:11] neg_lo:[0,1] neg_hi:[0,1]
	v_add_f32_e32 v6, v6, v7
	s_delay_alu instid0(VALU_DEP_1) | instskip(NEXT) | instid1(VALU_DEP_1)
	v_add_f32_e32 v6, v9, v6
	v_mul_f32_e32 v7, v12, v6
	s_delay_alu instid0(VALU_DEP_1) | instskip(NEXT) | instid1(VALU_DEP_1)
	v_add_f32_e32 v6, v13, v7
	v_sub_f32_e32 v8, v6, v13
	s_delay_alu instid0(VALU_DEP_1) | instskip(NEXT) | instid1(VALU_DEP_1)
	v_sub_f32_e32 v18, v7, v8
	v_add_f32_e32 v8, v18, v18
	v_mul_f32_e32 v9, v6, v6
	s_delay_alu instid0(VALU_DEP_1) | instskip(NEXT) | instid1(VALU_DEP_1)
	v_fma_f32 v7, v6, v6, -v9
	v_fmac_f32_e32 v7, v6, v8
	s_delay_alu instid0(VALU_DEP_1) | instskip(NEXT) | instid1(VALU_DEP_1)
	v_add_f32_e32 v8, v9, v7
	v_dual_fmaak_f32 v10, s2, v8, 0x3e91f4c4 :: v_dual_sub_f32 v9, v8, v9
	s_delay_alu instid0(VALU_DEP_1) | instskip(SKIP_1) | instid1(VALU_DEP_2)
	v_fmaak_f32 v12, v8, v10, 0x3ecccdef
	v_cvt_f64_f32_e64 v[10:11], |v4|
	v_dual_sub_f32 v16, v7, v9 :: v_dual_mul_f32 v13, v8, v12
	s_delay_alu instid0(VALU_DEP_1) | instskip(NEXT) | instid1(VALU_DEP_1)
	v_fma_f32 v7, v8, v12, -v13
	v_fmac_f32_e32 v7, v16, v12
	s_wait_xcnt 0x0
	s_delay_alu instid0(VALU_DEP_1) | instskip(NEXT) | instid1(VALU_DEP_1)
	v_add_f32_e32 v3, v13, v7
	v_sub_f32_e32 v9, v3, v13
	v_add_f32_e32 v13, 0x3f2aaaaa, v3
	s_delay_alu instid0(VALU_DEP_2) | instskip(NEXT) | instid1(VALU_DEP_2)
	v_sub_f32_e32 v7, v7, v9
	v_add_f32_e32 v9, 0xbf2aaaaa, v13
	v_frexp_exp_i32_f64_e32 v17, v[10:11]
	s_delay_alu instid0(VALU_DEP_3) | instskip(NEXT) | instid1(VALU_DEP_3)
	v_add_f32_e32 v7, 0x31739010, v7
	v_sub_f32_e32 v9, v3, v9
	s_delay_alu instid0(VALU_DEP_1) | instskip(SKIP_1) | instid1(VALU_DEP_1)
	v_pk_mul_f32 v[10:11], v[6:7], v[8:9]
	v_pk_add_f32 v[14:15], v[6:7], v[8:9]
	v_dual_fma_f32 v12, v8, v6, -v10 :: v_dual_mov_b32 v11, v15
	s_delay_alu instid0(VALU_DEP_1) | instskip(NEXT) | instid1(VALU_DEP_1)
	v_fmac_f32_e32 v12, v8, v18
	v_fmac_f32_e32 v12, v16, v6
	s_delay_alu instid0(VALU_DEP_1) | instskip(SKIP_1) | instid1(VALU_DEP_2)
	v_pk_add_f32 v[8:9], v[10:11], v[12:13]
	v_subrev_co_ci_u32_e64 v3, null, 0, v17, vcc_lo
	v_mov_b32_e32 v14, v9
	s_delay_alu instid0(VALU_DEP_3) | instskip(NEXT) | instid1(VALU_DEP_3)
	v_dual_sub_f32 v7, v13, v9 :: v_dual_sub_f32 v11, v8, v10
	v_cvt_f32_i32_e32 v3, v3
	s_delay_alu instid0(VALU_DEP_3) | instskip(NEXT) | instid1(VALU_DEP_3)
	v_pk_mul_f32 v[16:17], v[8:9], v[14:15]
	v_add_f32_e32 v7, v15, v7
	s_delay_alu instid0(VALU_DEP_4) | instskip(NEXT) | instid1(VALU_DEP_3)
	v_sub_f32_e32 v11, v12, v11
	v_fma_f32 v10, v8, v9, -v16
	s_delay_alu instid0(VALU_DEP_1) | instskip(NEXT) | instid1(VALU_DEP_1)
	v_fmac_f32_e32 v10, v8, v7
	v_fmac_f32_e32 v10, v11, v9
	v_mul_f32_e32 v14, 0x3f317218, v3
	v_ldexp_f32 v9, v6, 1
	s_delay_alu instid0(VALU_DEP_3) | instskip(NEXT) | instid1(VALU_DEP_3)
	v_add_f32_e32 v15, v16, v10
	v_fma_f32 v7, 0x3f317218, v3, -v14
	s_delay_alu instid0(VALU_DEP_2) | instskip(NEXT) | instid1(VALU_DEP_2)
	v_dual_mov_b32 v17, v9 :: v_dual_mov_b32 v11, v15
	v_fmamk_f32 v8, v3, 0xb102e308, v7
	v_ldexp_f32 v3, v18, 1
	s_delay_alu instid0(VALU_DEP_2) | instskip(NEXT) | instid1(VALU_DEP_1)
	v_pk_add_f32 v[6:7], v[14:15], v[8:9]
	v_dual_mov_b32 v12, v15 :: v_dual_mov_b32 v13, v7
	s_delay_alu instid0(VALU_DEP_2) | instskip(NEXT) | instid1(VALU_DEP_2)
	v_dual_mov_b32 v9, v6 :: v_dual_mov_b32 v20, v7
	v_pk_add_f32 v[12:13], v[12:13], v[16:17] neg_lo:[0,1] neg_hi:[0,1]
	s_delay_alu instid0(VALU_DEP_1) | instskip(NEXT) | instid1(VALU_DEP_1)
	v_pk_add_f32 v[10:11], v[10:11], v[12:13] neg_lo:[0,1] neg_hi:[0,1]
	v_add_f32_e32 v3, v3, v10
	s_delay_alu instid0(VALU_DEP_1) | instskip(NEXT) | instid1(VALU_DEP_1)
	v_add_f32_e32 v15, v3, v11
	v_pk_add_f32 v[10:11], v[6:7], v[14:15]
	v_pk_add_f32 v[12:13], v[6:7], v[14:15] neg_lo:[0,1] neg_hi:[0,1]
	s_delay_alu instid0(VALU_DEP_2) | instskip(NEXT) | instid1(VALU_DEP_1)
	v_mov_b32_e32 v13, v11
	v_pk_add_f32 v[16:17], v[8:9], v[12:13]
	v_mov_b32_e32 v16, v11
	v_pk_add_f32 v[8:9], v[8:9], v[12:13] neg_lo:[0,1] neg_hi:[0,1]
	s_delay_alu instid0(VALU_DEP_3) | instskip(NEXT) | instid1(VALU_DEP_1)
	v_dual_mov_b32 v14, v17 :: v_dual_mov_b32 v9, v17
	v_pk_add_f32 v[18:19], v[14:15], v[6:7] neg_lo:[0,1] neg_hi:[0,1]
	v_dual_mov_b32 v7, v6 :: v_dual_mov_b32 v6, v15
	s_delay_alu instid0(VALU_DEP_2) | instskip(NEXT) | instid1(VALU_DEP_1)
	v_dual_mov_b32 v21, v18 :: v_dual_mov_b32 v3, v18
	v_pk_add_f32 v[12:13], v[16:17], v[20:21] neg_lo:[0,1] neg_hi:[0,1]
	s_delay_alu instid0(VALU_DEP_2) | instskip(SKIP_1) | instid1(VALU_DEP_3)
	v_pk_add_f32 v[10:11], v[10:11], v[2:3] neg_lo:[0,1] neg_hi:[0,1]
	v_mov_b32_e32 v10, v8
	v_pk_add_f32 v[6:7], v[6:7], v[12:13] neg_lo:[0,1] neg_hi:[0,1]
	s_delay_alu instid0(VALU_DEP_1) | instskip(NEXT) | instid1(VALU_DEP_1)
	v_pk_add_f32 v[10:11], v[10:11], v[6:7]
	v_mov_b32_e32 v12, v11
	s_delay_alu instid0(VALU_DEP_1) | instskip(NEXT) | instid1(VALU_DEP_1)
	v_pk_add_f32 v[12:13], v[10:11], v[12:13]
	v_pk_add_f32 v[14:15], v[14:15], v[12:13]
	s_delay_alu instid0(VALU_DEP_1) | instskip(NEXT) | instid1(VALU_DEP_1)
	v_dual_mov_b32 v7, v12 :: v_dual_mov_b32 v11, v14
	v_pk_add_f32 v[16:17], v[10:11], v[8:9] neg_lo:[0,1] neg_hi:[0,1]
	s_delay_alu instid0(VALU_DEP_1) | instskip(NEXT) | instid1(VALU_DEP_2)
	v_sub_f32_e32 v3, v10, v16
	v_pk_add_f32 v[6:7], v[6:7], v[16:17] neg_lo:[0,1] neg_hi:[0,1]
	s_delay_alu instid0(VALU_DEP_2) | instskip(NEXT) | instid1(VALU_DEP_1)
	v_sub_f32_e32 v3, v8, v3
	v_add_f32_e32 v3, v6, v3
	s_delay_alu instid0(VALU_DEP_1) | instskip(NEXT) | instid1(VALU_DEP_1)
	v_add_f32_e32 v3, v3, v7
	v_add_f32_e32 v6, v14, v3
	s_delay_alu instid0(VALU_DEP_1) | instskip(NEXT) | instid1(VALU_DEP_1)
	v_sub_f32_e32 v7, v6, v14
	v_dual_mul_f32 v8, v5, v6 :: v_dual_sub_f32 v3, v3, v7
	s_delay_alu instid0(VALU_DEP_1) | instskip(SKIP_1) | instid1(VALU_DEP_2)
	v_fma_f32 v6, v5, v6, -v8
	v_cmp_class_f32_e64 vcc_lo, v8, 0x204
	v_fmac_f32_e32 v6, v5, v3
	s_delay_alu instid0(VALU_DEP_1) | instskip(NEXT) | instid1(VALU_DEP_1)
	v_add_f32_e32 v3, v8, v6
	v_cndmask_b32_e32 v7, v3, v8, vcc_lo
	s_delay_alu instid0(VALU_DEP_1) | instskip(SKIP_2) | instid1(VALU_DEP_2)
	v_cmp_eq_f32_e32 vcc_lo, 0x42b17218, v7
	v_cndmask_b32_e64 v9, 0, 0x37000000, vcc_lo
	v_cmp_neq_f32_e64 vcc_lo, 0x7f800000, |v7|
	v_sub_f32_e32 v10, v7, v9
	v_trunc_f32_e32 v7, v5
	s_delay_alu instid0(VALU_DEP_2) | instskip(NEXT) | instid1(VALU_DEP_1)
	v_mul_f32_e32 v11, 0x3fb8aa3b, v10
	v_fma_f32 v12, 0x3fb8aa3b, v10, -v11
	v_rndne_f32_e32 v13, v11
	s_delay_alu instid0(VALU_DEP_1) | instskip(SKIP_1) | instid1(VALU_DEP_1)
	v_dual_fmamk_f32 v12, v10, 0x32a5705f, v12 :: v_dual_sub_f32 v11, v11, v13
	v_sub_f32_e32 v3, v3, v8
	v_dual_add_f32 v11, v11, v12 :: v_dual_sub_f32 v3, v6, v3
	s_delay_alu instid0(VALU_DEP_1) | instskip(SKIP_2) | instid1(VALU_DEP_3)
	v_exp_f32_e32 v8, v11
	v_nop
	v_cvt_i32_f32_e32 v11, v13
	v_cndmask_b32_e32 v3, 0, v3, vcc_lo
	v_cmp_ngt_f32_e32 vcc_lo, 0xc2ce8ed0, v10
	s_delay_alu instid0(TRANS32_DEP_1) | instid1(VALU_DEP_3)
	v_ldexp_f32 v6, v8, v11
	s_delay_alu instid0(VALU_DEP_1) | instskip(NEXT) | instid1(VALU_DEP_1)
	v_dual_mul_f32 v8, 0.5, v5 :: v_dual_cndmask_b32 v6, 0, v6, vcc_lo
	v_trunc_f32_e32 v11, v8
	v_cmp_nlt_f32_e32 vcc_lo, 0x42b17218, v10
	s_delay_alu instid0(VALU_DEP_2) | instskip(NEXT) | instid1(VALU_DEP_4)
	v_cmp_neq_f32_e64 s2, v11, v8
	v_cndmask_b32_e32 v6, 0x7f800000, v6, vcc_lo
	v_cmp_eq_f32_e32 vcc_lo, v7, v5
	s_delay_alu instid0(VALU_DEP_2) | instskip(SKIP_1) | instid1(SALU_CYCLE_1)
	v_cmp_class_f32_e64 s3, v6, 0x204
	s_and_b32 s2, vcc_lo, s2
	v_dual_cndmask_b32 v7, 1.0, v4, s2 :: v_dual_add_f32 v3, v9, v3
	s_delay_alu instid0(VALU_DEP_1) | instskip(NEXT) | instid1(VALU_DEP_1)
	v_fma_f32 v3, v6, v3, v6
	v_cndmask_b32_e64 v3, v3, v6, s3
	v_cndmask_b32_e64 v6, 0x7f800000, 0, s17
	v_cmp_gt_f32_e64 s3, 0, v5
	s_delay_alu instid0(VALU_DEP_3) | instskip(SKIP_1) | instid1(SALU_CYCLE_1)
	v_bfi_b32 v3, 0x7fffffff, v3, v7
	s_xor_b32 s3, s3, s4
	v_cndmask_b32_e64 v8, 0x7f800000, 0, s3
	s_delay_alu instid0(VALU_DEP_2) | instskip(SKIP_3) | instid1(VALU_DEP_3)
	v_cndmask_b32_e32 v7, 0x7fc00000, v3, vcc_lo
	v_cmp_neq_f32_e64 vcc_lo, |v4|, 1.0
	v_cndmask_b32_e32 v6, 1.0, v6, vcc_lo
	v_cmp_gt_f32_e32 vcc_lo, 0, v4
	v_dual_cndmask_b32 v3, v3, v7, vcc_lo :: v_dual_cndmask_b32 v7, 0, v4, s2
	v_cmp_class_f32_e64 vcc_lo, v5, 0x204
	v_cmp_class_f32_e64 s2, v4, 0x204
	s_delay_alu instid0(VALU_DEP_3) | instskip(NEXT) | instid1(VALU_DEP_4)
	v_bfi_b32 v5, 0x7fffffff, v8, v7
	v_cndmask_b32_e32 v3, v3, v6, vcc_lo
	s_or_b32 vcc_lo, s4, s2
	s_delay_alu instid0(VALU_DEP_1) | instskip(SKIP_3) | instid1(VALU_DEP_3)
	v_cndmask_b32_e32 v3, v3, v5, vcc_lo
	v_cmp_o_f32_e32 vcc_lo, v4, v4
	s_wait_loadcnt 0x0
	v_cvt_f32_i32_e32 v5, v22
                                        ; implicit-def: $vgpr4
	v_cndmask_b32_e32 v3, 0x7fc00000, v3, vcc_lo
	s_delay_alu instid0(VALU_DEP_1)
	v_mul_f32_e32 v6, v3, v5
                                        ; implicit-def: $vgpr3
.LBB27_23:
	s_and_not1_saveexec_b32 s16, s16
	s_cbranch_execz .LBB27_25
; %bb.24:
	v_cvt_f32_i32_e32 v4, v4
	s_cmp_neq_f32 s23, 1.0
	s_mov_b32 s2, 0x3e76c4e1
	global_load_b32 v22, v3, s[24:25] scale_offset
	s_cselect_b32 vcc_lo, -1, 0
	v_mul_f32_e32 v4, 0.5, v4
	s_delay_alu instid0(VALU_DEP_1) | instskip(NEXT) | instid1(VALU_DEP_1)
	v_cndmask_b32_e32 v5, 1.0, v4, vcc_lo
	v_cmp_neq_f32_e32 vcc_lo, 0, v5
	v_cndmask_b32_e64 v4, 1.0, s23, vcc_lo
	s_delay_alu instid0(VALU_DEP_1) | instskip(SKIP_2) | instid1(VALU_DEP_3)
	v_frexp_mant_f32_e64 v6, |v4|
	v_cmp_lt_f32_e64 s18, |v4|, 1.0
	v_cmp_eq_f32_e64 s4, 0, v4
	v_cmp_gt_f32_e32 vcc_lo, 0x3f2aaaab, v6
	v_cndmask_b32_e64 v7, 1.0, 2.0, vcc_lo
	s_delay_alu instid0(VALU_DEP_1) | instskip(NEXT) | instid1(VALU_DEP_1)
	v_mul_f32_e32 v6, v6, v7
	v_dual_add_f32 v9, 1.0, v6 :: v_dual_add_f32 v7, -1.0, v6
	v_cmp_neq_f32_e64 s17, v5, |v5|
	s_delay_alu instid0(VALU_DEP_2)
	v_rcp_f32_e32 v12, v9
	v_add_f32_e32 v10, -1.0, v9
	s_xor_b32 s17, s17, s18
	s_delay_alu instid0(TRANS32_DEP_1) | instid1(VALU_DEP_1)
	v_dual_sub_f32 v6, v6, v10 :: v_dual_mul_f32 v13, v7, v12
	s_delay_alu instid0(VALU_DEP_1) | instskip(NEXT) | instid1(VALU_DEP_1)
	v_mul_f32_e32 v8, v9, v13
	v_fma_f32 v10, v13, v9, -v8
	s_delay_alu instid0(VALU_DEP_1) | instskip(NEXT) | instid1(VALU_DEP_1)
	v_fmac_f32_e32 v10, v13, v6
	v_add_f32_e32 v6, v8, v10
	s_delay_alu instid0(VALU_DEP_1) | instskip(NEXT) | instid1(VALU_DEP_1)
	v_dual_sub_f32 v9, v7, v6 :: v_dual_mov_b32 v11, v6
	v_pk_add_f32 v[6:7], v[6:7], v[8:9] neg_lo:[0,1] neg_hi:[0,1]
	s_delay_alu instid0(VALU_DEP_1) | instskip(NEXT) | instid1(VALU_DEP_1)
	v_pk_add_f32 v[6:7], v[6:7], v[10:11] neg_lo:[0,1] neg_hi:[0,1]
	v_add_f32_e32 v6, v6, v7
	s_delay_alu instid0(VALU_DEP_1) | instskip(NEXT) | instid1(VALU_DEP_1)
	v_add_f32_e32 v6, v9, v6
	v_mul_f32_e32 v7, v12, v6
	s_delay_alu instid0(VALU_DEP_1) | instskip(NEXT) | instid1(VALU_DEP_1)
	v_add_f32_e32 v6, v13, v7
	v_sub_f32_e32 v8, v6, v13
	s_delay_alu instid0(VALU_DEP_1) | instskip(NEXT) | instid1(VALU_DEP_1)
	v_sub_f32_e32 v18, v7, v8
	v_add_f32_e32 v8, v18, v18
	v_mul_f32_e32 v9, v6, v6
	s_delay_alu instid0(VALU_DEP_1) | instskip(NEXT) | instid1(VALU_DEP_1)
	v_fma_f32 v7, v6, v6, -v9
	v_fmac_f32_e32 v7, v6, v8
	s_delay_alu instid0(VALU_DEP_1) | instskip(NEXT) | instid1(VALU_DEP_1)
	v_add_f32_e32 v8, v9, v7
	v_dual_fmaak_f32 v10, s2, v8, 0x3e91f4c4 :: v_dual_sub_f32 v9, v8, v9
	s_delay_alu instid0(VALU_DEP_1) | instskip(SKIP_1) | instid1(VALU_DEP_2)
	v_fmaak_f32 v12, v8, v10, 0x3ecccdef
	v_cvt_f64_f32_e64 v[10:11], |v4|
	v_dual_sub_f32 v16, v7, v9 :: v_dual_mul_f32 v13, v8, v12
	s_delay_alu instid0(VALU_DEP_1) | instskip(NEXT) | instid1(VALU_DEP_1)
	v_fma_f32 v7, v8, v12, -v13
	v_fmac_f32_e32 v7, v16, v12
	s_wait_xcnt 0x0
	s_delay_alu instid0(VALU_DEP_1) | instskip(NEXT) | instid1(VALU_DEP_1)
	v_add_f32_e32 v3, v13, v7
	v_sub_f32_e32 v9, v3, v13
	v_add_f32_e32 v13, 0x3f2aaaaa, v3
	s_delay_alu instid0(VALU_DEP_2) | instskip(NEXT) | instid1(VALU_DEP_2)
	v_sub_f32_e32 v7, v7, v9
	v_add_f32_e32 v9, 0xbf2aaaaa, v13
	v_frexp_exp_i32_f64_e32 v17, v[10:11]
	s_delay_alu instid0(VALU_DEP_3) | instskip(NEXT) | instid1(VALU_DEP_3)
	v_add_f32_e32 v7, 0x31739010, v7
	v_sub_f32_e32 v9, v3, v9
	s_delay_alu instid0(VALU_DEP_1) | instskip(SKIP_1) | instid1(VALU_DEP_1)
	v_pk_mul_f32 v[10:11], v[6:7], v[8:9]
	v_pk_add_f32 v[14:15], v[6:7], v[8:9]
	v_dual_fma_f32 v12, v8, v6, -v10 :: v_dual_mov_b32 v11, v15
	s_delay_alu instid0(VALU_DEP_1) | instskip(NEXT) | instid1(VALU_DEP_1)
	v_fmac_f32_e32 v12, v8, v18
	v_fmac_f32_e32 v12, v16, v6
	s_delay_alu instid0(VALU_DEP_1) | instskip(SKIP_1) | instid1(VALU_DEP_2)
	v_pk_add_f32 v[8:9], v[10:11], v[12:13]
	v_subrev_co_ci_u32_e64 v3, null, 0, v17, vcc_lo
	v_mov_b32_e32 v14, v9
	s_delay_alu instid0(VALU_DEP_3) | instskip(NEXT) | instid1(VALU_DEP_3)
	v_dual_sub_f32 v7, v13, v9 :: v_dual_sub_f32 v11, v8, v10
	v_cvt_f32_i32_e32 v3, v3
	s_delay_alu instid0(VALU_DEP_3) | instskip(NEXT) | instid1(VALU_DEP_3)
	v_pk_mul_f32 v[16:17], v[8:9], v[14:15]
	v_add_f32_e32 v7, v15, v7
	s_delay_alu instid0(VALU_DEP_4) | instskip(NEXT) | instid1(VALU_DEP_3)
	v_sub_f32_e32 v11, v12, v11
	v_fma_f32 v10, v8, v9, -v16
	s_delay_alu instid0(VALU_DEP_1) | instskip(NEXT) | instid1(VALU_DEP_1)
	v_fmac_f32_e32 v10, v8, v7
	v_fmac_f32_e32 v10, v11, v9
	v_mul_f32_e32 v14, 0x3f317218, v3
	v_ldexp_f32 v9, v6, 1
	s_delay_alu instid0(VALU_DEP_3) | instskip(NEXT) | instid1(VALU_DEP_3)
	v_add_f32_e32 v15, v16, v10
	v_fma_f32 v7, 0x3f317218, v3, -v14
	s_delay_alu instid0(VALU_DEP_2) | instskip(NEXT) | instid1(VALU_DEP_2)
	v_dual_mov_b32 v17, v9 :: v_dual_mov_b32 v11, v15
	v_fmamk_f32 v8, v3, 0xb102e308, v7
	v_ldexp_f32 v3, v18, 1
	s_delay_alu instid0(VALU_DEP_2) | instskip(NEXT) | instid1(VALU_DEP_1)
	v_pk_add_f32 v[6:7], v[14:15], v[8:9]
	v_dual_mov_b32 v12, v15 :: v_dual_mov_b32 v13, v7
	s_delay_alu instid0(VALU_DEP_2) | instskip(NEXT) | instid1(VALU_DEP_2)
	v_dual_mov_b32 v9, v6 :: v_dual_mov_b32 v20, v7
	v_pk_add_f32 v[12:13], v[12:13], v[16:17] neg_lo:[0,1] neg_hi:[0,1]
	s_delay_alu instid0(VALU_DEP_1) | instskip(NEXT) | instid1(VALU_DEP_1)
	v_pk_add_f32 v[10:11], v[10:11], v[12:13] neg_lo:[0,1] neg_hi:[0,1]
	v_add_f32_e32 v3, v3, v10
	s_delay_alu instid0(VALU_DEP_1) | instskip(NEXT) | instid1(VALU_DEP_1)
	v_add_f32_e32 v15, v3, v11
	v_pk_add_f32 v[10:11], v[6:7], v[14:15]
	v_pk_add_f32 v[12:13], v[6:7], v[14:15] neg_lo:[0,1] neg_hi:[0,1]
	s_delay_alu instid0(VALU_DEP_2) | instskip(NEXT) | instid1(VALU_DEP_1)
	v_mov_b32_e32 v13, v11
	v_pk_add_f32 v[16:17], v[8:9], v[12:13]
	v_mov_b32_e32 v16, v11
	v_pk_add_f32 v[8:9], v[8:9], v[12:13] neg_lo:[0,1] neg_hi:[0,1]
	s_delay_alu instid0(VALU_DEP_3) | instskip(NEXT) | instid1(VALU_DEP_1)
	v_dual_mov_b32 v14, v17 :: v_dual_mov_b32 v9, v17
	v_pk_add_f32 v[18:19], v[14:15], v[6:7] neg_lo:[0,1] neg_hi:[0,1]
	v_dual_mov_b32 v7, v6 :: v_dual_mov_b32 v6, v15
	s_delay_alu instid0(VALU_DEP_2) | instskip(NEXT) | instid1(VALU_DEP_1)
	v_dual_mov_b32 v21, v18 :: v_dual_mov_b32 v3, v18
	v_pk_add_f32 v[12:13], v[16:17], v[20:21] neg_lo:[0,1] neg_hi:[0,1]
	s_delay_alu instid0(VALU_DEP_2) | instskip(SKIP_1) | instid1(VALU_DEP_3)
	v_pk_add_f32 v[10:11], v[10:11], v[2:3] neg_lo:[0,1] neg_hi:[0,1]
	v_mov_b32_e32 v10, v8
	v_pk_add_f32 v[6:7], v[6:7], v[12:13] neg_lo:[0,1] neg_hi:[0,1]
	s_delay_alu instid0(VALU_DEP_1) | instskip(NEXT) | instid1(VALU_DEP_1)
	v_pk_add_f32 v[10:11], v[10:11], v[6:7]
	v_mov_b32_e32 v12, v11
	s_delay_alu instid0(VALU_DEP_1) | instskip(NEXT) | instid1(VALU_DEP_1)
	v_pk_add_f32 v[12:13], v[10:11], v[12:13]
	v_pk_add_f32 v[14:15], v[14:15], v[12:13]
	s_delay_alu instid0(VALU_DEP_1) | instskip(NEXT) | instid1(VALU_DEP_1)
	v_dual_mov_b32 v7, v12 :: v_dual_mov_b32 v11, v14
	v_pk_add_f32 v[16:17], v[10:11], v[8:9] neg_lo:[0,1] neg_hi:[0,1]
	s_delay_alu instid0(VALU_DEP_1) | instskip(NEXT) | instid1(VALU_DEP_2)
	v_sub_f32_e32 v3, v10, v16
	v_pk_add_f32 v[6:7], v[6:7], v[16:17] neg_lo:[0,1] neg_hi:[0,1]
	s_delay_alu instid0(VALU_DEP_2) | instskip(NEXT) | instid1(VALU_DEP_1)
	v_sub_f32_e32 v3, v8, v3
	v_add_f32_e32 v3, v6, v3
	s_delay_alu instid0(VALU_DEP_1) | instskip(NEXT) | instid1(VALU_DEP_1)
	v_add_f32_e32 v3, v3, v7
	v_add_f32_e32 v6, v14, v3
	s_delay_alu instid0(VALU_DEP_1) | instskip(NEXT) | instid1(VALU_DEP_1)
	v_sub_f32_e32 v7, v6, v14
	v_dual_mul_f32 v8, v5, v6 :: v_dual_sub_f32 v3, v3, v7
	s_delay_alu instid0(VALU_DEP_1) | instskip(SKIP_1) | instid1(VALU_DEP_2)
	v_fma_f32 v6, v5, v6, -v8
	v_cmp_class_f32_e64 vcc_lo, v8, 0x204
	v_fmac_f32_e32 v6, v5, v3
	s_delay_alu instid0(VALU_DEP_1) | instskip(NEXT) | instid1(VALU_DEP_1)
	v_add_f32_e32 v3, v8, v6
	v_cndmask_b32_e32 v7, v3, v8, vcc_lo
	s_delay_alu instid0(VALU_DEP_1) | instskip(SKIP_2) | instid1(VALU_DEP_2)
	v_cmp_eq_f32_e32 vcc_lo, 0x42b17218, v7
	v_cndmask_b32_e64 v9, 0, 0x37000000, vcc_lo
	v_cmp_neq_f32_e64 vcc_lo, 0x7f800000, |v7|
	v_sub_f32_e32 v10, v7, v9
	v_trunc_f32_e32 v7, v5
	s_delay_alu instid0(VALU_DEP_2) | instskip(NEXT) | instid1(VALU_DEP_1)
	v_mul_f32_e32 v11, 0x3fb8aa3b, v10
	v_fma_f32 v12, 0x3fb8aa3b, v10, -v11
	v_rndne_f32_e32 v13, v11
	s_delay_alu instid0(VALU_DEP_1) | instskip(SKIP_1) | instid1(VALU_DEP_1)
	v_dual_fmamk_f32 v12, v10, 0x32a5705f, v12 :: v_dual_sub_f32 v11, v11, v13
	v_sub_f32_e32 v3, v3, v8
	v_dual_add_f32 v11, v11, v12 :: v_dual_sub_f32 v3, v6, v3
	s_delay_alu instid0(VALU_DEP_1) | instskip(SKIP_2) | instid1(VALU_DEP_3)
	v_exp_f32_e32 v8, v11
	v_nop
	v_cvt_i32_f32_e32 v11, v13
	v_cndmask_b32_e32 v3, 0, v3, vcc_lo
	v_cmp_ngt_f32_e32 vcc_lo, 0xc2ce8ed0, v10
	s_delay_alu instid0(TRANS32_DEP_1) | instid1(VALU_DEP_3)
	v_ldexp_f32 v6, v8, v11
	s_delay_alu instid0(VALU_DEP_1) | instskip(NEXT) | instid1(VALU_DEP_1)
	v_dual_mul_f32 v8, 0.5, v5 :: v_dual_cndmask_b32 v6, 0, v6, vcc_lo
	v_trunc_f32_e32 v11, v8
	v_cmp_nlt_f32_e32 vcc_lo, 0x42b17218, v10
	s_delay_alu instid0(VALU_DEP_2) | instskip(NEXT) | instid1(VALU_DEP_4)
	v_cmp_neq_f32_e64 s2, v11, v8
	v_cndmask_b32_e32 v6, 0x7f800000, v6, vcc_lo
	v_cmp_eq_f32_e32 vcc_lo, v7, v5
	s_delay_alu instid0(VALU_DEP_2) | instskip(SKIP_1) | instid1(SALU_CYCLE_1)
	v_cmp_class_f32_e64 s3, v6, 0x204
	s_and_b32 s2, vcc_lo, s2
	v_dual_cndmask_b32 v7, 1.0, v4, s2 :: v_dual_add_f32 v3, v9, v3
	s_delay_alu instid0(VALU_DEP_1) | instskip(NEXT) | instid1(VALU_DEP_1)
	v_fma_f32 v3, v6, v3, v6
	v_cndmask_b32_e64 v3, v3, v6, s3
	v_cndmask_b32_e64 v6, 0x7f800000, 0, s17
	v_cmp_gt_f32_e64 s3, 0, v5
	s_delay_alu instid0(VALU_DEP_3) | instskip(SKIP_1) | instid1(SALU_CYCLE_1)
	v_bfi_b32 v3, 0x7fffffff, v3, v7
	s_xor_b32 s3, s3, s4
	v_cndmask_b32_e64 v8, 0x7f800000, 0, s3
	s_delay_alu instid0(VALU_DEP_2) | instskip(SKIP_3) | instid1(VALU_DEP_3)
	v_cndmask_b32_e32 v7, 0x7fc00000, v3, vcc_lo
	v_cmp_neq_f32_e64 vcc_lo, |v4|, 1.0
	v_cndmask_b32_e32 v6, 1.0, v6, vcc_lo
	v_cmp_gt_f32_e32 vcc_lo, 0, v4
	v_dual_cndmask_b32 v3, v3, v7, vcc_lo :: v_dual_cndmask_b32 v7, 0, v4, s2
	v_cmp_class_f32_e64 vcc_lo, v5, 0x204
	v_cmp_class_f32_e64 s2, v4, 0x204
	s_delay_alu instid0(VALU_DEP_3) | instskip(NEXT) | instid1(VALU_DEP_4)
	v_bfi_b32 v5, 0x7fffffff, v8, v7
	v_cndmask_b32_e32 v3, v3, v6, vcc_lo
	s_or_b32 vcc_lo, s4, s2
	s_delay_alu instid0(VALU_DEP_1) | instskip(SKIP_3) | instid1(VALU_DEP_3)
	v_cndmask_b32_e32 v3, v3, v5, vcc_lo
	v_cmp_o_f32_e32 vcc_lo, v4, v4
	s_wait_loadcnt 0x0
	v_cvt_f32_i32_e32 v5, v22
	v_cndmask_b32_e32 v3, 0x7fc00000, v3, vcc_lo
	s_delay_alu instid0(VALU_DEP_1)
	v_mul_f32_e32 v6, v3, v5
.LBB27_25:
	s_or_b32 exec_lo, exec_lo, s16
                                        ; implicit-def: $vgpr3
                                        ; implicit-def: $vgpr4
.LBB27_26:
	s_and_not1_saveexec_b32 s7, s7
	s_cbranch_execz .LBB27_28
; %bb.27:
	v_cvt_f32_i32_e32 v4, v4
	s_cmp_neq_f32 s23, 1.0
	s_mov_b32 s2, 0x3e76c4e1
	v_lshl_add_u32 v3, s6, 1, v3
	s_cselect_b32 vcc_lo, -1, 0
	v_mul_f32_e32 v4, 0.5, v4
	global_load_b32 v22, v3, s[24:25] scale_offset
	v_cndmask_b32_e32 v5, 1.0, v4, vcc_lo
	s_delay_alu instid0(VALU_DEP_1) | instskip(SKIP_1) | instid1(VALU_DEP_1)
	v_cmp_neq_f32_e32 vcc_lo, 0, v5
	v_cndmask_b32_e64 v4, 1.0, s23, vcc_lo
	v_frexp_mant_f32_e64 v6, |v4|
	v_cmp_lt_f32_e64 s17, |v4|, 1.0
	v_cmp_eq_f32_e64 s4, 0, v4
	s_delay_alu instid0(VALU_DEP_3) | instskip(SKIP_1) | instid1(VALU_DEP_1)
	v_cmp_gt_f32_e32 vcc_lo, 0x3f2aaaab, v6
	v_cndmask_b32_e64 v7, 1.0, 2.0, vcc_lo
	v_mul_f32_e32 v6, v6, v7
	s_delay_alu instid0(VALU_DEP_1) | instskip(SKIP_1) | instid1(VALU_DEP_2)
	v_dual_add_f32 v9, 1.0, v6 :: v_dual_add_f32 v7, -1.0, v6
	v_cmp_neq_f32_e64 s16, v5, |v5|
	v_rcp_f32_e32 v12, v9
	v_add_f32_e32 v10, -1.0, v9
	s_xor_b32 s16, s16, s17
	s_delay_alu instid0(TRANS32_DEP_1) | instid1(VALU_DEP_1)
	v_dual_sub_f32 v6, v6, v10 :: v_dual_mul_f32 v13, v7, v12
	s_delay_alu instid0(VALU_DEP_1) | instskip(NEXT) | instid1(VALU_DEP_1)
	v_mul_f32_e32 v8, v9, v13
	v_fma_f32 v10, v13, v9, -v8
	s_delay_alu instid0(VALU_DEP_1) | instskip(NEXT) | instid1(VALU_DEP_1)
	v_fmac_f32_e32 v10, v13, v6
	v_add_f32_e32 v6, v8, v10
	s_delay_alu instid0(VALU_DEP_1) | instskip(NEXT) | instid1(VALU_DEP_1)
	v_dual_sub_f32 v9, v7, v6 :: v_dual_mov_b32 v11, v6
	v_pk_add_f32 v[6:7], v[6:7], v[8:9] neg_lo:[0,1] neg_hi:[0,1]
	s_delay_alu instid0(VALU_DEP_1) | instskip(NEXT) | instid1(VALU_DEP_1)
	v_pk_add_f32 v[6:7], v[6:7], v[10:11] neg_lo:[0,1] neg_hi:[0,1]
	v_add_f32_e32 v6, v6, v7
	s_delay_alu instid0(VALU_DEP_1) | instskip(NEXT) | instid1(VALU_DEP_1)
	v_add_f32_e32 v6, v9, v6
	v_mul_f32_e32 v7, v12, v6
	s_delay_alu instid0(VALU_DEP_1) | instskip(NEXT) | instid1(VALU_DEP_1)
	v_add_f32_e32 v6, v13, v7
	v_sub_f32_e32 v8, v6, v13
	s_delay_alu instid0(VALU_DEP_1) | instskip(NEXT) | instid1(VALU_DEP_1)
	v_sub_f32_e32 v18, v7, v8
	v_add_f32_e32 v8, v18, v18
	v_mul_f32_e32 v9, v6, v6
	s_delay_alu instid0(VALU_DEP_1) | instskip(NEXT) | instid1(VALU_DEP_1)
	v_fma_f32 v7, v6, v6, -v9
	v_fmac_f32_e32 v7, v6, v8
	s_delay_alu instid0(VALU_DEP_1) | instskip(NEXT) | instid1(VALU_DEP_1)
	v_add_f32_e32 v8, v9, v7
	v_dual_fmaak_f32 v10, s2, v8, 0x3e91f4c4 :: v_dual_sub_f32 v9, v8, v9
	s_delay_alu instid0(VALU_DEP_1) | instskip(SKIP_1) | instid1(VALU_DEP_2)
	v_fmaak_f32 v12, v8, v10, 0x3ecccdef
	v_cvt_f64_f32_e64 v[10:11], |v4|
	v_dual_sub_f32 v16, v7, v9 :: v_dual_mul_f32 v13, v8, v12
	s_delay_alu instid0(VALU_DEP_1) | instskip(NEXT) | instid1(VALU_DEP_1)
	v_fma_f32 v7, v8, v12, -v13
	v_fmac_f32_e32 v7, v16, v12
	s_wait_xcnt 0x0
	s_delay_alu instid0(VALU_DEP_1) | instskip(NEXT) | instid1(VALU_DEP_1)
	v_add_f32_e32 v3, v13, v7
	v_sub_f32_e32 v9, v3, v13
	v_add_f32_e32 v13, 0x3f2aaaaa, v3
	s_delay_alu instid0(VALU_DEP_2) | instskip(NEXT) | instid1(VALU_DEP_2)
	v_sub_f32_e32 v7, v7, v9
	v_add_f32_e32 v9, 0xbf2aaaaa, v13
	v_frexp_exp_i32_f64_e32 v17, v[10:11]
	s_delay_alu instid0(VALU_DEP_3) | instskip(NEXT) | instid1(VALU_DEP_3)
	v_add_f32_e32 v7, 0x31739010, v7
	v_sub_f32_e32 v9, v3, v9
	s_delay_alu instid0(VALU_DEP_1) | instskip(SKIP_1) | instid1(VALU_DEP_1)
	v_pk_mul_f32 v[10:11], v[6:7], v[8:9]
	v_pk_add_f32 v[14:15], v[6:7], v[8:9]
	v_dual_fma_f32 v12, v8, v6, -v10 :: v_dual_mov_b32 v11, v15
	s_delay_alu instid0(VALU_DEP_1) | instskip(NEXT) | instid1(VALU_DEP_1)
	v_fmac_f32_e32 v12, v8, v18
	v_fmac_f32_e32 v12, v16, v6
	s_delay_alu instid0(VALU_DEP_1) | instskip(SKIP_1) | instid1(VALU_DEP_2)
	v_pk_add_f32 v[8:9], v[10:11], v[12:13]
	v_subrev_co_ci_u32_e64 v3, null, 0, v17, vcc_lo
	v_mov_b32_e32 v14, v9
	s_delay_alu instid0(VALU_DEP_3) | instskip(NEXT) | instid1(VALU_DEP_3)
	v_dual_sub_f32 v7, v13, v9 :: v_dual_sub_f32 v11, v8, v10
	v_cvt_f32_i32_e32 v3, v3
	s_delay_alu instid0(VALU_DEP_3) | instskip(NEXT) | instid1(VALU_DEP_3)
	v_pk_mul_f32 v[16:17], v[8:9], v[14:15]
	v_add_f32_e32 v7, v15, v7
	s_delay_alu instid0(VALU_DEP_4) | instskip(NEXT) | instid1(VALU_DEP_3)
	v_sub_f32_e32 v11, v12, v11
	v_fma_f32 v10, v8, v9, -v16
	s_delay_alu instid0(VALU_DEP_1) | instskip(NEXT) | instid1(VALU_DEP_1)
	v_fmac_f32_e32 v10, v8, v7
	v_fmac_f32_e32 v10, v11, v9
	v_mul_f32_e32 v14, 0x3f317218, v3
	v_ldexp_f32 v9, v6, 1
	s_delay_alu instid0(VALU_DEP_3) | instskip(NEXT) | instid1(VALU_DEP_3)
	v_add_f32_e32 v15, v16, v10
	v_fma_f32 v7, 0x3f317218, v3, -v14
	s_delay_alu instid0(VALU_DEP_2) | instskip(NEXT) | instid1(VALU_DEP_2)
	v_dual_mov_b32 v17, v9 :: v_dual_mov_b32 v11, v15
	v_fmamk_f32 v8, v3, 0xb102e308, v7
	v_ldexp_f32 v3, v18, 1
	s_delay_alu instid0(VALU_DEP_2) | instskip(NEXT) | instid1(VALU_DEP_1)
	v_pk_add_f32 v[6:7], v[14:15], v[8:9]
	v_dual_mov_b32 v12, v15 :: v_dual_mov_b32 v13, v7
	s_delay_alu instid0(VALU_DEP_2) | instskip(NEXT) | instid1(VALU_DEP_2)
	v_dual_mov_b32 v9, v6 :: v_dual_mov_b32 v20, v7
	v_pk_add_f32 v[12:13], v[12:13], v[16:17] neg_lo:[0,1] neg_hi:[0,1]
	s_delay_alu instid0(VALU_DEP_1) | instskip(NEXT) | instid1(VALU_DEP_1)
	v_pk_add_f32 v[10:11], v[10:11], v[12:13] neg_lo:[0,1] neg_hi:[0,1]
	v_add_f32_e32 v3, v3, v10
	s_delay_alu instid0(VALU_DEP_1) | instskip(NEXT) | instid1(VALU_DEP_1)
	v_add_f32_e32 v15, v3, v11
	v_pk_add_f32 v[10:11], v[6:7], v[14:15]
	v_pk_add_f32 v[12:13], v[6:7], v[14:15] neg_lo:[0,1] neg_hi:[0,1]
	s_delay_alu instid0(VALU_DEP_2) | instskip(NEXT) | instid1(VALU_DEP_1)
	v_mov_b32_e32 v13, v11
	v_pk_add_f32 v[16:17], v[8:9], v[12:13]
	v_mov_b32_e32 v16, v11
	v_pk_add_f32 v[8:9], v[8:9], v[12:13] neg_lo:[0,1] neg_hi:[0,1]
	s_delay_alu instid0(VALU_DEP_3) | instskip(NEXT) | instid1(VALU_DEP_1)
	v_dual_mov_b32 v14, v17 :: v_dual_mov_b32 v9, v17
	v_pk_add_f32 v[18:19], v[14:15], v[6:7] neg_lo:[0,1] neg_hi:[0,1]
	v_dual_mov_b32 v7, v6 :: v_dual_mov_b32 v6, v15
	s_delay_alu instid0(VALU_DEP_2) | instskip(NEXT) | instid1(VALU_DEP_1)
	v_dual_mov_b32 v21, v18 :: v_dual_mov_b32 v3, v18
	v_pk_add_f32 v[12:13], v[16:17], v[20:21] neg_lo:[0,1] neg_hi:[0,1]
	s_delay_alu instid0(VALU_DEP_2) | instskip(SKIP_1) | instid1(VALU_DEP_3)
	v_pk_add_f32 v[10:11], v[10:11], v[2:3] neg_lo:[0,1] neg_hi:[0,1]
	v_mov_b32_e32 v10, v8
	v_pk_add_f32 v[6:7], v[6:7], v[12:13] neg_lo:[0,1] neg_hi:[0,1]
	s_delay_alu instid0(VALU_DEP_1) | instskip(NEXT) | instid1(VALU_DEP_1)
	v_pk_add_f32 v[10:11], v[10:11], v[6:7]
	v_mov_b32_e32 v12, v11
	s_delay_alu instid0(VALU_DEP_1) | instskip(NEXT) | instid1(VALU_DEP_1)
	v_pk_add_f32 v[12:13], v[10:11], v[12:13]
	v_pk_add_f32 v[14:15], v[14:15], v[12:13]
	s_delay_alu instid0(VALU_DEP_1) | instskip(NEXT) | instid1(VALU_DEP_1)
	v_dual_mov_b32 v7, v12 :: v_dual_mov_b32 v11, v14
	v_pk_add_f32 v[16:17], v[10:11], v[8:9] neg_lo:[0,1] neg_hi:[0,1]
	s_delay_alu instid0(VALU_DEP_1) | instskip(NEXT) | instid1(VALU_DEP_2)
	v_sub_f32_e32 v3, v10, v16
	v_pk_add_f32 v[6:7], v[6:7], v[16:17] neg_lo:[0,1] neg_hi:[0,1]
	s_delay_alu instid0(VALU_DEP_2) | instskip(NEXT) | instid1(VALU_DEP_1)
	v_sub_f32_e32 v3, v8, v3
	v_add_f32_e32 v3, v6, v3
	s_delay_alu instid0(VALU_DEP_1) | instskip(NEXT) | instid1(VALU_DEP_1)
	v_add_f32_e32 v3, v3, v7
	v_add_f32_e32 v6, v14, v3
	s_delay_alu instid0(VALU_DEP_1) | instskip(NEXT) | instid1(VALU_DEP_1)
	v_sub_f32_e32 v7, v6, v14
	v_dual_mul_f32 v8, v5, v6 :: v_dual_sub_f32 v3, v3, v7
	s_delay_alu instid0(VALU_DEP_1) | instskip(SKIP_1) | instid1(VALU_DEP_2)
	v_fma_f32 v6, v5, v6, -v8
	v_cmp_class_f32_e64 vcc_lo, v8, 0x204
	v_fmac_f32_e32 v6, v5, v3
	s_delay_alu instid0(VALU_DEP_1) | instskip(NEXT) | instid1(VALU_DEP_1)
	v_add_f32_e32 v3, v8, v6
	v_cndmask_b32_e32 v7, v3, v8, vcc_lo
	s_delay_alu instid0(VALU_DEP_1) | instskip(SKIP_2) | instid1(VALU_DEP_2)
	v_cmp_eq_f32_e32 vcc_lo, 0x42b17218, v7
	v_cndmask_b32_e64 v9, 0, 0x37000000, vcc_lo
	v_cmp_neq_f32_e64 vcc_lo, 0x7f800000, |v7|
	v_sub_f32_e32 v10, v7, v9
	v_trunc_f32_e32 v7, v5
	s_delay_alu instid0(VALU_DEP_2) | instskip(NEXT) | instid1(VALU_DEP_1)
	v_mul_f32_e32 v11, 0x3fb8aa3b, v10
	v_fma_f32 v12, 0x3fb8aa3b, v10, -v11
	v_rndne_f32_e32 v13, v11
	s_delay_alu instid0(VALU_DEP_1) | instskip(SKIP_1) | instid1(VALU_DEP_1)
	v_dual_fmamk_f32 v12, v10, 0x32a5705f, v12 :: v_dual_sub_f32 v11, v11, v13
	v_sub_f32_e32 v3, v3, v8
	v_dual_add_f32 v11, v11, v12 :: v_dual_sub_f32 v3, v6, v3
	s_delay_alu instid0(VALU_DEP_1) | instskip(SKIP_2) | instid1(VALU_DEP_3)
	v_exp_f32_e32 v8, v11
	v_nop
	v_cvt_i32_f32_e32 v11, v13
	v_cndmask_b32_e32 v3, 0, v3, vcc_lo
	v_cmp_ngt_f32_e32 vcc_lo, 0xc2ce8ed0, v10
	s_delay_alu instid0(TRANS32_DEP_1) | instid1(VALU_DEP_3)
	v_ldexp_f32 v6, v8, v11
	s_delay_alu instid0(VALU_DEP_1) | instskip(NEXT) | instid1(VALU_DEP_1)
	v_dual_mul_f32 v8, 0.5, v5 :: v_dual_cndmask_b32 v6, 0, v6, vcc_lo
	v_trunc_f32_e32 v11, v8
	v_cmp_nlt_f32_e32 vcc_lo, 0x42b17218, v10
	s_delay_alu instid0(VALU_DEP_2) | instskip(NEXT) | instid1(VALU_DEP_4)
	v_cmp_neq_f32_e64 s2, v11, v8
	v_cndmask_b32_e32 v6, 0x7f800000, v6, vcc_lo
	v_cmp_eq_f32_e32 vcc_lo, v7, v5
	s_delay_alu instid0(VALU_DEP_2) | instskip(SKIP_1) | instid1(SALU_CYCLE_1)
	v_cmp_class_f32_e64 s3, v6, 0x204
	s_and_b32 s2, vcc_lo, s2
	v_dual_cndmask_b32 v7, 1.0, v4, s2 :: v_dual_add_f32 v3, v9, v3
	s_delay_alu instid0(VALU_DEP_1) | instskip(NEXT) | instid1(VALU_DEP_1)
	v_fma_f32 v3, v6, v3, v6
	v_cndmask_b32_e64 v3, v3, v6, s3
	v_cndmask_b32_e64 v6, 0x7f800000, 0, s16
	v_cmp_gt_f32_e64 s3, 0, v5
	s_delay_alu instid0(VALU_DEP_3) | instskip(SKIP_1) | instid1(SALU_CYCLE_1)
	v_bfi_b32 v3, 0x7fffffff, v3, v7
	s_xor_b32 s3, s3, s4
	v_cndmask_b32_e64 v8, 0x7f800000, 0, s3
	s_delay_alu instid0(VALU_DEP_2) | instskip(SKIP_3) | instid1(VALU_DEP_3)
	v_cndmask_b32_e32 v7, 0x7fc00000, v3, vcc_lo
	v_cmp_neq_f32_e64 vcc_lo, |v4|, 1.0
	v_cndmask_b32_e32 v6, 1.0, v6, vcc_lo
	v_cmp_gt_f32_e32 vcc_lo, 0, v4
	v_dual_cndmask_b32 v3, v3, v7, vcc_lo :: v_dual_cndmask_b32 v7, 0, v4, s2
	v_cmp_class_f32_e64 vcc_lo, v5, 0x204
	v_cmp_class_f32_e64 s2, v4, 0x204
	s_delay_alu instid0(VALU_DEP_3) | instskip(NEXT) | instid1(VALU_DEP_4)
	v_bfi_b32 v5, 0x7fffffff, v8, v7
	v_cndmask_b32_e32 v3, v3, v6, vcc_lo
	s_or_b32 vcc_lo, s4, s2
	s_delay_alu instid0(VALU_DEP_1) | instskip(SKIP_3) | instid1(VALU_DEP_3)
	v_cndmask_b32_e32 v3, v3, v5, vcc_lo
	v_cmp_o_f32_e32 vcc_lo, v4, v4
	s_wait_loadcnt 0x0
	v_cvt_f32_i32_e32 v5, v22
	v_cndmask_b32_e32 v3, 0x7fc00000, v3, vcc_lo
	s_delay_alu instid0(VALU_DEP_1)
	v_mul_f32_e32 v6, v3, v5
.LBB27_28:
	s_or_b32 exec_lo, exec_lo, s7
                                        ; implicit-def: $vgpr3
                                        ; implicit-def: $vgpr4
.LBB27_29:
	s_and_not1_saveexec_b32 s5, s5
	s_cbranch_execz .LBB27_31
; %bb.30:
	v_cvt_f32_i32_e32 v4, v4
	s_cmp_neq_f32 s23, 1.0
	s_mov_b32 s2, 0x3e76c4e1
	s_delay_alu instid0(VALU_DEP_1) | instskip(SKIP_3) | instid1(VALU_DEP_1)
	v_dual_mul_f32 v4, 0.5, v4 :: v_dual_add_nc_u32 v3, s6, v3
	s_cselect_b32 vcc_lo, -1, 0
	global_load_b32 v22, v3, s[24:25] scale_offset
	v_cndmask_b32_e32 v5, 1.0, v4, vcc_lo
	v_cmp_neq_f32_e32 vcc_lo, 0, v5
	v_cndmask_b32_e64 v4, 1.0, s23, vcc_lo
	s_delay_alu instid0(VALU_DEP_1) | instskip(SKIP_2) | instid1(VALU_DEP_3)
	v_frexp_mant_f32_e64 v6, |v4|
	v_cmp_lt_f32_e64 s7, |v4|, 1.0
	v_cmp_eq_f32_e64 s4, 0, v4
	v_cmp_gt_f32_e32 vcc_lo, 0x3f2aaaab, v6
	v_cndmask_b32_e64 v7, 1.0, 2.0, vcc_lo
	s_delay_alu instid0(VALU_DEP_1) | instskip(NEXT) | instid1(VALU_DEP_1)
	v_mul_f32_e32 v6, v6, v7
	v_dual_add_f32 v9, 1.0, v6 :: v_dual_add_f32 v7, -1.0, v6
	v_cmp_neq_f32_e64 s6, v5, |v5|
	s_delay_alu instid0(VALU_DEP_2)
	v_rcp_f32_e32 v12, v9
	v_add_f32_e32 v10, -1.0, v9
	s_xor_b32 s6, s6, s7
	s_delay_alu instid0(TRANS32_DEP_1) | instid1(VALU_DEP_1)
	v_dual_sub_f32 v6, v6, v10 :: v_dual_mul_f32 v13, v7, v12
	s_delay_alu instid0(VALU_DEP_1) | instskip(NEXT) | instid1(VALU_DEP_1)
	v_mul_f32_e32 v8, v9, v13
	v_fma_f32 v10, v13, v9, -v8
	s_delay_alu instid0(VALU_DEP_1) | instskip(NEXT) | instid1(VALU_DEP_1)
	v_fmac_f32_e32 v10, v13, v6
	v_add_f32_e32 v6, v8, v10
	s_delay_alu instid0(VALU_DEP_1) | instskip(NEXT) | instid1(VALU_DEP_1)
	v_dual_sub_f32 v9, v7, v6 :: v_dual_mov_b32 v11, v6
	v_pk_add_f32 v[6:7], v[6:7], v[8:9] neg_lo:[0,1] neg_hi:[0,1]
	s_delay_alu instid0(VALU_DEP_1) | instskip(NEXT) | instid1(VALU_DEP_1)
	v_pk_add_f32 v[6:7], v[6:7], v[10:11] neg_lo:[0,1] neg_hi:[0,1]
	v_add_f32_e32 v6, v6, v7
	s_delay_alu instid0(VALU_DEP_1) | instskip(NEXT) | instid1(VALU_DEP_1)
	v_add_f32_e32 v6, v9, v6
	v_mul_f32_e32 v7, v12, v6
	s_delay_alu instid0(VALU_DEP_1) | instskip(NEXT) | instid1(VALU_DEP_1)
	v_add_f32_e32 v6, v13, v7
	v_sub_f32_e32 v8, v6, v13
	s_delay_alu instid0(VALU_DEP_1) | instskip(NEXT) | instid1(VALU_DEP_1)
	v_sub_f32_e32 v18, v7, v8
	v_add_f32_e32 v8, v18, v18
	v_mul_f32_e32 v9, v6, v6
	s_delay_alu instid0(VALU_DEP_1) | instskip(NEXT) | instid1(VALU_DEP_1)
	v_fma_f32 v7, v6, v6, -v9
	v_fmac_f32_e32 v7, v6, v8
	s_delay_alu instid0(VALU_DEP_1) | instskip(NEXT) | instid1(VALU_DEP_1)
	v_add_f32_e32 v8, v9, v7
	v_dual_fmaak_f32 v10, s2, v8, 0x3e91f4c4 :: v_dual_sub_f32 v9, v8, v9
	s_delay_alu instid0(VALU_DEP_1) | instskip(SKIP_1) | instid1(VALU_DEP_2)
	v_fmaak_f32 v12, v8, v10, 0x3ecccdef
	v_cvt_f64_f32_e64 v[10:11], |v4|
	v_dual_sub_f32 v16, v7, v9 :: v_dual_mul_f32 v13, v8, v12
	s_delay_alu instid0(VALU_DEP_1) | instskip(NEXT) | instid1(VALU_DEP_1)
	v_fma_f32 v7, v8, v12, -v13
	v_fmac_f32_e32 v7, v16, v12
	s_wait_xcnt 0x0
	s_delay_alu instid0(VALU_DEP_1) | instskip(NEXT) | instid1(VALU_DEP_1)
	v_add_f32_e32 v3, v13, v7
	v_sub_f32_e32 v9, v3, v13
	v_add_f32_e32 v13, 0x3f2aaaaa, v3
	s_delay_alu instid0(VALU_DEP_2) | instskip(NEXT) | instid1(VALU_DEP_2)
	v_sub_f32_e32 v7, v7, v9
	v_add_f32_e32 v9, 0xbf2aaaaa, v13
	v_frexp_exp_i32_f64_e32 v17, v[10:11]
	s_delay_alu instid0(VALU_DEP_3) | instskip(NEXT) | instid1(VALU_DEP_3)
	v_add_f32_e32 v7, 0x31739010, v7
	v_sub_f32_e32 v9, v3, v9
	s_delay_alu instid0(VALU_DEP_1) | instskip(SKIP_1) | instid1(VALU_DEP_2)
	v_pk_mul_f32 v[10:11], v[6:7], v[8:9]
	v_pk_add_f32 v[14:15], v[6:7], v[8:9]
	v_fma_f32 v12, v8, v6, -v10
	s_delay_alu instid0(VALU_DEP_1) | instskip(NEXT) | instid1(VALU_DEP_1)
	v_dual_fmac_f32 v12, v8, v18 :: v_dual_mov_b32 v11, v15
	v_fmac_f32_e32 v12, v16, v6
	s_delay_alu instid0(VALU_DEP_1) | instskip(SKIP_1) | instid1(VALU_DEP_2)
	v_pk_add_f32 v[8:9], v[10:11], v[12:13]
	v_subrev_co_ci_u32_e64 v3, null, 0, v17, vcc_lo
	v_mov_b32_e32 v14, v9
	s_delay_alu instid0(VALU_DEP_3) | instskip(NEXT) | instid1(VALU_DEP_3)
	v_dual_sub_f32 v7, v13, v9 :: v_dual_sub_f32 v11, v8, v10
	v_cvt_f32_i32_e32 v3, v3
	s_delay_alu instid0(VALU_DEP_3) | instskip(NEXT) | instid1(VALU_DEP_3)
	v_pk_mul_f32 v[16:17], v[8:9], v[14:15]
	v_add_f32_e32 v7, v15, v7
	s_delay_alu instid0(VALU_DEP_4) | instskip(NEXT) | instid1(VALU_DEP_3)
	v_sub_f32_e32 v11, v12, v11
	v_fma_f32 v10, v8, v9, -v16
	s_delay_alu instid0(VALU_DEP_1) | instskip(NEXT) | instid1(VALU_DEP_1)
	v_fmac_f32_e32 v10, v8, v7
	v_fmac_f32_e32 v10, v11, v9
	v_mul_f32_e32 v14, 0x3f317218, v3
	v_ldexp_f32 v9, v6, 1
	s_delay_alu instid0(VALU_DEP_3) | instskip(NEXT) | instid1(VALU_DEP_3)
	v_add_f32_e32 v15, v16, v10
	v_fma_f32 v7, 0x3f317218, v3, -v14
	s_delay_alu instid0(VALU_DEP_2) | instskip(NEXT) | instid1(VALU_DEP_2)
	v_dual_mov_b32 v17, v9 :: v_dual_mov_b32 v12, v15
	v_fmamk_f32 v8, v3, 0xb102e308, v7
	v_ldexp_f32 v3, v18, 1
	v_mov_b32_e32 v11, v15
	s_delay_alu instid0(VALU_DEP_3) | instskip(NEXT) | instid1(VALU_DEP_1)
	v_pk_add_f32 v[6:7], v[14:15], v[8:9]
	v_dual_mov_b32 v13, v7 :: v_dual_mov_b32 v9, v6
	v_mov_b32_e32 v20, v7
	s_delay_alu instid0(VALU_DEP_2) | instskip(NEXT) | instid1(VALU_DEP_1)
	v_pk_add_f32 v[12:13], v[12:13], v[16:17] neg_lo:[0,1] neg_hi:[0,1]
	v_pk_add_f32 v[10:11], v[10:11], v[12:13] neg_lo:[0,1] neg_hi:[0,1]
	s_delay_alu instid0(VALU_DEP_1) | instskip(NEXT) | instid1(VALU_DEP_1)
	v_add_f32_e32 v3, v3, v10
	v_add_f32_e32 v15, v3, v11
	s_delay_alu instid0(VALU_DEP_1) | instskip(SKIP_1) | instid1(VALU_DEP_2)
	v_pk_add_f32 v[10:11], v[6:7], v[14:15]
	v_pk_add_f32 v[12:13], v[6:7], v[14:15] neg_lo:[0,1] neg_hi:[0,1]
	v_mov_b32_e32 v13, v11
	s_delay_alu instid0(VALU_DEP_1) | instskip(SKIP_2) | instid1(VALU_DEP_3)
	v_pk_add_f32 v[16:17], v[8:9], v[12:13]
	v_mov_b32_e32 v16, v11
	v_pk_add_f32 v[8:9], v[8:9], v[12:13] neg_lo:[0,1] neg_hi:[0,1]
	v_mov_b32_e32 v14, v17
	s_delay_alu instid0(VALU_DEP_1) | instskip(NEXT) | instid1(VALU_DEP_1)
	v_pk_add_f32 v[18:19], v[14:15], v[6:7] neg_lo:[0,1] neg_hi:[0,1]
	v_dual_mov_b32 v7, v6 :: v_dual_mov_b32 v21, v18
	v_dual_mov_b32 v6, v15 :: v_dual_mov_b32 v3, v18
	s_delay_alu instid0(VALU_DEP_2) | instskip(NEXT) | instid1(VALU_DEP_2)
	v_pk_add_f32 v[12:13], v[16:17], v[20:21] neg_lo:[0,1] neg_hi:[0,1]
	v_pk_add_f32 v[10:11], v[10:11], v[2:3] neg_lo:[0,1] neg_hi:[0,1]
	v_mov_b32_e32 v10, v8
	s_delay_alu instid0(VALU_DEP_3) | instskip(NEXT) | instid1(VALU_DEP_1)
	v_pk_add_f32 v[6:7], v[6:7], v[12:13] neg_lo:[0,1] neg_hi:[0,1]
	v_pk_add_f32 v[10:11], v[10:11], v[6:7]
	s_delay_alu instid0(VALU_DEP_1) | instskip(NEXT) | instid1(VALU_DEP_1)
	v_mov_b32_e32 v12, v11
	v_pk_add_f32 v[12:13], v[10:11], v[12:13]
	s_delay_alu instid0(VALU_DEP_1) | instskip(NEXT) | instid1(VALU_DEP_1)
	v_pk_add_f32 v[14:15], v[14:15], v[12:13]
	v_dual_mov_b32 v9, v17 :: v_dual_mov_b32 v11, v14
	s_delay_alu instid0(VALU_DEP_1) | instskip(NEXT) | instid1(VALU_DEP_1)
	v_pk_add_f32 v[16:17], v[10:11], v[8:9] neg_lo:[0,1] neg_hi:[0,1]
	v_dual_mov_b32 v7, v12 :: v_dual_sub_f32 v3, v10, v16
	s_delay_alu instid0(VALU_DEP_1) | instskip(NEXT) | instid1(VALU_DEP_2)
	v_pk_add_f32 v[6:7], v[6:7], v[16:17] neg_lo:[0,1] neg_hi:[0,1]
	v_sub_f32_e32 v3, v8, v3
	s_delay_alu instid0(VALU_DEP_1) | instskip(NEXT) | instid1(VALU_DEP_1)
	v_add_f32_e32 v3, v6, v3
	v_add_f32_e32 v3, v3, v7
	s_delay_alu instid0(VALU_DEP_1) | instskip(NEXT) | instid1(VALU_DEP_1)
	v_add_f32_e32 v6, v14, v3
	v_sub_f32_e32 v7, v6, v14
	v_mul_f32_e32 v8, v5, v6
	s_delay_alu instid0(VALU_DEP_1) | instskip(SKIP_1) | instid1(VALU_DEP_2)
	v_dual_fma_f32 v6, v5, v6, -v8 :: v_dual_sub_f32 v3, v3, v7
	v_cmp_class_f32_e64 vcc_lo, v8, 0x204
	v_fmac_f32_e32 v6, v5, v3
	s_delay_alu instid0(VALU_DEP_1) | instskip(NEXT) | instid1(VALU_DEP_1)
	v_add_f32_e32 v3, v8, v6
	v_cndmask_b32_e32 v7, v3, v8, vcc_lo
	s_delay_alu instid0(VALU_DEP_1) | instskip(SKIP_2) | instid1(VALU_DEP_2)
	v_cmp_eq_f32_e32 vcc_lo, 0x42b17218, v7
	v_cndmask_b32_e64 v9, 0, 0x37000000, vcc_lo
	v_cmp_neq_f32_e64 vcc_lo, 0x7f800000, |v7|
	v_sub_f32_e32 v10, v7, v9
	v_trunc_f32_e32 v7, v5
	s_delay_alu instid0(VALU_DEP_2) | instskip(NEXT) | instid1(VALU_DEP_1)
	v_mul_f32_e32 v11, 0x3fb8aa3b, v10
	v_fma_f32 v12, 0x3fb8aa3b, v10, -v11
	v_rndne_f32_e32 v13, v11
	s_delay_alu instid0(VALU_DEP_1) | instskip(SKIP_1) | instid1(VALU_DEP_1)
	v_dual_fmamk_f32 v12, v10, 0x32a5705f, v12 :: v_dual_sub_f32 v11, v11, v13
	v_sub_f32_e32 v3, v3, v8
	v_dual_add_f32 v11, v11, v12 :: v_dual_sub_f32 v3, v6, v3
	s_delay_alu instid0(VALU_DEP_1) | instskip(SKIP_2) | instid1(VALU_DEP_3)
	v_exp_f32_e32 v8, v11
	v_nop
	v_cvt_i32_f32_e32 v11, v13
	v_cndmask_b32_e32 v3, 0, v3, vcc_lo
	v_cmp_ngt_f32_e32 vcc_lo, 0xc2ce8ed0, v10
	s_delay_alu instid0(TRANS32_DEP_1) | instid1(VALU_DEP_3)
	v_ldexp_f32 v6, v8, v11
	s_delay_alu instid0(VALU_DEP_1) | instskip(NEXT) | instid1(VALU_DEP_1)
	v_dual_mul_f32 v8, 0.5, v5 :: v_dual_cndmask_b32 v6, 0, v6, vcc_lo
	v_trunc_f32_e32 v11, v8
	v_cmp_nlt_f32_e32 vcc_lo, 0x42b17218, v10
	s_delay_alu instid0(VALU_DEP_2) | instskip(NEXT) | instid1(VALU_DEP_4)
	v_cmp_neq_f32_e64 s2, v11, v8
	v_cndmask_b32_e32 v6, 0x7f800000, v6, vcc_lo
	v_cmp_eq_f32_e32 vcc_lo, v7, v5
	s_delay_alu instid0(VALU_DEP_2) | instskip(SKIP_1) | instid1(SALU_CYCLE_1)
	v_cmp_class_f32_e64 s3, v6, 0x204
	s_and_b32 s2, vcc_lo, s2
	v_dual_cndmask_b32 v7, 1.0, v4, s2 :: v_dual_add_f32 v3, v9, v3
	s_delay_alu instid0(VALU_DEP_1) | instskip(NEXT) | instid1(VALU_DEP_1)
	v_fma_f32 v3, v6, v3, v6
	v_cndmask_b32_e64 v3, v3, v6, s3
	v_cndmask_b32_e64 v6, 0x7f800000, 0, s6
	v_cmp_gt_f32_e64 s3, 0, v5
	s_delay_alu instid0(VALU_DEP_3) | instskip(SKIP_1) | instid1(SALU_CYCLE_1)
	v_bfi_b32 v3, 0x7fffffff, v3, v7
	s_xor_b32 s3, s3, s4
	v_cndmask_b32_e64 v8, 0x7f800000, 0, s3
	s_delay_alu instid0(VALU_DEP_2) | instskip(SKIP_3) | instid1(VALU_DEP_3)
	v_cndmask_b32_e32 v7, 0x7fc00000, v3, vcc_lo
	v_cmp_neq_f32_e64 vcc_lo, |v4|, 1.0
	v_cndmask_b32_e32 v6, 1.0, v6, vcc_lo
	v_cmp_gt_f32_e32 vcc_lo, 0, v4
	v_dual_cndmask_b32 v3, v3, v7, vcc_lo :: v_dual_cndmask_b32 v7, 0, v4, s2
	v_cmp_class_f32_e64 vcc_lo, v5, 0x204
	v_cmp_class_f32_e64 s2, v4, 0x204
	s_delay_alu instid0(VALU_DEP_3) | instskip(NEXT) | instid1(VALU_DEP_4)
	v_bfi_b32 v5, 0x7fffffff, v8, v7
	v_cndmask_b32_e32 v3, v3, v6, vcc_lo
	s_or_b32 vcc_lo, s4, s2
	s_delay_alu instid0(VALU_DEP_1) | instskip(SKIP_3) | instid1(VALU_DEP_3)
	v_cndmask_b32_e32 v3, v3, v5, vcc_lo
	v_cmp_o_f32_e32 vcc_lo, v4, v4
	s_wait_loadcnt 0x0
	v_cvt_f32_i32_e32 v5, v22
	v_cndmask_b32_e32 v3, 0x7fc00000, v3, vcc_lo
	s_delay_alu instid0(VALU_DEP_1)
	v_mul_f32_e32 v6, v3, v5
.LBB27_31:
	s_or_b32 exec_lo, exec_lo, s5
.LBB27_32:
	s_load_b64 s[0:1], s[0:1], 0x58
	s_cmp_eq_f32 s9, 0
	s_wait_kmcnt 0x0
	global_load_b32 v3, v1, s[0:1] scale_offset
	s_wait_loadcnt 0x0
	v_div_scale_f32 v4, null, v3, v3, v6
	v_div_scale_f32 v8, vcc_lo, v6, v3, v6
	s_delay_alu instid0(VALU_DEP_2) | instskip(SKIP_1) | instid1(TRANS32_DEP_1)
	v_rcp_f32_e32 v5, v4
	v_nop
	v_fma_f32 v7, -v4, v5, 1.0
	s_delay_alu instid0(VALU_DEP_1) | instskip(NEXT) | instid1(VALU_DEP_1)
	v_fmac_f32_e32 v5, v7, v5
	v_mul_f32_e32 v7, v8, v5
	s_delay_alu instid0(VALU_DEP_1) | instskip(NEXT) | instid1(VALU_DEP_1)
	v_fma_f32 v9, -v4, v7, v8
	v_fmac_f32_e32 v7, v9, v5
	s_delay_alu instid0(VALU_DEP_1) | instskip(NEXT) | instid1(VALU_DEP_1)
	v_fma_f32 v4, -v4, v7, v8
	v_div_fmas_f32 v4, v4, v5, v7
	s_delay_alu instid0(VALU_DEP_1) | instskip(NEXT) | instid1(VALU_DEP_1)
	v_div_fixup_f32 v4, v4, v3, v6
	v_mul_f32_e32 v5, s8, v4
	s_cbranch_scc1 .LBB27_34
; %bb.33:
	s_wait_xcnt 0x0
	v_cvt_f32_i32_e32 v1, v1
	s_sub_f32 s0, s22, s11
	v_div_scale_f32 v6, null, s8, s8, 1.0
	s_delay_alu instid0(SALU_CYCLE_2) | instskip(SKIP_4) | instid1(VALU_DEP_3)
	s_max_num_f32 s1, s0, 0x3a83126f
	v_subrev_f32_e32 v1, s11, v1
	v_rcp_f32_e32 v8, v6
	v_nop
	v_xor_b32_e32 v6, 0x80000000, v6
	v_div_scale_f32 v3, null, s1, s1, v1
	s_delay_alu instid0(TRANS32_DEP_1) | instid1(VALU_DEP_2)
	v_fma_f32 v10, v6, v8, 1.0
	s_delay_alu instid0(VALU_DEP_2) | instskip(SKIP_1) | instid1(TRANS32_DEP_1)
	v_rcp_f32_e32 v7, v3
	v_nop
	v_fma_f32 v9, -v3, v7, 1.0
	s_delay_alu instid0(VALU_DEP_1) | instskip(SKIP_2) | instid1(VALU_DEP_2)
	v_fmac_f32_e32 v7, v9, v7
	v_div_scale_f32 v11, vcc_lo, v1, s1, v1
	v_div_scale_f32 v9, s0, 1.0, s8, 1.0
	v_dual_fmac_f32 v8, v10, v8 :: v_dual_mul_f32 v10, v11, v7
	s_delay_alu instid0(VALU_DEP_1) | instskip(NEXT) | instid1(VALU_DEP_1)
	v_dual_mul_f32 v12, v9, v8 :: v_dual_fma_f32 v13, -v3, v10, v11
	v_dual_fma_f32 v14, v6, v12, v9 :: v_dual_fmac_f32 v10, v13, v7
	s_delay_alu instid0(VALU_DEP_1) | instskip(NEXT) | instid1(VALU_DEP_1)
	v_dual_fmac_f32 v12, v14, v8 :: v_dual_fma_f32 v3, -v3, v10, v11
	v_fmac_f32_e32 v9, v6, v12
	s_delay_alu instid0(VALU_DEP_2) | instskip(SKIP_1) | instid1(VALU_DEP_2)
	v_div_fmas_f32 v3, v3, v7, v10
	s_mov_b32 vcc_lo, s0
	v_div_fmas_f32 v6, v9, v8, v12
	s_delay_alu instid0(VALU_DEP_2) | instskip(NEXT) | instid1(VALU_DEP_2)
	v_div_fixup_f32 v1, v3, s1, v1 clamp
	v_div_fixup_f32 v6, v6, s8, 1.0
	s_delay_alu instid0(VALU_DEP_1) | instskip(SKIP_2) | instid1(SALU_CYCLE_1)
	v_readfirstlane_b32 s0, v6
	s_cmp_lt_f32 s0, 0x800000
	s_cselect_b32 s0, 0x4f800000, 1.0
	v_mul_f32_e32 v6, s0, v6
	s_cselect_b32 s0, 0x41b17218, 0
	s_delay_alu instid0(VALU_DEP_1) | instskip(SKIP_1) | instid1(TRANS32_DEP_1)
	v_log_f32_e32 v6, v6
	v_nop
	v_and_b32_e32 v3, 0x7fffffff, v6
	s_delay_alu instid0(VALU_DEP_1) | instskip(SKIP_2) | instid1(VALU_DEP_1)
	v_cmp_gt_f32_e32 vcc_lo, 0x7f800000, v3
	v_sub_f32_e32 v1, 1.0, v1
	v_mul_f32_e32 v7, 0x3f317217, v6
	v_xor_b32_e32 v7, 0x80000000, v7
	s_delay_alu instid0(VALU_DEP_1) | instskip(NEXT) | instid1(VALU_DEP_1)
	v_fmac_f32_e32 v7, 0x3f317217, v6
	v_fmamk_f32 v7, v6, 0x3377d1cf, v7
	s_delay_alu instid0(VALU_DEP_1) | instskip(NEXT) | instid1(VALU_DEP_1)
	v_fmac_f32_e32 v7, 0x3f317217, v6
	v_dual_cndmask_b32 v3, v6, v7 :: v_dual_mul_f32 v6, s9, v1
	v_fma_f32 v7, -s9, v1, 1.0
	s_delay_alu instid0(VALU_DEP_2) | instskip(NEXT) | instid1(VALU_DEP_2)
	v_dual_mov_b32 v1, 1.0 :: v_dual_subrev_f32 v3, s0, v3
	v_pk_mul_f32 v[4:5], v[6:7], v[4:5]
	s_delay_alu instid0(VALU_DEP_2) | instskip(NEXT) | instid1(VALU_DEP_2)
	v_fmamk_f32 v1, v3, 0x3dcccccd, v1
	v_add_f32_e32 v5, v4, v5
	s_delay_alu instid0(VALU_DEP_2)
	v_mul_f32_e32 v6, s10, v1
	s_branch .LBB27_35
.LBB27_34:
	v_mov_b32_e32 v6, s10
.LBB27_35:
	s_wait_xcnt 0x0
	s_delay_alu instid0(VALU_DEP_2) | instskip(SKIP_1) | instid1(VALU_DEP_2)
	v_and_b32_e32 v1, 0x7fffffff, v5
	v_cmp_ngt_f32_e64 s2, 0x48000000, |v5|
                                        ; implicit-def: $vgpr7
                                        ; implicit-def: $vgpr4
	v_lshrrev_b32_e32 v3, 23, v1
	s_and_saveexec_b32 s0, s2
	s_delay_alu instid0(SALU_CYCLE_1)
	s_xor_b32 s3, exec_lo, s0
	s_cbranch_execz .LBB27_37
; %bb.36:
	s_mov_b32 s0, 0x7fffff
	v_mov_b32_e32 v9, 0
	v_and_or_b32 v8, v1, s0, 0x800000
	s_mov_b64 s[0:1], 0xfe5163ab
	s_delay_alu instid0(VALU_DEP_1) | instid1(SALU_CYCLE_1)
	v_mul_u64_e32 v[10:11], s[0:1], v[8:9]
	s_delay_alu instid0(VALU_DEP_1) | instskip(SKIP_2) | instid1(VALU_DEP_3)
	v_dual_mov_b32 v12, v11 :: v_dual_mov_b32 v13, v9
	v_dual_mov_b32 v15, v9 :: v_dual_mov_b32 v17, v9
	;; [unrolled: 1-line block ×3, first 2 shown]
	v_mad_nc_u64_u32 v[12:13], 0x3c439041, v8, v[12:13]
	s_delay_alu instid0(VALU_DEP_1) | instskip(NEXT) | instid1(VALU_DEP_1)
	v_dual_mov_b32 v23, v9 :: v_dual_mov_b32 v14, v13
	v_mad_nc_u64_u32 v[14:15], 0xdb629599, v8, v[14:15]
	s_delay_alu instid0(VALU_DEP_1) | instskip(NEXT) | instid1(VALU_DEP_1)
	v_mov_b32_e32 v16, v15
	v_mad_nc_u64_u32 v[16:17], 0xf534ddc0, v8, v[16:17]
	s_delay_alu instid0(VALU_DEP_1) | instskip(NEXT) | instid1(VALU_DEP_1)
	v_mov_b32_e32 v18, v17
	;; [unrolled: 3-line block ×3, first 2 shown]
	v_mad_nc_u64_u32 v[20:21], 0x4e441529, v8, v[20:21]
	v_add_nc_u32_e32 v4, 0xffffff88, v3
	s_delay_alu instid0(VALU_DEP_1) | instskip(SKIP_1) | instid1(VALU_DEP_4)
	v_cmp_lt_u32_e32 vcc_lo, 63, v4
	v_cndmask_b32_e64 v7, 0, 0xffffffc0, vcc_lo
	v_dual_cndmask_b32 v11, v20, v16 :: v_dual_mov_b32 v22, v21
	s_delay_alu instid0(VALU_DEP_2) | instskip(NEXT) | instid1(VALU_DEP_2)
	v_dual_cndmask_b32 v13, v18, v14 :: v_dual_add_nc_u32 v4, v7, v4
	v_mad_nc_u64_u32 v[8:9], 0xa2f9836e, v8, v[22:23]
	s_delay_alu instid0(VALU_DEP_2) | instskip(NEXT) | instid1(VALU_DEP_1)
	v_cmp_lt_u32_e64 s0, 31, v4
	v_cndmask_b32_e64 v7, 0, 0xffffffe0, s0
	s_delay_alu instid0(VALU_DEP_3) | instskip(NEXT) | instid1(VALU_DEP_2)
	v_dual_cndmask_b32 v8, v8, v18 :: v_dual_cndmask_b32 v9, v9, v20
	v_add_nc_u32_e32 v4, v7, v4
	s_delay_alu instid0(VALU_DEP_1) | instskip(NEXT) | instid1(VALU_DEP_1)
	v_cmp_lt_u32_e64 s1, 31, v4
	v_cndmask_b32_e64 v7, 0, 0xffffffe0, s1
	s_delay_alu instid0(VALU_DEP_1) | instskip(SKIP_2) | instid1(VALU_DEP_3)
	v_add_nc_u32_e32 v4, v7, v4
	v_cndmask_b32_e32 v7, v16, v12, vcc_lo
	v_dual_cndmask_b32 v12, v8, v11, s0 :: v_dual_cndmask_b32 v8, v9, v8, s0
	v_dual_cndmask_b32 v9, v11, v13, s0 :: v_dual_sub_nc_u32 v11, 32, v4
	s_delay_alu instid0(VALU_DEP_2) | instskip(NEXT) | instid1(VALU_DEP_2)
	v_dual_cndmask_b32 v13, v13, v7, s0 :: v_dual_cndmask_b32 v8, v8, v12, s1
	v_cndmask_b32_e64 v12, v12, v9, s1
	s_delay_alu instid0(VALU_DEP_2) | instskip(NEXT) | instid1(VALU_DEP_2)
	v_cndmask_b32_e64 v9, v9, v13, s1
	v_alignbit_b32 v15, v8, v12, v11
	v_cndmask_b32_e32 v10, v14, v10, vcc_lo
	v_cmp_eq_u32_e32 vcc_lo, 0, v4
	s_delay_alu instid0(VALU_DEP_4) | instskip(NEXT) | instid1(VALU_DEP_4)
	v_alignbit_b32 v14, v12, v9, v11
	v_cndmask_b32_e32 v4, v15, v8, vcc_lo
	s_delay_alu instid0(VALU_DEP_2) | instskip(NEXT) | instid1(VALU_DEP_2)
	v_dual_cndmask_b32 v7, v7, v10, s0 :: v_dual_cndmask_b32 v8, v14, v12, vcc_lo
	v_bfe_u32 v10, v4, 29, 1
	s_delay_alu instid0(VALU_DEP_2) | instskip(NEXT) | instid1(VALU_DEP_3)
	v_cndmask_b32_e64 v7, v13, v7, s1
	v_alignbit_b32 v12, v4, v8, 30
	s_delay_alu instid0(VALU_DEP_3) | instskip(NEXT) | instid1(VALU_DEP_3)
	v_sub_nc_u32_e32 v13, 0, v10
	v_alignbit_b32 v11, v9, v7, v11
	s_delay_alu instid0(VALU_DEP_2) | instskip(NEXT) | instid1(VALU_DEP_2)
	v_xor_b32_e32 v12, v12, v13
	v_cndmask_b32_e32 v9, v11, v9, vcc_lo
	s_delay_alu instid0(VALU_DEP_2) | instskip(NEXT) | instid1(VALU_DEP_2)
	v_clz_i32_u32_e32 v11, v12
	v_alignbit_b32 v8, v8, v9, 30
	v_alignbit_b32 v7, v9, v7, 30
	s_delay_alu instid0(VALU_DEP_3) | instskip(NEXT) | instid1(VALU_DEP_3)
	v_min_u32_e32 v11, 32, v11
	v_xor_b32_e32 v8, v8, v13
	s_delay_alu instid0(VALU_DEP_3) | instskip(NEXT) | instid1(VALU_DEP_3)
	v_dual_lshrrev_b32 v13, 29, v4 :: v_dual_bitop2_b32 v7, v7, v13 bitop3:0x14
	v_dual_sub_nc_u32 v9, 31, v11 :: v_dual_lshlrev_b32 v14, 23, v11
	s_delay_alu instid0(VALU_DEP_1) | instskip(NEXT) | instid1(VALU_DEP_3)
	v_alignbit_b32 v12, v12, v8, v9
	v_alignbit_b32 v7, v8, v7, v9
	s_delay_alu instid0(VALU_DEP_4) | instskip(NEXT) | instid1(VALU_DEP_2)
	v_lshlrev_b32_e32 v8, 31, v13
	v_alignbit_b32 v9, v12, v7, 9
	s_delay_alu instid0(VALU_DEP_2) | instskip(SKIP_2) | instid1(VALU_DEP_4)
	v_or_b32_e32 v13, 0.5, v8
	v_lshrrev_b32_e32 v12, 9, v12
	v_or_b32_e32 v8, 0x33000000, v8
	v_clz_i32_u32_e32 v15, v9
	s_delay_alu instid0(VALU_DEP_4) | instskip(NEXT) | instid1(VALU_DEP_2)
	v_sub_nc_u32_e32 v13, v13, v14
	v_min_u32_e32 v14, 32, v15
	s_delay_alu instid0(VALU_DEP_2) | instskip(NEXT) | instid1(VALU_DEP_2)
	v_or_b32_e32 v12, v12, v13
	v_not_b32_e32 v13, v14
	v_add_lshl_u32 v11, v14, v11, 23
	s_delay_alu instid0(VALU_DEP_2) | instskip(NEXT) | instid1(VALU_DEP_2)
	v_alignbit_b32 v7, v9, v7, v13
	v_sub_nc_u32_e32 v8, v8, v11
	s_delay_alu instid0(VALU_DEP_2) | instskip(SKIP_1) | instid1(VALU_DEP_2)
	v_lshrrev_b32_e32 v7, 9, v7
	v_mul_f32_e32 v15, 0x3fc90fda, v12
	v_or_b32_e32 v7, v8, v7
	s_delay_alu instid0(VALU_DEP_2) | instskip(NEXT) | instid1(VALU_DEP_1)
	v_fma_f32 v9, 0x3fc90fda, v12, -v15
	v_fmamk_f32 v9, v12, 0x33a22168, v9
	s_delay_alu instid0(VALU_DEP_1) | instskip(NEXT) | instid1(VALU_DEP_1)
	v_fmac_f32_e32 v9, 0x3fc90fda, v7
	v_dual_add_f32 v4, v15, v9 :: v_dual_lshrrev_b32 v7, 30, v4
	s_delay_alu instid0(VALU_DEP_1)
	v_add_nc_u32_e32 v7, v10, v7
	s_or_saveexec_b32 s0, s3
	v_mul_f32_e64 v10, 0x3f22f983, |v5|
	s_xor_b32 exec_lo, exec_lo, s0
	s_branch .LBB27_38
.LBB27_37:
	s_or_saveexec_b32 s0, s3
	v_mul_f32_e64 v10, 0x3f22f983, |v5|
	s_xor_b32 exec_lo, exec_lo, s0
.LBB27_38:
	s_delay_alu instid0(VALU_DEP_1) | instskip(NEXT) | instid1(VALU_DEP_1)
	v_rndne_f32_e32 v7, v10
	v_fma_f32 v4, 0xbfc90fda, v7, |v5|
	s_delay_alu instid0(VALU_DEP_1) | instskip(NEXT) | instid1(VALU_DEP_1)
	v_fmamk_f32 v4, v7, 0xb3a22168, v4
	v_fmamk_f32 v4, v7, 0xa7c234c4, v4
	v_cvt_i32_f32_e32 v7, v7
; %bb.39:
	s_or_b32 exec_lo, exec_lo, s0
                                        ; implicit-def: $vgpr9
                                        ; implicit-def: $vgpr8
	s_and_saveexec_b32 s0, s2
	s_delay_alu instid0(SALU_CYCLE_1)
	s_xor_b32 s2, exec_lo, s0
	s_cbranch_execz .LBB27_41
; %bb.40:
	s_mov_b32 s0, 0x7fffff
	v_mov_b32_e32 v9, 0
	v_and_or_b32 v8, v1, s0, 0x800000
	s_mov_b64 s[0:1], 0xfe5163ab
	v_add_nc_u32_e32 v3, 0xffffff88, v3
	s_delay_alu instid0(VALU_DEP_2) | instskip(NEXT) | instid1(VALU_DEP_2)
	v_mul_u64_e32 v[10:11], s[0:1], v[8:9]
	v_cmp_lt_u32_e32 vcc_lo, 63, v3
	s_delay_alu instid0(VALU_DEP_2) | instskip(SKIP_2) | instid1(VALU_DEP_3)
	v_dual_mov_b32 v12, v11 :: v_dual_mov_b32 v13, v9
	v_dual_mov_b32 v15, v9 :: v_dual_mov_b32 v17, v9
	;; [unrolled: 1-line block ×3, first 2 shown]
	v_mad_nc_u64_u32 v[12:13], 0x3c439041, v8, v[12:13]
	v_cndmask_b32_e64 v11, 0, 0xffffffc0, vcc_lo
	s_delay_alu instid0(VALU_DEP_1) | instskip(NEXT) | instid1(VALU_DEP_3)
	v_dual_mov_b32 v23, v9 :: v_dual_add_nc_u32 v3, v11, v3
	v_mov_b32_e32 v14, v13
	s_delay_alu instid0(VALU_DEP_2) | instskip(NEXT) | instid1(VALU_DEP_2)
	v_cmp_lt_u32_e64 s0, 31, v3
	v_mad_nc_u64_u32 v[14:15], 0xdb629599, v8, v[14:15]
	s_delay_alu instid0(VALU_DEP_2) | instskip(NEXT) | instid1(VALU_DEP_1)
	v_cndmask_b32_e64 v11, 0, 0xffffffe0, s0
	v_add_nc_u32_e32 v3, v11, v3
	s_delay_alu instid0(VALU_DEP_3) | instskip(NEXT) | instid1(VALU_DEP_2)
	v_mov_b32_e32 v16, v15
	v_cmp_lt_u32_e64 s1, 31, v3
	v_cndmask_b32_e32 v10, v14, v10, vcc_lo
	s_delay_alu instid0(VALU_DEP_3) | instskip(NEXT) | instid1(VALU_DEP_3)
	v_mad_nc_u64_u32 v[16:17], 0xf534ddc0, v8, v[16:17]
	v_cndmask_b32_e64 v11, 0, 0xffffffe0, s1
	s_delay_alu instid0(VALU_DEP_1) | instskip(NEXT) | instid1(VALU_DEP_3)
	v_dual_add_nc_u32 v3, v11, v3 :: v_dual_cndmask_b32 v11, v16, v12, vcc_lo
	v_mov_b32_e32 v18, v17
	s_delay_alu instid0(VALU_DEP_1) | instskip(NEXT) | instid1(VALU_DEP_1)
	v_mad_nc_u64_u32 v[18:19], 0xfc2757d1, v8, v[18:19]
	v_dual_mov_b32 v20, v19 :: v_dual_cndmask_b32 v15, v18, v14
	s_delay_alu instid0(VALU_DEP_1) | instskip(NEXT) | instid1(VALU_DEP_1)
	v_mad_nc_u64_u32 v[20:21], 0x4e441529, v8, v[20:21]
	v_dual_mov_b32 v22, v21 :: v_dual_cndmask_b32 v13, v20, v16
	s_delay_alu instid0(VALU_DEP_1) | instskip(NEXT) | instid1(VALU_DEP_1)
	v_mad_nc_u64_u32 v[8:9], 0xa2f9836e, v8, v[22:23]
	v_dual_cndmask_b32 v8, v8, v18 :: v_dual_cndmask_b32 v9, v9, v20
	v_cmp_eq_u32_e32 vcc_lo, 0, v3
	s_delay_alu instid0(VALU_DEP_2) | instskip(SKIP_2) | instid1(VALU_DEP_3)
	v_dual_cndmask_b32 v12, v8, v13, s0 :: v_dual_cndmask_b32 v8, v9, v8, s0
	v_cndmask_b32_e64 v9, v13, v15, s0
	v_sub_nc_u32_e32 v13, 32, v3
	v_dual_cndmask_b32 v15, v15, v11, s0 :: v_dual_cndmask_b32 v8, v8, v12, s1
	s_delay_alu instid0(VALU_DEP_3) | instskip(NEXT) | instid1(VALU_DEP_1)
	v_cndmask_b32_e64 v12, v12, v9, s1
	v_alignbit_b32 v16, v8, v12, v13
	s_delay_alu instid0(VALU_DEP_1) | instskip(NEXT) | instid1(VALU_DEP_1)
	v_dual_cndmask_b32 v9, v9, v15, s1 :: v_dual_cndmask_b32 v3, v16, v8, vcc_lo
	v_alignbit_b32 v14, v12, v9, v13
	v_cndmask_b32_e64 v8, v11, v10, s0
	s_delay_alu instid0(VALU_DEP_3) | instskip(NEXT) | instid1(VALU_DEP_3)
	v_bfe_u32 v11, v3, 29, 1
	v_cndmask_b32_e32 v10, v14, v12, vcc_lo
	s_delay_alu instid0(VALU_DEP_2) | instskip(NEXT) | instid1(VALU_DEP_2)
	v_dual_cndmask_b32 v8, v15, v8, s1 :: v_dual_sub_nc_u32 v14, 0, v11
	v_alignbit_b32 v12, v3, v10, 30
	s_delay_alu instid0(VALU_DEP_2) | instskip(NEXT) | instid1(VALU_DEP_1)
	v_alignbit_b32 v13, v9, v8, v13
	v_dual_cndmask_b32 v9, v13, v9, vcc_lo :: v_dual_bitop2_b32 v12, v12, v14 bitop3:0x14
	s_delay_alu instid0(VALU_DEP_1) | instskip(NEXT) | instid1(VALU_DEP_2)
	v_clz_i32_u32_e32 v13, v12
	v_alignbit_b32 v10, v10, v9, 30
	v_alignbit_b32 v8, v9, v8, 30
	s_delay_alu instid0(VALU_DEP_3) | instskip(NEXT) | instid1(VALU_DEP_3)
	v_min_u32_e32 v13, 32, v13
	v_xor_b32_e32 v9, v10, v14
	s_delay_alu instid0(VALU_DEP_3) | instskip(NEXT) | instid1(VALU_DEP_3)
	v_dual_lshrrev_b32 v14, 29, v3 :: v_dual_bitop2_b32 v8, v8, v14 bitop3:0x14
	v_dual_lshrrev_b32 v3, 30, v3 :: v_dual_sub_nc_u32 v10, 31, v13
	v_lshlrev_b32_e32 v15, 23, v13
	s_delay_alu instid0(VALU_DEP_2) | instskip(NEXT) | instid1(VALU_DEP_4)
	v_alignbit_b32 v12, v12, v9, v10
	v_alignbit_b32 v8, v9, v8, v10
	v_lshlrev_b32_e32 v9, 31, v14
	s_delay_alu instid0(VALU_DEP_2) | instskip(NEXT) | instid1(VALU_DEP_2)
	v_alignbit_b32 v10, v12, v8, 9
	v_dual_lshrrev_b32 v12, 9, v12 :: v_dual_bitop2_b32 v14, 0.5, v9 bitop3:0x54
	v_or_b32_e32 v9, 0x33000000, v9
	s_delay_alu instid0(VALU_DEP_3) | instskip(NEXT) | instid1(VALU_DEP_3)
	v_clz_i32_u32_e32 v16, v10
	v_sub_nc_u32_e32 v14, v14, v15
	s_delay_alu instid0(VALU_DEP_2) | instskip(NEXT) | instid1(VALU_DEP_1)
	v_min_u32_e32 v15, 32, v16
	v_add_lshl_u32 v13, v15, v13, 23
	s_delay_alu instid0(VALU_DEP_1) | instskip(SKIP_1) | instid1(VALU_DEP_1)
	v_dual_sub_nc_u32 v9, v9, v13 :: v_dual_bitop2_b32 v12, v12, v14 bitop3:0x54
	v_not_b32_e32 v14, v15
	v_alignbit_b32 v8, v10, v8, v14
	s_delay_alu instid0(VALU_DEP_1) | instskip(NEXT) | instid1(VALU_DEP_4)
	v_lshrrev_b32_e32 v8, 9, v8
	v_mul_f32_e32 v16, 0x3fc90fda, v12
	s_delay_alu instid0(VALU_DEP_2) | instskip(NEXT) | instid1(VALU_DEP_2)
	v_or_b32_e32 v8, v9, v8
	v_fma_f32 v10, 0x3fc90fda, v12, -v16
	s_delay_alu instid0(VALU_DEP_1) | instskip(NEXT) | instid1(VALU_DEP_1)
	v_dual_fmamk_f32 v10, v12, 0x33a22168, v10 :: v_dual_add_nc_u32 v9, v11, v3
	v_fmac_f32_e32 v10, 0x3fc90fda, v8
	s_delay_alu instid0(VALU_DEP_1)
	v_add_f32_e32 v8, v16, v10
                                        ; implicit-def: $vgpr10
	s_and_not1_saveexec_b32 s0, s2
	s_cbranch_execnz .LBB27_42
	s_branch .LBB27_43
.LBB27_41:
	s_and_not1_saveexec_b32 s0, s2
.LBB27_42:
	v_rndne_f32_e32 v3, v10
	s_delay_alu instid0(VALU_DEP_1) | instskip(SKIP_1) | instid1(VALU_DEP_2)
	v_fma_f32 v8, 0xbfc90fda, v3, |v5|
	v_cvt_i32_f32_e32 v9, v3
	v_fmamk_f32 v8, v3, 0xb3a22168, v8
	s_delay_alu instid0(VALU_DEP_1)
	v_fmamk_f32 v8, v3, 0xa7c234c4, v8
.LBB27_43:
	s_or_b32 exec_lo, exec_lo, s0
	v_ashrrev_i32_e32 v3, 31, v2
	s_lshr_b32 s0, s21, 31
	s_mov_b32 s2, 0xb94c1982
	s_add_co_i32 s0, s21, s0
	s_mov_b32 s3, 0x37d75334
	s_ashr_i32 s0, s0, 1
	v_lshl_add_u64 v[10:11], v[2:3], 2, s[12:13]
	s_ashr_i32 s1, s0, 31
	v_mul_f32_e32 v3, v8, v8
	s_lshl_b64 s[0:1], s[0:1], 2
	s_delay_alu instid0(VALU_DEP_2) | instid1(SALU_CYCLE_1)
	v_add_nc_u64_e32 v[10:11], s[0:1], v[10:11]
	s_clause 0x1
	global_load_b32 v12, v[10:11], off
	global_load_b32 v13, v2, s[12:13] scale_offset
	s_wait_xcnt 0x0
	v_dual_mul_f32 v2, v4, v4 :: v_dual_bitop2_b32 v10, 1, v7 bitop3:0x40
	v_fmaak_f32 v15, s2, v3, 0x3c0881c4
	v_lshlrev_b32_e32 v7, 30, v7
	v_fmaak_f32 v16, s3, v3, 0xbab64f3b
	s_delay_alu instid0(VALU_DEP_4) | instskip(SKIP_2) | instid1(VALU_DEP_1)
	v_fmaak_f32 v14, s3, v2, 0xbab64f3b
	v_cmp_eq_u32_e32 vcc_lo, 0, v10
	v_fmaak_f32 v15, v3, v15, 0xbe2aaa9d
	v_dual_fmaak_f32 v14, v2, v14, 0x3d2aabf7 :: v_dual_mul_f32 v15, v3, v15
	s_delay_alu instid0(VALU_DEP_1) | instskip(NEXT) | instid1(VALU_DEP_1)
	v_dual_fmaak_f32 v11, s2, v2, 0x3c0881c4 :: v_dual_fmac_f32 v8, v8, v15
	v_fmaak_f32 v11, v2, v11, 0xbe2aaa9d
	v_dual_lshlrev_b32 v9, 30, v9 :: v_dual_bitop2_b32 v17, 1, v9 bitop3:0x40
	s_delay_alu instid0(VALU_DEP_2) | instskip(SKIP_1) | instid1(VALU_DEP_3)
	v_dual_fmaak_f32 v16, v3, v16, 0x3d2aabf7 :: v_dual_mul_f32 v11, v2, v11
	v_xor_b32_e32 v1, v1, v5
	v_and_b32_e32 v9, 0x80000000, v9
	s_delay_alu instid0(VALU_DEP_3) | instskip(NEXT) | instid1(VALU_DEP_4)
	v_fmaak_f32 v16, v3, v16, 0xbf000004
	v_fmac_f32_e32 v4, v4, v11
	s_delay_alu instid0(VALU_DEP_2) | instskip(SKIP_1) | instid1(VALU_DEP_1)
	v_fma_f32 v3, v3, v16, 1.0
	v_fmaak_f32 v14, v2, v14, 0xbf000004
	v_fma_f32 v2, v2, v14, 1.0
	s_delay_alu instid0(VALU_DEP_1) | instskip(SKIP_1) | instid1(VALU_DEP_2)
	v_cndmask_b32_e64 v2, -v4, v2, vcc_lo
	v_cmp_eq_u32_e32 vcc_lo, 0, v17
	v_bitop3_b32 v2, v7, v2, 0x80000000 bitop3:0x6c
	v_cndmask_b32_e32 v3, v3, v8, vcc_lo
	v_cmp_class_f32_e64 vcc_lo, v5, 0x1f8
	s_delay_alu instid0(VALU_DEP_2) | instskip(NEXT) | instid1(VALU_DEP_4)
	v_xor3_b32 v1, v1, v9, v3
	v_cndmask_b32_e32 v4, 0x7fc00000, v2, vcc_lo
	s_delay_alu instid0(VALU_DEP_2) | instskip(NEXT) | instid1(VALU_DEP_1)
	v_dual_cndmask_b32 v2, 0x7fc00000, v1 :: v_dual_ashrrev_i32 v1, 31, v0
	v_mul_f32_e64 v5, v2, -v6
	s_delay_alu instid0(VALU_DEP_2) | instskip(NEXT) | instid1(VALU_DEP_4)
	v_lshl_add_u64 v[2:3], v[0:1], 2, s[14:15]
	v_mul_f32_e32 v1, v6, v4
	s_delay_alu instid0(VALU_DEP_2) | instskip(SKIP_3) | instid1(VALU_DEP_1)
	v_add_nc_u64_e32 v[2:3], s[0:1], v[2:3]
	s_wait_loadcnt 0x1
	v_mul_f32_e32 v4, v12, v5
	s_wait_loadcnt 0x0
	v_fma_f32 v4, v1, v13, -v4
	v_mul_f32_e32 v5, v13, v5
	s_delay_alu instid0(VALU_DEP_1)
	v_fmac_f32_e32 v5, v1, v12
	s_clause 0x1
	global_store_b32 v0, v4, s[14:15] scale_offset
	global_store_b32 v[2:3], v5, off
.LBB27_44:
	s_endpgm
	.section	.rodata,"a",@progbits
	.p2align	6, 0x0
	.amdhsa_kernel _ZL10rope_multiILb0ELb1EfEvPKT1_PS0_iiiiiiiiiiPKifff14rope_corr_dimsfPKf14mrope_sectionsb
		.amdhsa_group_segment_fixed_size 0
		.amdhsa_private_segment_fixed_size 0
		.amdhsa_kernarg_size 376
		.amdhsa_user_sgpr_count 2
		.amdhsa_user_sgpr_dispatch_ptr 0
		.amdhsa_user_sgpr_queue_ptr 0
		.amdhsa_user_sgpr_kernarg_segment_ptr 1
		.amdhsa_user_sgpr_dispatch_id 0
		.amdhsa_user_sgpr_kernarg_preload_length 0
		.amdhsa_user_sgpr_kernarg_preload_offset 0
		.amdhsa_user_sgpr_private_segment_size 0
		.amdhsa_wavefront_size32 1
		.amdhsa_uses_dynamic_stack 0
		.amdhsa_enable_private_segment 0
		.amdhsa_system_sgpr_workgroup_id_x 1
		.amdhsa_system_sgpr_workgroup_id_y 1
		.amdhsa_system_sgpr_workgroup_id_z 0
		.amdhsa_system_sgpr_workgroup_info 0
		.amdhsa_system_vgpr_workitem_id 1
		.amdhsa_next_free_vgpr 25
		.amdhsa_next_free_sgpr 27
		.amdhsa_named_barrier_count 0
		.amdhsa_reserve_vcc 1
		.amdhsa_float_round_mode_32 0
		.amdhsa_float_round_mode_16_64 0
		.amdhsa_float_denorm_mode_32 3
		.amdhsa_float_denorm_mode_16_64 3
		.amdhsa_fp16_overflow 0
		.amdhsa_memory_ordered 1
		.amdhsa_forward_progress 1
		.amdhsa_inst_pref_size 106
		.amdhsa_round_robin_scheduling 0
		.amdhsa_exception_fp_ieee_invalid_op 0
		.amdhsa_exception_fp_denorm_src 0
		.amdhsa_exception_fp_ieee_div_zero 0
		.amdhsa_exception_fp_ieee_overflow 0
		.amdhsa_exception_fp_ieee_underflow 0
		.amdhsa_exception_fp_ieee_inexact 0
		.amdhsa_exception_int_div_zero 0
	.end_amdhsa_kernel
	.section	.text._ZL10rope_multiILb0ELb1EfEvPKT1_PS0_iiiiiiiiiiPKifff14rope_corr_dimsfPKf14mrope_sectionsb,"axG",@progbits,_ZL10rope_multiILb0ELb1EfEvPKT1_PS0_iiiiiiiiiiPKifff14rope_corr_dimsfPKf14mrope_sectionsb,comdat
.Lfunc_end27:
	.size	_ZL10rope_multiILb0ELb1EfEvPKT1_PS0_iiiiiiiiiiPKifff14rope_corr_dimsfPKf14mrope_sectionsb, .Lfunc_end27-_ZL10rope_multiILb0ELb1EfEvPKT1_PS0_iiiiiiiiiiPKifff14rope_corr_dimsfPKf14mrope_sectionsb
                                        ; -- End function
	.set _ZL10rope_multiILb0ELb1EfEvPKT1_PS0_iiiiiiiiiiPKifff14rope_corr_dimsfPKf14mrope_sectionsb.num_vgpr, 25
	.set _ZL10rope_multiILb0ELb1EfEvPKT1_PS0_iiiiiiiiiiPKifff14rope_corr_dimsfPKf14mrope_sectionsb.num_agpr, 0
	.set _ZL10rope_multiILb0ELb1EfEvPKT1_PS0_iiiiiiiiiiPKifff14rope_corr_dimsfPKf14mrope_sectionsb.numbered_sgpr, 27
	.set _ZL10rope_multiILb0ELb1EfEvPKT1_PS0_iiiiiiiiiiPKifff14rope_corr_dimsfPKf14mrope_sectionsb.num_named_barrier, 0
	.set _ZL10rope_multiILb0ELb1EfEvPKT1_PS0_iiiiiiiiiiPKifff14rope_corr_dimsfPKf14mrope_sectionsb.private_seg_size, 0
	.set _ZL10rope_multiILb0ELb1EfEvPKT1_PS0_iiiiiiiiiiPKifff14rope_corr_dimsfPKf14mrope_sectionsb.uses_vcc, 1
	.set _ZL10rope_multiILb0ELb1EfEvPKT1_PS0_iiiiiiiiiiPKifff14rope_corr_dimsfPKf14mrope_sectionsb.uses_flat_scratch, 0
	.set _ZL10rope_multiILb0ELb1EfEvPKT1_PS0_iiiiiiiiiiPKifff14rope_corr_dimsfPKf14mrope_sectionsb.has_dyn_sized_stack, 0
	.set _ZL10rope_multiILb0ELb1EfEvPKT1_PS0_iiiiiiiiiiPKifff14rope_corr_dimsfPKf14mrope_sectionsb.has_recursion, 0
	.set _ZL10rope_multiILb0ELb1EfEvPKT1_PS0_iiiiiiiiiiPKifff14rope_corr_dimsfPKf14mrope_sectionsb.has_indirect_call, 0
	.section	.AMDGPU.csdata,"",@progbits
; Kernel info:
; codeLenInByte = 13492
; TotalNumSgprs: 29
; NumVgprs: 25
; ScratchSize: 0
; MemoryBound: 0
; FloatMode: 240
; IeeeMode: 1
; LDSByteSize: 0 bytes/workgroup (compile time only)
; SGPRBlocks: 0
; VGPRBlocks: 1
; NumSGPRsForWavesPerEU: 29
; NumVGPRsForWavesPerEU: 25
; NamedBarCnt: 0
; Occupancy: 16
; WaveLimiterHint : 0
; COMPUTE_PGM_RSRC2:SCRATCH_EN: 0
; COMPUTE_PGM_RSRC2:USER_SGPR: 2
; COMPUTE_PGM_RSRC2:TRAP_HANDLER: 0
; COMPUTE_PGM_RSRC2:TGID_X_EN: 1
; COMPUTE_PGM_RSRC2:TGID_Y_EN: 1
; COMPUTE_PGM_RSRC2:TGID_Z_EN: 0
; COMPUTE_PGM_RSRC2:TIDIG_COMP_CNT: 1
	.section	.text._ZL10rope_multiILb0ELb0E6__halfEvPKT1_PS1_iiiiiiiiiiPKifff14rope_corr_dimsfPKf14mrope_sectionsb,"axG",@progbits,_ZL10rope_multiILb0ELb0E6__halfEvPKT1_PS1_iiiiiiiiiiPKifff14rope_corr_dimsfPKf14mrope_sectionsb,comdat
	.globl	_ZL10rope_multiILb0ELb0E6__halfEvPKT1_PS1_iiiiiiiiiiPKifff14rope_corr_dimsfPKf14mrope_sectionsb ; -- Begin function _ZL10rope_multiILb0ELb0E6__halfEvPKT1_PS1_iiiiiiiiiiPKifff14rope_corr_dimsfPKf14mrope_sectionsb
	.p2align	8
	.type	_ZL10rope_multiILb0ELb0E6__halfEvPKT1_PS1_iiiiiiiiiiPKifff14rope_corr_dimsfPKf14mrope_sectionsb,@function
_ZL10rope_multiILb0ELb0E6__halfEvPKT1_PS1_iiiiiiiiiiPKifff14rope_corr_dimsfPKf14mrope_sectionsb: ; @_ZL10rope_multiILb0ELb0E6__halfEvPKT1_PS1_iiiiiiiiiiPKifff14rope_corr_dimsfPKf14mrope_sectionsb
; %bb.0:
	s_clause 0x1
	s_load_u16 s3, s[0:1], 0x86
	s_load_b256 s[4:11], s[0:1], 0x10
	s_bfe_u32 s2, ttmp6, 0x40010
	s_bfe_u32 s13, ttmp6, 0x40004
	s_add_co_i32 s2, s2, 1
	v_bfe_u32 v1, v0, 10, 10
	s_mul_i32 s12, ttmp7, s2
	s_getreg_b32 s2, hwreg(HW_REG_IB_STS2, 6, 4)
	s_add_co_i32 s13, s13, s12
	s_cmp_eq_u32 s2, 0
	s_cselect_b32 s12, ttmp7, s13
	s_wait_kmcnt 0x0
	s_mul_i32 s12, s12, s3
	s_mov_b32 s3, exec_lo
	v_add_lshl_u32 v4, s12, v1, 1
	s_delay_alu instid0(VALU_DEP_1)
	v_cmpx_gt_i32_e64 s4, v4
	s_cbranch_execz .LBB28_44
; %bb.1:
	s_add_nc_u64 s[12:13], s[0:1], 0x78
	s_bfe_u32 s4, ttmp6, 0x4000c
	s_load_b32 s3, s[12:13], 0xc
	s_add_co_i32 s4, s4, 1
	s_wait_xcnt 0x0
	s_and_b32 s12, ttmp6, 15
	s_mul_i32 s4, ttmp9, s4
	v_and_b32_e32 v0, 0x3ff, v0
	s_add_co_i32 s12, s12, s4
	s_wait_kmcnt 0x0
	s_and_b32 s3, s3, 0xffff
	s_cmp_eq_u32 s2, 0
	s_mul_i32 s2, s6, s5
	s_cselect_b32 s4, ttmp9, s12
	s_abs_i32 s12, s2
	v_mad_u32 v0, s4, s3, v0
	s_cvt_f32_u32 s13, s12
	s_sub_co_i32 s4, 0, s12
	s_delay_alu instid0(SALU_CYCLE_2) | instskip(SKIP_1) | instid1(TRANS32_DEP_1)
	v_rcp_iflag_f32_e32 v1, s13
	v_nop
	v_readfirstlane_b32 s3, v1
	s_delay_alu instid0(VALU_DEP_3) | instskip(SKIP_1) | instid1(VALU_DEP_1)
	v_sub_nc_u32_e32 v1, 0, v0
	s_mul_f32 s3, s3, 0x4f7ffffe
	v_max_i32_e32 v1, v0, v1
	s_delay_alu instid0(SALU_CYCLE_2) | instskip(NEXT) | instid1(SALU_CYCLE_3)
	s_cvt_u32_f32 s3, s3
	s_mul_i32 s4, s4, s3
	s_delay_alu instid0(SALU_CYCLE_1) | instskip(NEXT) | instid1(SALU_CYCLE_1)
	s_mul_hi_u32 s4, s3, s4
	s_add_co_i32 s3, s3, s4
	s_delay_alu instid0(SALU_CYCLE_1) | instskip(SKIP_1) | instid1(VALU_DEP_1)
	v_mul_hi_u32 v2, v1, s3
	s_cvt_f32_u32 s3, s5
	v_mul_lo_u32 v3, v2, s12
	s_delay_alu instid0(VALU_DEP_1) | instskip(NEXT) | instid1(VALU_DEP_1)
	v_dual_sub_nc_u32 v1, v1, v3 :: v_dual_add_nc_u32 v3, 1, v2
	v_cmp_le_u32_e32 vcc_lo, s12, v1
	s_delay_alu instid0(VALU_DEP_2) | instskip(SKIP_1) | instid1(VALU_DEP_1)
	v_dual_cndmask_b32 v2, v2, v3, vcc_lo :: v_dual_bitop2_b32 v3, s2, v0 bitop3:0x14
	v_subrev_nc_u32_e32 v5, s12, v1
	v_dual_cndmask_b32 v1, v1, v5, vcc_lo :: v_dual_add_nc_u32 v5, 1, v2
	s_delay_alu instid0(VALU_DEP_1) | instskip(NEXT) | instid1(VALU_DEP_4)
	v_cmp_le_u32_e32 vcc_lo, s12, v1
	v_ashrrev_i32_e32 v3, 31, v3
	s_load_b128 s[12:15], s[0:1], 0x0
	s_delay_alu instid0(VALU_DEP_3) | instskip(SKIP_1) | instid1(VALU_DEP_1)
	v_cndmask_b32_e32 v1, v2, v5, vcc_lo
	v_rcp_iflag_f32_e32 v2, s3
	v_xor_b32_e32 v1, v1, v3
	s_delay_alu instid0(TRANS32_DEP_1) | instskip(NEXT) | instid1(VALU_DEP_2)
	v_readfirstlane_b32 s3, v2
	v_sub_nc_u32_e32 v3, v1, v3
	s_delay_alu instid0(VALU_DEP_1) | instskip(SKIP_2) | instid1(SALU_CYCLE_2)
	v_mul_lo_u32 v1, s2, v3
	s_mul_f32 s2, s3, 0x4f7ffffe
	s_sub_co_i32 s3, 0, s5
	s_cvt_u32_f32 s2, s2
	s_delay_alu instid0(SALU_CYCLE_3) | instskip(NEXT) | instid1(VALU_DEP_1)
	s_mul_i32 s3, s3, s2
	v_sub_nc_u32_e32 v0, v0, v1
	s_mul_hi_u32 s3, s2, s3
	s_delay_alu instid0(SALU_CYCLE_1)
	s_add_co_i32 s2, s2, s3
	s_delay_alu instid0(VALU_DEP_1) | instid1(SALU_CYCLE_1)
	v_mul_hi_u32 v1, v0, s2
	s_load_b64 s[2:3], s[0:1], 0x30
	s_delay_alu instid0(VALU_DEP_1) | instskip(NEXT) | instid1(VALU_DEP_1)
	v_mul_lo_u32 v2, v1, s5
	v_dual_add_nc_u32 v5, 1, v1 :: v_dual_sub_nc_u32 v2, v0, v2
	s_delay_alu instid0(VALU_DEP_1) | instskip(SKIP_1) | instid1(VALU_DEP_2)
	v_subrev_nc_u32_e32 v6, s5, v2
	v_cmp_le_u32_e32 vcc_lo, s5, v2
	v_dual_cndmask_b32 v5, v1, v5 :: v_dual_cndmask_b32 v2, v2, v6
	s_delay_alu instid0(VALU_DEP_1) | instskip(NEXT) | instid1(VALU_DEP_2)
	v_dual_ashrrev_i32 v1, 1, v4 :: v_dual_add_nc_u32 v6, 1, v5
	v_cmp_le_u32_e32 vcc_lo, s5, v2
	s_wait_kmcnt 0x0
	s_delay_alu instid0(VALU_DEP_2) | instskip(SKIP_3) | instid1(VALU_DEP_1)
	v_mad_u32 v7, v3, s2, v1
	v_mad_u32 v8, v3, s9, v1
	s_mov_b32 s2, exec_lo
	v_cndmask_b32_e32 v3, v5, v6, vcc_lo
	v_mul_lo_u32 v2, v3, s5
	s_delay_alu instid0(VALU_DEP_4) | instskip(NEXT) | instid1(VALU_DEP_4)
	v_mad_u32 v5, v3, s11, v7
	v_mad_u32 v6, v3, s8, v8
	s_delay_alu instid0(VALU_DEP_3) | instskip(NEXT) | instid1(VALU_DEP_1)
	v_sub_nc_u32_e32 v2, v0, v2
	v_mad_u32 v0, v2, s10, v5
	s_delay_alu instid0(VALU_DEP_3)
	v_mad_u32 v2, v2, s7, v6
	v_cmpx_le_i32_e64 s3, v4
	s_xor_b32 s2, exec_lo, s2
	s_cbranch_execz .LBB28_3
; %bb.2:
	s_delay_alu instid0(VALU_DEP_2)
	v_dual_add_nc_u32 v2, v2, v1 :: v_dual_add_nc_u32 v0, v0, v1
                                        ; implicit-def: $vgpr4
	global_load_u16 v3, v2, s[12:13] scale_offset
	s_wait_loadcnt 0x0
	global_store_b16 v0, v3, s[14:15] scale_offset
	global_load_u16 v1, v2, s[12:13] offset:2 scale_offset
                                        ; implicit-def: $vgpr2
                                        ; implicit-def: $vgpr3
	s_wait_loadcnt 0x0
	global_store_b16 v0, v1, s[14:15] offset:2 scale_offset
                                        ; implicit-def: $vgpr0
                                        ; implicit-def: $vgpr1
.LBB28_3:
	s_wait_xcnt 0x0
	s_and_not1_saveexec_b32 s2, s2
	s_cbranch_execz .LBB28_44
; %bb.4:
	s_load_b128 s[16:19], s[0:1], 0x60
	v_ashrrev_i32_e32 v7, 31, v1
	s_wait_kmcnt 0x0
	s_add_co_i32 s2, s17, s16
	s_delay_alu instid0(SALU_CYCLE_1) | instskip(NEXT) | instid1(SALU_CYCLE_1)
	s_add_co_i32 s22, s2, s18
	s_add_co_i32 s4, s22, s19
	s_load_b32 s19, s[0:1], 0x70
	s_abs_i32 s7, s4
	s_delay_alu instid0(SALU_CYCLE_1) | instskip(SKIP_1) | instid1(SALU_CYCLE_2)
	s_cvt_f32_u32 s4, s7
	s_sub_co_i32 s5, 0, s7
	v_rcp_iflag_f32_e32 v5, s4
	v_nop
	s_delay_alu instid0(TRANS32_DEP_1) | instskip(SKIP_2) | instid1(VALU_DEP_1)
	v_readfirstlane_b32 s4, v5
	v_sub_nc_u32_e32 v5, 0, v1
	s_mul_f32 s4, s4, 0x4f7ffffe
	v_max_i32_e32 v5, v1, v5
	s_delay_alu instid0(SALU_CYCLE_2) | instskip(NEXT) | instid1(SALU_CYCLE_3)
	s_cvt_u32_f32 s4, s4
	s_mul_i32 s5, s5, s4
	s_delay_alu instid0(SALU_CYCLE_1) | instskip(NEXT) | instid1(SALU_CYCLE_1)
	s_mul_hi_u32 s5, s4, s5
	s_add_co_i32 s4, s4, s5
	s_delay_alu instid0(SALU_CYCLE_1)
	v_mul_hi_u32 v6, v5, s4
	s_clause 0x2
	s_load_b64 s[4:5], s[0:1], 0x50
	s_load_b64 s[20:21], s[0:1], 0x38
	s_load_b128 s[8:11], s[0:1], 0x40
	s_wait_kmcnt 0x0
	s_and_b32 s0, s19, 1
	s_delay_alu instid0(SALU_CYCLE_1) | instskip(NEXT) | instid1(VALU_DEP_1)
	s_cmp_eq_u32 s0, 0
	v_mul_lo_u32 v6, v6, s7
	s_delay_alu instid0(VALU_DEP_1) | instskip(NEXT) | instid1(VALU_DEP_1)
	v_sub_nc_u32_e32 v5, v5, v6
	v_subrev_nc_u32_e32 v6, s7, v5
	v_cmp_le_u32_e32 vcc_lo, s7, v5
	s_delay_alu instid0(VALU_DEP_2) | instskip(NEXT) | instid1(VALU_DEP_1)
	v_cndmask_b32_e32 v5, v5, v6, vcc_lo
	v_subrev_nc_u32_e32 v6, s7, v5
	v_cmp_le_u32_e32 vcc_lo, s7, v5
	s_delay_alu instid0(VALU_DEP_2) | instskip(NEXT) | instid1(VALU_DEP_1)
	v_cndmask_b32_e32 v5, v5, v6, vcc_lo
	v_xor_b32_e32 v5, v5, v7
	s_delay_alu instid0(VALU_DEP_1)
	v_sub_nc_u32_e32 v5, v5, v7
	s_cbranch_scc0 .LBB28_20
; %bb.5:
                                        ; implicit-def: $vgpr6
	s_mov_b32 s0, exec_lo
	s_delay_alu instid0(VALU_DEP_1)
	v_cmpx_le_i32_e64 s16, v5
	s_xor_b32 s7, exec_lo, s0
	s_cbranch_execz .LBB28_15
; %bb.6:
                                        ; implicit-def: $vgpr6
	s_mov_b32 s0, exec_lo
	v_cmpx_le_i32_e64 s2, v5
	s_xor_b32 s19, exec_lo, s0
	s_cbranch_execz .LBB28_12
; %bb.7:
	v_cvt_f32_i32_e32 v6, v4
	s_cmp_neq_f32 s5, 1.0
	s_mov_b32 s0, 0x3e76c4e1
	s_cselect_b32 vcc_lo, -1, 0
	s_delay_alu instid0(VALU_DEP_1) | instskip(NEXT) | instid1(VALU_DEP_1)
	v_mul_f32_e32 v6, 0.5, v6
	v_cndmask_b32_e32 v7, 1.0, v6, vcc_lo
	s_delay_alu instid0(VALU_DEP_1) | instskip(SKIP_1) | instid1(VALU_DEP_1)
	v_cmp_neq_f32_e32 vcc_lo, 0, v7
	v_cndmask_b32_e64 v6, 1.0, s5, vcc_lo
	v_frexp_mant_f32_e64 v8, |v6|
	v_cmp_lt_f32_e64 s24, |v6|, 1.0
	v_cmp_eq_f32_e64 s2, 0, v6
	s_delay_alu instid0(VALU_DEP_3) | instskip(SKIP_1) | instid1(VALU_DEP_1)
	v_cmp_gt_f32_e32 vcc_lo, 0x3f2aaaab, v8
	v_cndmask_b32_e64 v9, 1.0, 2.0, vcc_lo
	v_mul_f32_e32 v8, v8, v9
	s_delay_alu instid0(VALU_DEP_1) | instskip(SKIP_1) | instid1(VALU_DEP_2)
	v_dual_add_f32 v11, 1.0, v8 :: v_dual_add_f32 v9, -1.0, v8
	v_cmp_neq_f32_e64 s23, v7, |v7|
	v_rcp_f32_e32 v14, v11
	v_add_f32_e32 v12, -1.0, v11
	s_xor_b32 s23, s23, s24
	s_delay_alu instid0(TRANS32_DEP_1) | instid1(VALU_DEP_1)
	v_dual_sub_f32 v8, v8, v12 :: v_dual_mul_f32 v15, v9, v14
	s_delay_alu instid0(VALU_DEP_1) | instskip(NEXT) | instid1(VALU_DEP_1)
	v_mul_f32_e32 v10, v11, v15
	v_fma_f32 v12, v15, v11, -v10
	s_delay_alu instid0(VALU_DEP_1) | instskip(NEXT) | instid1(VALU_DEP_1)
	v_fmac_f32_e32 v12, v15, v8
	v_add_f32_e32 v8, v10, v12
	s_delay_alu instid0(VALU_DEP_1) | instskip(NEXT) | instid1(VALU_DEP_1)
	v_dual_sub_f32 v11, v9, v8 :: v_dual_mov_b32 v13, v8
	v_pk_add_f32 v[8:9], v[8:9], v[10:11] neg_lo:[0,1] neg_hi:[0,1]
	s_delay_alu instid0(VALU_DEP_1) | instskip(NEXT) | instid1(VALU_DEP_1)
	v_pk_add_f32 v[8:9], v[8:9], v[12:13] neg_lo:[0,1] neg_hi:[0,1]
	v_add_f32_e32 v8, v8, v9
	s_delay_alu instid0(VALU_DEP_1) | instskip(NEXT) | instid1(VALU_DEP_1)
	v_add_f32_e32 v8, v11, v8
	v_mul_f32_e32 v9, v14, v8
	s_delay_alu instid0(VALU_DEP_1) | instskip(NEXT) | instid1(VALU_DEP_1)
	v_add_f32_e32 v8, v15, v9
	v_sub_f32_e32 v10, v8, v15
	s_delay_alu instid0(VALU_DEP_1) | instskip(NEXT) | instid1(VALU_DEP_1)
	v_sub_f32_e32 v20, v9, v10
	v_add_f32_e32 v10, v20, v20
	v_mul_f32_e32 v11, v8, v8
	s_delay_alu instid0(VALU_DEP_1) | instskip(NEXT) | instid1(VALU_DEP_1)
	v_fma_f32 v9, v8, v8, -v11
	v_fmac_f32_e32 v9, v8, v10
	s_delay_alu instid0(VALU_DEP_1) | instskip(NEXT) | instid1(VALU_DEP_1)
	v_add_f32_e32 v10, v11, v9
	v_dual_fmaak_f32 v12, s0, v10, 0x3e91f4c4 :: v_dual_sub_f32 v11, v10, v11
	s_delay_alu instid0(VALU_DEP_1) | instskip(SKIP_1) | instid1(VALU_DEP_2)
	v_fmaak_f32 v14, v10, v12, 0x3ecccdef
	v_cvt_f64_f32_e64 v[12:13], |v6|
	v_dual_sub_f32 v18, v9, v11 :: v_dual_mul_f32 v15, v10, v14
	s_delay_alu instid0(VALU_DEP_1) | instskip(NEXT) | instid1(VALU_DEP_1)
	v_fma_f32 v9, v10, v14, -v15
	v_fmac_f32_e32 v9, v18, v14
	s_delay_alu instid0(VALU_DEP_1) | instskip(NEXT) | instid1(VALU_DEP_1)
	v_add_f32_e32 v11, v15, v9
	v_sub_f32_e32 v14, v11, v15
	v_add_f32_e32 v15, 0x3f2aaaaa, v11
	s_delay_alu instid0(VALU_DEP_1) | instskip(SKIP_1) | instid1(VALU_DEP_2)
	v_dual_sub_f32 v9, v9, v14 :: v_dual_add_f32 v14, 0xbf2aaaaa, v15
	v_frexp_exp_i32_f64_e32 v19, v[12:13]
	v_sub_f32_e32 v11, v11, v14
	s_delay_alu instid0(VALU_DEP_3) | instskip(NEXT) | instid1(VALU_DEP_1)
	v_add_f32_e32 v9, 0x31739010, v9
	v_pk_mul_f32 v[12:13], v[8:9], v[10:11]
	s_delay_alu instid0(VALU_DEP_1) | instskip(NEXT) | instid1(VALU_DEP_1)
	v_fma_f32 v14, v10, v8, -v12
	v_fmac_f32_e32 v14, v10, v20
	s_delay_alu instid0(VALU_DEP_1) | instskip(SKIP_1) | instid1(VALU_DEP_1)
	v_fmac_f32_e32 v14, v18, v8
	v_pk_add_f32 v[16:17], v[8:9], v[10:11]
	v_mov_b32_e32 v13, v17
	v_subrev_co_ci_u32_e64 v9, null, 0, v19, vcc_lo
	s_delay_alu instid0(VALU_DEP_2) | instskip(NEXT) | instid1(VALU_DEP_2)
	v_pk_add_f32 v[10:11], v[12:13], v[14:15]
	v_cvt_f32_i32_e32 v9, v9
	s_delay_alu instid0(VALU_DEP_2) | instskip(NEXT) | instid1(VALU_DEP_3)
	v_mov_b32_e32 v16, v11
	v_dual_sub_f32 v13, v15, v11 :: v_dual_sub_f32 v15, v10, v12
	s_delay_alu instid0(VALU_DEP_2) | instskip(NEXT) | instid1(VALU_DEP_2)
	v_pk_mul_f32 v[18:19], v[10:11], v[16:17]
	v_dual_add_f32 v13, v17, v13 :: v_dual_sub_f32 v14, v14, v15
	s_delay_alu instid0(VALU_DEP_2) | instskip(NEXT) | instid1(VALU_DEP_1)
	v_fma_f32 v12, v10, v11, -v18
	v_fmac_f32_e32 v12, v10, v13
	s_delay_alu instid0(VALU_DEP_1) | instskip(SKIP_2) | instid1(VALU_DEP_3)
	v_fmac_f32_e32 v12, v14, v11
	v_mul_f32_e32 v16, 0x3f317218, v9
	v_ldexp_f32 v11, v8, 1
	v_add_f32_e32 v17, v18, v12
	s_delay_alu instid0(VALU_DEP_3) | instskip(NEXT) | instid1(VALU_DEP_2)
	v_fma_f32 v10, 0x3f317218, v9, -v16
	v_dual_mov_b32 v19, v11 :: v_dual_mov_b32 v14, v17
	s_delay_alu instid0(VALU_DEP_2) | instskip(NEXT) | instid1(VALU_DEP_1)
	v_fmamk_f32 v10, v9, 0xb102e308, v10
	v_pk_add_f32 v[8:9], v[16:17], v[10:11]
	v_mov_b32_e32 v13, v17
	v_ldexp_f32 v11, v20, 1
	s_delay_alu instid0(VALU_DEP_3) | instskip(NEXT) | instid1(VALU_DEP_1)
	v_dual_mov_b32 v15, v9 :: v_dual_mov_b32 v22, v9
	v_pk_add_f32 v[14:15], v[14:15], v[18:19] neg_lo:[0,1] neg_hi:[0,1]
	s_delay_alu instid0(VALU_DEP_1) | instskip(NEXT) | instid1(VALU_DEP_1)
	v_pk_add_f32 v[12:13], v[12:13], v[14:15] neg_lo:[0,1] neg_hi:[0,1]
	v_add_f32_e32 v11, v11, v12
	s_delay_alu instid0(VALU_DEP_1) | instskip(NEXT) | instid1(VALU_DEP_1)
	v_dual_add_f32 v17, v11, v13 :: v_dual_mov_b32 v11, v8
	v_pk_add_f32 v[12:13], v[8:9], v[16:17]
	v_pk_add_f32 v[14:15], v[8:9], v[16:17] neg_lo:[0,1] neg_hi:[0,1]
	s_delay_alu instid0(VALU_DEP_2) | instskip(NEXT) | instid1(VALU_DEP_1)
	v_mov_b32_e32 v15, v13
	v_pk_add_f32 v[18:19], v[10:11], v[14:15]
	v_pk_add_f32 v[10:11], v[10:11], v[14:15] neg_lo:[0,1] neg_hi:[0,1]
	s_delay_alu instid0(VALU_DEP_2) | instskip(NEXT) | instid1(VALU_DEP_1)
	v_dual_mov_b32 v16, v19 :: v_dual_mov_b32 v11, v19
	v_pk_add_f32 v[20:21], v[16:17], v[8:9] neg_lo:[0,1] neg_hi:[0,1]
	v_dual_mov_b32 v18, v13 :: v_dual_mov_b32 v9, v8
	s_delay_alu instid0(VALU_DEP_2) | instskip(SKIP_1) | instid1(VALU_DEP_2)
	v_dual_mov_b32 v8, v17 :: v_dual_mov_b32 v23, v20
	v_mov_b32_e32 v17, v20
	v_pk_add_f32 v[14:15], v[18:19], v[22:23] neg_lo:[0,1] neg_hi:[0,1]
	s_delay_alu instid0(VALU_DEP_2) | instskip(SKIP_1) | instid1(VALU_DEP_3)
	v_pk_add_f32 v[12:13], v[12:13], v[16:17] neg_lo:[0,1] neg_hi:[0,1]
	v_mov_b32_e32 v12, v10
	v_pk_add_f32 v[8:9], v[8:9], v[14:15] neg_lo:[0,1] neg_hi:[0,1]
	s_delay_alu instid0(VALU_DEP_1) | instskip(NEXT) | instid1(VALU_DEP_1)
	v_pk_add_f32 v[12:13], v[12:13], v[8:9]
	v_mov_b32_e32 v14, v13
	s_delay_alu instid0(VALU_DEP_1) | instskip(NEXT) | instid1(VALU_DEP_1)
	v_pk_add_f32 v[14:15], v[12:13], v[14:15]
	v_pk_add_f32 v[16:17], v[16:17], v[14:15]
	s_delay_alu instid0(VALU_DEP_1) | instskip(NEXT) | instid1(VALU_DEP_1)
	v_dual_mov_b32 v9, v14 :: v_dual_mov_b32 v13, v16
	v_pk_add_f32 v[18:19], v[12:13], v[10:11] neg_lo:[0,1] neg_hi:[0,1]
	s_delay_alu instid0(VALU_DEP_1) | instskip(NEXT) | instid1(VALU_DEP_2)
	v_sub_f32_e32 v11, v12, v18
	v_pk_add_f32 v[8:9], v[8:9], v[18:19] neg_lo:[0,1] neg_hi:[0,1]
	s_delay_alu instid0(VALU_DEP_2) | instskip(NEXT) | instid1(VALU_DEP_1)
	v_sub_f32_e32 v10, v10, v11
	v_add_f32_e32 v8, v8, v10
	s_delay_alu instid0(VALU_DEP_1) | instskip(NEXT) | instid1(VALU_DEP_1)
	v_add_f32_e32 v8, v8, v9
	v_add_f32_e32 v9, v16, v8
	s_delay_alu instid0(VALU_DEP_1) | instskip(NEXT) | instid1(VALU_DEP_1)
	v_dual_sub_f32 v10, v9, v16 :: v_dual_mul_f32 v11, v7, v9
	v_dual_sub_f32 v8, v8, v10 :: v_dual_fma_f32 v9, v7, v9, -v11
	v_cmp_class_f32_e64 vcc_lo, v11, 0x204
	s_delay_alu instid0(VALU_DEP_2) | instskip(NEXT) | instid1(VALU_DEP_1)
	v_fmac_f32_e32 v9, v7, v8
	v_add_f32_e32 v8, v11, v9
	s_delay_alu instid0(VALU_DEP_1) | instskip(NEXT) | instid1(VALU_DEP_1)
	v_cndmask_b32_e32 v10, v8, v11, vcc_lo
	v_cmp_eq_f32_e32 vcc_lo, 0x42b17218, v10
	v_cndmask_b32_e64 v12, 0, 0x37000000, vcc_lo
	v_cmp_neq_f32_e64 vcc_lo, 0x7f800000, |v10|
	s_delay_alu instid0(VALU_DEP_2) | instskip(SKIP_1) | instid1(VALU_DEP_2)
	v_dual_sub_f32 v13, v10, v12 :: v_dual_sub_f32 v8, v8, v11
	v_trunc_f32_e32 v10, v7
	v_mul_f32_e32 v14, 0x3fb8aa3b, v13
	s_delay_alu instid0(VALU_DEP_3) | instskip(NEXT) | instid1(VALU_DEP_2)
	v_sub_f32_e32 v8, v9, v8
	v_fma_f32 v15, 0x3fb8aa3b, v13, -v14
	v_rndne_f32_e32 v16, v14
	s_delay_alu instid0(VALU_DEP_3) | instskip(SKIP_1) | instid1(VALU_DEP_3)
	v_cndmask_b32_e32 v8, 0, v8, vcc_lo
	v_cmp_ngt_f32_e32 vcc_lo, 0xc2ce8ed0, v13
	v_dual_fmamk_f32 v15, v13, 0x32a5705f, v15 :: v_dual_sub_f32 v14, v14, v16
	s_delay_alu instid0(VALU_DEP_1) | instskip(NEXT) | instid1(VALU_DEP_1)
	v_add_f32_e32 v14, v14, v15
	v_exp_f32_e32 v11, v14
	v_nop
	v_cvt_i32_f32_e32 v14, v16
	s_delay_alu instid0(TRANS32_DEP_1) | instid1(VALU_DEP_1)
	v_ldexp_f32 v9, v11, v14
	s_delay_alu instid0(VALU_DEP_1) | instskip(NEXT) | instid1(VALU_DEP_1)
	v_dual_mul_f32 v11, 0.5, v7 :: v_dual_cndmask_b32 v9, 0, v9, vcc_lo
	v_trunc_f32_e32 v14, v11
	v_cmp_nlt_f32_e32 vcc_lo, 0x42b17218, v13
	v_add_f32_e32 v8, v12, v8
	s_delay_alu instid0(VALU_DEP_3) | instskip(SKIP_2) | instid1(VALU_DEP_2)
	v_cmp_neq_f32_e64 s0, v14, v11
	v_cndmask_b32_e32 v9, 0x7f800000, v9, vcc_lo
	v_cmp_eq_f32_e32 vcc_lo, v10, v7
	v_cmp_class_f32_e64 s1, v9, 0x204
	s_and_b32 s0, vcc_lo, s0
	s_delay_alu instid0(SALU_CYCLE_1) | instskip(NEXT) | instid1(VALU_DEP_1)
	v_dual_fma_f32 v8, v9, v8, v9 :: v_dual_cndmask_b32 v10, 1.0, v6, s0
	v_cndmask_b32_e64 v8, v8, v9, s1
	v_cndmask_b32_e64 v9, 0x7f800000, 0, s23
	v_cmp_gt_f32_e64 s1, 0, v7
	s_delay_alu instid0(VALU_DEP_3) | instskip(SKIP_1) | instid1(SALU_CYCLE_1)
	v_bfi_b32 v8, 0x7fffffff, v8, v10
	s_xor_b32 s1, s1, s2
	v_cndmask_b32_e64 v11, 0x7f800000, 0, s1
	s_delay_alu instid0(VALU_DEP_2) | instskip(SKIP_3) | instid1(VALU_DEP_4)
	v_cndmask_b32_e32 v10, 0x7fc00000, v8, vcc_lo
	v_cmp_neq_f32_e64 vcc_lo, |v6|, 1.0
	v_cndmask_b32_e32 v9, 1.0, v9, vcc_lo
	v_cmp_gt_f32_e32 vcc_lo, 0, v6
	v_cndmask_b32_e32 v8, v8, v10, vcc_lo
	v_cmp_class_f32_e64 vcc_lo, v7, 0x204
	v_cndmask_b32_e64 v10, 0, v6, s0
	v_cmp_class_f32_e64 s0, v6, 0x204
	s_delay_alu instid0(VALU_DEP_4) | instskip(NEXT) | instid1(VALU_DEP_3)
	v_cndmask_b32_e32 v7, v8, v9, vcc_lo
	v_bfi_b32 v8, 0x7fffffff, v11, v10
	s_or_b32 vcc_lo, s2, s0
	v_cmp_o_f32_e64 s0, v6, v6
                                        ; implicit-def: $vgpr6
	s_delay_alu instid0(VALU_DEP_2) | instskip(NEXT) | instid1(VALU_DEP_1)
	v_cndmask_b32_e32 v7, v7, v8, vcc_lo
	v_cndmask_b32_e64 v7, 0x7fc00000, v7, s0
	s_mov_b32 s0, exec_lo
	v_cmpx_le_i32_e64 s22, v5
	s_xor_b32 s0, exec_lo, s0
	s_cbranch_execz .LBB28_9
; %bb.8:
	v_mad_u32 v6, s6, 3, v3
	global_load_b32 v6, v6, s[20:21] scale_offset
	s_wait_loadcnt 0x0
	v_cvt_f32_i32_e32 v6, v6
	s_delay_alu instid0(VALU_DEP_1)
	v_mul_f32_e32 v6, v7, v6
                                        ; implicit-def: $vgpr7
.LBB28_9:
	s_and_not1_saveexec_b32 s0, s0
	s_cbranch_execz .LBB28_11
; %bb.10:
	v_lshl_add_u32 v6, s6, 1, v3
	global_load_b32 v6, v6, s[20:21] scale_offset
	s_wait_loadcnt 0x0
	v_cvt_f32_i32_e32 v6, v6
	s_delay_alu instid0(VALU_DEP_1)
	v_mul_f32_e32 v6, v7, v6
.LBB28_11:
	s_or_b32 exec_lo, exec_lo, s0
.LBB28_12:
	s_and_not1_saveexec_b32 s19, s19
	s_cbranch_execz .LBB28_14
; %bb.13:
	v_cvt_f32_i32_e32 v6, v4
	s_cmp_neq_f32 s5, 1.0
	s_mov_b32 s0, 0x3e76c4e1
	s_cselect_b32 vcc_lo, -1, 0
	s_delay_alu instid0(VALU_DEP_1) | instskip(NEXT) | instid1(VALU_DEP_1)
	v_mul_f32_e32 v6, 0.5, v6
	v_cndmask_b32_e32 v7, 1.0, v6, vcc_lo
	s_delay_alu instid0(VALU_DEP_1) | instskip(SKIP_1) | instid1(VALU_DEP_1)
	v_cmp_neq_f32_e32 vcc_lo, 0, v7
	v_cndmask_b32_e64 v6, 1.0, s5, vcc_lo
	v_frexp_mant_f32_e64 v8, |v6|
	v_cmp_lt_f32_e64 s23, |v6|, 1.0
	v_cmp_eq_f32_e64 s2, 0, v6
	s_delay_alu instid0(VALU_DEP_3) | instskip(SKIP_1) | instid1(VALU_DEP_1)
	v_cmp_gt_f32_e32 vcc_lo, 0x3f2aaaab, v8
	v_cndmask_b32_e64 v9, 1.0, 2.0, vcc_lo
	v_mul_f32_e32 v8, v8, v9
	s_delay_alu instid0(VALU_DEP_1) | instskip(SKIP_1) | instid1(VALU_DEP_2)
	v_dual_add_f32 v11, 1.0, v8 :: v_dual_add_f32 v9, -1.0, v8
	v_cmp_neq_f32_e64 s22, v7, |v7|
	v_rcp_f32_e32 v14, v11
	v_add_f32_e32 v12, -1.0, v11
	s_xor_b32 s22, s22, s23
	s_delay_alu instid0(TRANS32_DEP_1) | instid1(VALU_DEP_1)
	v_dual_sub_f32 v8, v8, v12 :: v_dual_mul_f32 v15, v9, v14
	s_delay_alu instid0(VALU_DEP_1) | instskip(NEXT) | instid1(VALU_DEP_1)
	v_mul_f32_e32 v10, v11, v15
	v_fma_f32 v12, v15, v11, -v10
	s_delay_alu instid0(VALU_DEP_1) | instskip(NEXT) | instid1(VALU_DEP_1)
	v_fmac_f32_e32 v12, v15, v8
	v_add_f32_e32 v8, v10, v12
	s_delay_alu instid0(VALU_DEP_1) | instskip(NEXT) | instid1(VALU_DEP_1)
	v_dual_sub_f32 v11, v9, v8 :: v_dual_mov_b32 v13, v8
	v_pk_add_f32 v[8:9], v[8:9], v[10:11] neg_lo:[0,1] neg_hi:[0,1]
	s_delay_alu instid0(VALU_DEP_1) | instskip(NEXT) | instid1(VALU_DEP_1)
	v_pk_add_f32 v[8:9], v[8:9], v[12:13] neg_lo:[0,1] neg_hi:[0,1]
	v_add_f32_e32 v8, v8, v9
	s_delay_alu instid0(VALU_DEP_1) | instskip(NEXT) | instid1(VALU_DEP_1)
	v_add_f32_e32 v8, v11, v8
	v_mul_f32_e32 v9, v14, v8
	s_delay_alu instid0(VALU_DEP_1) | instskip(NEXT) | instid1(VALU_DEP_1)
	v_add_f32_e32 v8, v15, v9
	v_sub_f32_e32 v10, v8, v15
	s_delay_alu instid0(VALU_DEP_1) | instskip(NEXT) | instid1(VALU_DEP_1)
	v_sub_f32_e32 v20, v9, v10
	v_add_f32_e32 v10, v20, v20
	v_mul_f32_e32 v11, v8, v8
	s_delay_alu instid0(VALU_DEP_1) | instskip(NEXT) | instid1(VALU_DEP_1)
	v_fma_f32 v9, v8, v8, -v11
	v_fmac_f32_e32 v9, v8, v10
	s_delay_alu instid0(VALU_DEP_1) | instskip(NEXT) | instid1(VALU_DEP_1)
	v_add_f32_e32 v10, v11, v9
	v_dual_fmaak_f32 v12, s0, v10, 0x3e91f4c4 :: v_dual_sub_f32 v11, v10, v11
	s_delay_alu instid0(VALU_DEP_1) | instskip(NEXT) | instid1(VALU_DEP_2)
	v_fmaak_f32 v14, v10, v12, 0x3ecccdef
	v_sub_f32_e32 v18, v9, v11
	v_add_nc_u32_e32 v11, s6, v3
	v_cvt_f64_f32_e64 v[12:13], |v6|
	s_delay_alu instid0(VALU_DEP_4) | instskip(SKIP_2) | instid1(VALU_DEP_1)
	v_mul_f32_e32 v15, v10, v14
	global_load_b32 v24, v11, s[20:21] scale_offset
	v_fma_f32 v9, v10, v14, -v15
	v_fmac_f32_e32 v9, v18, v14
	s_wait_xcnt 0x0
	s_delay_alu instid0(VALU_DEP_1) | instskip(NEXT) | instid1(VALU_DEP_1)
	v_add_f32_e32 v11, v15, v9
	v_sub_f32_e32 v14, v11, v15
	v_add_f32_e32 v15, 0x3f2aaaaa, v11
	s_delay_alu instid0(VALU_DEP_1) | instskip(SKIP_1) | instid1(VALU_DEP_2)
	v_dual_sub_f32 v9, v9, v14 :: v_dual_add_f32 v14, 0xbf2aaaaa, v15
	v_frexp_exp_i32_f64_e32 v19, v[12:13]
	v_add_f32_e32 v9, 0x31739010, v9
	s_delay_alu instid0(VALU_DEP_3) | instskip(NEXT) | instid1(VALU_DEP_1)
	v_sub_f32_e32 v11, v11, v14
	v_pk_mul_f32 v[12:13], v[8:9], v[10:11]
	s_delay_alu instid0(VALU_DEP_1) | instskip(NEXT) | instid1(VALU_DEP_1)
	v_fma_f32 v14, v10, v8, -v12
	v_fmac_f32_e32 v14, v10, v20
	s_delay_alu instid0(VALU_DEP_1) | instskip(SKIP_1) | instid1(VALU_DEP_1)
	v_fmac_f32_e32 v14, v18, v8
	v_pk_add_f32 v[16:17], v[8:9], v[10:11]
	v_mov_b32_e32 v13, v17
	v_subrev_co_ci_u32_e64 v9, null, 0, v19, vcc_lo
	s_delay_alu instid0(VALU_DEP_2) | instskip(NEXT) | instid1(VALU_DEP_2)
	v_pk_add_f32 v[10:11], v[12:13], v[14:15]
	v_cvt_f32_i32_e32 v9, v9
	s_delay_alu instid0(VALU_DEP_2) | instskip(NEXT) | instid1(VALU_DEP_3)
	v_mov_b32_e32 v16, v11
	v_dual_sub_f32 v13, v15, v11 :: v_dual_sub_f32 v15, v10, v12
	s_delay_alu instid0(VALU_DEP_2) | instskip(NEXT) | instid1(VALU_DEP_2)
	v_pk_mul_f32 v[18:19], v[10:11], v[16:17]
	v_sub_f32_e32 v14, v14, v15
	s_delay_alu instid0(VALU_DEP_2) | instskip(NEXT) | instid1(VALU_DEP_1)
	v_dual_fma_f32 v12, v10, v11, -v18 :: v_dual_add_f32 v13, v17, v13
	v_fmac_f32_e32 v12, v10, v13
	s_delay_alu instid0(VALU_DEP_1) | instskip(SKIP_2) | instid1(VALU_DEP_3)
	v_fmac_f32_e32 v12, v14, v11
	v_mul_f32_e32 v16, 0x3f317218, v9
	v_ldexp_f32 v11, v8, 1
	v_add_f32_e32 v17, v18, v12
	s_delay_alu instid0(VALU_DEP_3) | instskip(NEXT) | instid1(VALU_DEP_2)
	v_fma_f32 v10, 0x3f317218, v9, -v16
	v_dual_mov_b32 v19, v11 :: v_dual_mov_b32 v14, v17
	s_delay_alu instid0(VALU_DEP_2) | instskip(NEXT) | instid1(VALU_DEP_1)
	v_fmamk_f32 v10, v9, 0xb102e308, v10
	v_pk_add_f32 v[8:9], v[16:17], v[10:11]
	v_ldexp_f32 v11, v20, 1
	s_delay_alu instid0(VALU_DEP_2) | instskip(NEXT) | instid1(VALU_DEP_1)
	v_dual_mov_b32 v13, v17 :: v_dual_mov_b32 v15, v9
	v_pk_add_f32 v[14:15], v[14:15], v[18:19] neg_lo:[0,1] neg_hi:[0,1]
	s_delay_alu instid0(VALU_DEP_1) | instskip(NEXT) | instid1(VALU_DEP_1)
	v_pk_add_f32 v[12:13], v[12:13], v[14:15] neg_lo:[0,1] neg_hi:[0,1]
	v_add_f32_e32 v11, v11, v12
	s_delay_alu instid0(VALU_DEP_1) | instskip(NEXT) | instid1(VALU_DEP_1)
	v_dual_add_f32 v17, v11, v13 :: v_dual_mov_b32 v11, v8
	v_pk_add_f32 v[12:13], v[8:9], v[16:17]
	v_pk_add_f32 v[14:15], v[8:9], v[16:17] neg_lo:[0,1] neg_hi:[0,1]
	s_delay_alu instid0(VALU_DEP_2) | instskip(NEXT) | instid1(VALU_DEP_1)
	v_dual_mov_b32 v22, v9 :: v_dual_mov_b32 v15, v13
	v_pk_add_f32 v[18:19], v[10:11], v[14:15]
	s_delay_alu instid0(VALU_DEP_1) | instskip(SKIP_1) | instid1(VALU_DEP_2)
	v_dual_mov_b32 v18, v13 :: v_dual_mov_b32 v16, v19
	v_pk_add_f32 v[10:11], v[10:11], v[14:15] neg_lo:[0,1] neg_hi:[0,1]
	v_pk_add_f32 v[20:21], v[16:17], v[8:9] neg_lo:[0,1] neg_hi:[0,1]
	v_dual_mov_b32 v9, v8 :: v_dual_mov_b32 v8, v17
	s_delay_alu instid0(VALU_DEP_2) | instskip(NEXT) | instid1(VALU_DEP_1)
	v_dual_mov_b32 v17, v20 :: v_dual_mov_b32 v23, v20
	v_pk_add_f32 v[12:13], v[12:13], v[16:17] neg_lo:[0,1] neg_hi:[0,1]
	s_delay_alu instid0(VALU_DEP_2) | instskip(SKIP_1) | instid1(VALU_DEP_2)
	v_pk_add_f32 v[14:15], v[18:19], v[22:23] neg_lo:[0,1] neg_hi:[0,1]
	v_mov_b32_e32 v12, v10
	v_pk_add_f32 v[8:9], v[8:9], v[14:15] neg_lo:[0,1] neg_hi:[0,1]
	s_delay_alu instid0(VALU_DEP_1) | instskip(NEXT) | instid1(VALU_DEP_1)
	v_pk_add_f32 v[12:13], v[12:13], v[8:9]
	v_mov_b32_e32 v14, v13
	s_delay_alu instid0(VALU_DEP_1) | instskip(NEXT) | instid1(VALU_DEP_1)
	v_pk_add_f32 v[14:15], v[12:13], v[14:15]
	v_pk_add_f32 v[16:17], v[16:17], v[14:15]
	s_delay_alu instid0(VALU_DEP_1) | instskip(NEXT) | instid1(VALU_DEP_1)
	v_dual_mov_b32 v11, v19 :: v_dual_mov_b32 v13, v16
	v_pk_add_f32 v[18:19], v[12:13], v[10:11] neg_lo:[0,1] neg_hi:[0,1]
	s_delay_alu instid0(VALU_DEP_1) | instskip(NEXT) | instid1(VALU_DEP_1)
	v_dual_mov_b32 v9, v14 :: v_dual_sub_f32 v11, v12, v18
	v_pk_add_f32 v[8:9], v[8:9], v[18:19] neg_lo:[0,1] neg_hi:[0,1]
	s_delay_alu instid0(VALU_DEP_2) | instskip(NEXT) | instid1(VALU_DEP_1)
	v_sub_f32_e32 v10, v10, v11
	v_add_f32_e32 v8, v8, v10
	s_delay_alu instid0(VALU_DEP_1) | instskip(NEXT) | instid1(VALU_DEP_1)
	v_add_f32_e32 v8, v8, v9
	v_add_f32_e32 v9, v16, v8
	s_delay_alu instid0(VALU_DEP_1) | instskip(NEXT) | instid1(VALU_DEP_1)
	v_dual_sub_f32 v10, v9, v16 :: v_dual_mul_f32 v11, v7, v9
	v_sub_f32_e32 v8, v8, v10
	s_delay_alu instid0(VALU_DEP_2) | instskip(SKIP_1) | instid1(VALU_DEP_1)
	v_cmp_class_f32_e64 vcc_lo, v11, 0x204
	v_fma_f32 v9, v7, v9, -v11
	v_fmac_f32_e32 v9, v7, v8
	s_delay_alu instid0(VALU_DEP_1) | instskip(NEXT) | instid1(VALU_DEP_1)
	v_add_f32_e32 v8, v11, v9
	v_cndmask_b32_e32 v10, v8, v11, vcc_lo
	s_delay_alu instid0(VALU_DEP_1) | instskip(SKIP_2) | instid1(VALU_DEP_2)
	v_cmp_eq_f32_e32 vcc_lo, 0x42b17218, v10
	v_cndmask_b32_e64 v12, 0, 0x37000000, vcc_lo
	v_cmp_neq_f32_e64 vcc_lo, 0x7f800000, |v10|
	v_dual_sub_f32 v13, v10, v12 :: v_dual_sub_f32 v8, v8, v11
	v_trunc_f32_e32 v10, v7
	s_delay_alu instid0(VALU_DEP_2) | instskip(NEXT) | instid1(VALU_DEP_1)
	v_mul_f32_e32 v14, 0x3fb8aa3b, v13
	v_fma_f32 v15, 0x3fb8aa3b, v13, -v14
	v_rndne_f32_e32 v16, v14
	s_delay_alu instid0(VALU_DEP_1) | instskip(NEXT) | instid1(VALU_DEP_1)
	v_dual_fmamk_f32 v15, v13, 0x32a5705f, v15 :: v_dual_sub_f32 v14, v14, v16
	v_dual_add_f32 v14, v14, v15 :: v_dual_sub_f32 v8, v9, v8
	s_delay_alu instid0(VALU_DEP_1)
	v_exp_f32_e32 v11, v14
	v_nop
	v_cvt_i32_f32_e32 v14, v16
	s_delay_alu instid0(TRANS32_DEP_1) | instid1(VALU_DEP_1)
	v_ldexp_f32 v9, v11, v14
	v_dual_mul_f32 v11, 0.5, v7 :: v_dual_cndmask_b32 v8, 0, v8
	v_cmp_ngt_f32_e32 vcc_lo, 0xc2ce8ed0, v13
	s_delay_alu instid0(VALU_DEP_2) | instskip(NEXT) | instid1(VALU_DEP_4)
	v_trunc_f32_e32 v14, v11
	v_cndmask_b32_e32 v9, 0, v9, vcc_lo
	v_cmp_nlt_f32_e32 vcc_lo, 0x42b17218, v13
	s_delay_alu instid0(VALU_DEP_3) | instskip(NEXT) | instid1(VALU_DEP_3)
	v_cmp_neq_f32_e64 s0, v14, v11
	v_cndmask_b32_e32 v9, 0x7f800000, v9, vcc_lo
	v_cmp_eq_f32_e32 vcc_lo, v10, v7
	s_delay_alu instid0(VALU_DEP_2) | instskip(SKIP_1) | instid1(SALU_CYCLE_1)
	v_cmp_class_f32_e64 s1, v9, 0x204
	s_and_b32 s0, vcc_lo, s0
	v_dual_cndmask_b32 v10, 1.0, v6, s0 :: v_dual_add_f32 v8, v12, v8
	s_delay_alu instid0(VALU_DEP_1) | instskip(NEXT) | instid1(VALU_DEP_1)
	v_fma_f32 v8, v9, v8, v9
	v_cndmask_b32_e64 v8, v8, v9, s1
	v_cndmask_b32_e64 v9, 0x7f800000, 0, s22
	v_cmp_gt_f32_e64 s1, 0, v7
	s_delay_alu instid0(VALU_DEP_3) | instskip(SKIP_1) | instid1(SALU_CYCLE_1)
	v_bfi_b32 v8, 0x7fffffff, v8, v10
	s_xor_b32 s1, s1, s2
	v_cndmask_b32_e64 v11, 0x7f800000, 0, s1
	s_delay_alu instid0(VALU_DEP_2) | instskip(SKIP_3) | instid1(VALU_DEP_4)
	v_cndmask_b32_e32 v10, 0x7fc00000, v8, vcc_lo
	v_cmp_neq_f32_e64 vcc_lo, |v6|, 1.0
	v_cndmask_b32_e32 v9, 1.0, v9, vcc_lo
	v_cmp_gt_f32_e32 vcc_lo, 0, v6
	v_cndmask_b32_e32 v8, v8, v10, vcc_lo
	v_cndmask_b32_e64 v10, 0, v6, s0
	v_cmp_class_f32_e64 vcc_lo, v7, 0x204
	v_cmp_class_f32_e64 s0, v6, 0x204
	s_delay_alu instid0(VALU_DEP_4) | instskip(NEXT) | instid1(VALU_DEP_4)
	v_cndmask_b32_e32 v7, v8, v9, vcc_lo
	v_bfi_b32 v8, 0x7fffffff, v11, v10
	s_or_b32 vcc_lo, s2, s0
	s_delay_alu instid0(VALU_DEP_1) | instskip(SKIP_3) | instid1(VALU_DEP_3)
	v_cndmask_b32_e32 v7, v7, v8, vcc_lo
	v_cmp_o_f32_e32 vcc_lo, v6, v6
	s_wait_loadcnt 0x0
	v_cvt_f32_i32_e32 v8, v24
	v_cndmask_b32_e32 v6, 0x7fc00000, v7, vcc_lo
	s_delay_alu instid0(VALU_DEP_1)
	v_mul_f32_e32 v6, v6, v8
.LBB28_14:
	s_or_b32 exec_lo, exec_lo, s19
.LBB28_15:
	s_and_not1_saveexec_b32 s7, s7
	s_cbranch_execz .LBB28_17
; %bb.16:
	v_cvt_f32_i32_e32 v6, v4
	s_cmp_neq_f32 s5, 1.0
	s_mov_b32 s0, 0x3e76c4e1
	global_load_b32 v24, v3, s[20:21] scale_offset
	s_cselect_b32 vcc_lo, -1, 0
	v_mul_f32_e32 v6, 0.5, v6
	s_delay_alu instid0(VALU_DEP_1) | instskip(NEXT) | instid1(VALU_DEP_1)
	v_cndmask_b32_e32 v7, 1.0, v6, vcc_lo
	v_cmp_neq_f32_e32 vcc_lo, 0, v7
	v_cndmask_b32_e64 v6, 1.0, s5, vcc_lo
	s_delay_alu instid0(VALU_DEP_1) | instskip(SKIP_2) | instid1(VALU_DEP_3)
	v_frexp_mant_f32_e64 v8, |v6|
	v_cmp_lt_f32_e64 s22, |v6|, 1.0
	v_cmp_eq_f32_e64 s2, 0, v6
	v_cmp_gt_f32_e32 vcc_lo, 0x3f2aaaab, v8
	v_cndmask_b32_e64 v9, 1.0, 2.0, vcc_lo
	s_delay_alu instid0(VALU_DEP_1) | instskip(NEXT) | instid1(VALU_DEP_1)
	v_mul_f32_e32 v8, v8, v9
	v_dual_add_f32 v11, 1.0, v8 :: v_dual_add_f32 v9, -1.0, v8
	v_cmp_neq_f32_e64 s19, v7, |v7|
	s_delay_alu instid0(VALU_DEP_2)
	v_rcp_f32_e32 v14, v11
	v_add_f32_e32 v12, -1.0, v11
	s_xor_b32 s19, s19, s22
	s_delay_alu instid0(TRANS32_DEP_1) | instid1(VALU_DEP_1)
	v_dual_sub_f32 v8, v8, v12 :: v_dual_mul_f32 v15, v9, v14
	s_delay_alu instid0(VALU_DEP_1) | instskip(NEXT) | instid1(VALU_DEP_1)
	v_mul_f32_e32 v10, v11, v15
	v_fma_f32 v12, v15, v11, -v10
	s_delay_alu instid0(VALU_DEP_1) | instskip(NEXT) | instid1(VALU_DEP_1)
	v_fmac_f32_e32 v12, v15, v8
	v_add_f32_e32 v8, v10, v12
	s_delay_alu instid0(VALU_DEP_1) | instskip(NEXT) | instid1(VALU_DEP_1)
	v_dual_sub_f32 v11, v9, v8 :: v_dual_mov_b32 v13, v8
	v_pk_add_f32 v[8:9], v[8:9], v[10:11] neg_lo:[0,1] neg_hi:[0,1]
	s_delay_alu instid0(VALU_DEP_1) | instskip(NEXT) | instid1(VALU_DEP_1)
	v_pk_add_f32 v[8:9], v[8:9], v[12:13] neg_lo:[0,1] neg_hi:[0,1]
	v_add_f32_e32 v8, v8, v9
	s_delay_alu instid0(VALU_DEP_1) | instskip(NEXT) | instid1(VALU_DEP_1)
	v_add_f32_e32 v8, v11, v8
	v_mul_f32_e32 v9, v14, v8
	s_delay_alu instid0(VALU_DEP_1) | instskip(NEXT) | instid1(VALU_DEP_1)
	v_add_f32_e32 v8, v15, v9
	v_sub_f32_e32 v10, v8, v15
	s_delay_alu instid0(VALU_DEP_1) | instskip(NEXT) | instid1(VALU_DEP_1)
	v_sub_f32_e32 v20, v9, v10
	v_add_f32_e32 v10, v20, v20
	v_mul_f32_e32 v11, v8, v8
	s_delay_alu instid0(VALU_DEP_1) | instskip(NEXT) | instid1(VALU_DEP_1)
	v_fma_f32 v9, v8, v8, -v11
	v_fmac_f32_e32 v9, v8, v10
	s_delay_alu instid0(VALU_DEP_1) | instskip(NEXT) | instid1(VALU_DEP_1)
	v_add_f32_e32 v10, v11, v9
	v_dual_fmaak_f32 v12, s0, v10, 0x3e91f4c4 :: v_dual_sub_f32 v11, v10, v11
	s_delay_alu instid0(VALU_DEP_1) | instskip(SKIP_1) | instid1(VALU_DEP_2)
	v_fmaak_f32 v14, v10, v12, 0x3ecccdef
	v_cvt_f64_f32_e64 v[12:13], |v6|
	v_dual_sub_f32 v18, v9, v11 :: v_dual_mul_f32 v15, v10, v14
	s_delay_alu instid0(VALU_DEP_1) | instskip(NEXT) | instid1(VALU_DEP_1)
	v_fma_f32 v9, v10, v14, -v15
	v_fmac_f32_e32 v9, v18, v14
	s_delay_alu instid0(VALU_DEP_1) | instskip(NEXT) | instid1(VALU_DEP_1)
	v_add_f32_e32 v11, v15, v9
	v_sub_f32_e32 v14, v11, v15
	v_add_f32_e32 v15, 0x3f2aaaaa, v11
	s_delay_alu instid0(VALU_DEP_1) | instskip(SKIP_1) | instid1(VALU_DEP_2)
	v_dual_sub_f32 v9, v9, v14 :: v_dual_add_f32 v14, 0xbf2aaaaa, v15
	v_frexp_exp_i32_f64_e32 v19, v[12:13]
	v_sub_f32_e32 v11, v11, v14
	s_delay_alu instid0(VALU_DEP_3) | instskip(NEXT) | instid1(VALU_DEP_1)
	v_add_f32_e32 v9, 0x31739010, v9
	v_pk_mul_f32 v[12:13], v[8:9], v[10:11]
	s_delay_alu instid0(VALU_DEP_1) | instskip(NEXT) | instid1(VALU_DEP_1)
	v_fma_f32 v14, v10, v8, -v12
	v_fmac_f32_e32 v14, v10, v20
	s_delay_alu instid0(VALU_DEP_1) | instskip(SKIP_1) | instid1(VALU_DEP_1)
	v_fmac_f32_e32 v14, v18, v8
	v_pk_add_f32 v[16:17], v[8:9], v[10:11]
	v_mov_b32_e32 v13, v17
	v_subrev_co_ci_u32_e64 v9, null, 0, v19, vcc_lo
	s_delay_alu instid0(VALU_DEP_2) | instskip(NEXT) | instid1(VALU_DEP_2)
	v_pk_add_f32 v[10:11], v[12:13], v[14:15]
	v_cvt_f32_i32_e32 v9, v9
	s_delay_alu instid0(VALU_DEP_2) | instskip(NEXT) | instid1(VALU_DEP_3)
	v_mov_b32_e32 v16, v11
	v_dual_sub_f32 v13, v15, v11 :: v_dual_sub_f32 v15, v10, v12
	s_delay_alu instid0(VALU_DEP_2) | instskip(NEXT) | instid1(VALU_DEP_2)
	v_pk_mul_f32 v[18:19], v[10:11], v[16:17]
	v_dual_add_f32 v13, v17, v13 :: v_dual_sub_f32 v14, v14, v15
	s_delay_alu instid0(VALU_DEP_2) | instskip(NEXT) | instid1(VALU_DEP_1)
	v_fma_f32 v12, v10, v11, -v18
	v_fmac_f32_e32 v12, v10, v13
	s_delay_alu instid0(VALU_DEP_1) | instskip(SKIP_2) | instid1(VALU_DEP_3)
	v_fmac_f32_e32 v12, v14, v11
	v_mul_f32_e32 v16, 0x3f317218, v9
	v_ldexp_f32 v11, v8, 1
	v_add_f32_e32 v17, v18, v12
	s_delay_alu instid0(VALU_DEP_3) | instskip(NEXT) | instid1(VALU_DEP_2)
	v_fma_f32 v10, 0x3f317218, v9, -v16
	v_dual_mov_b32 v19, v11 :: v_dual_mov_b32 v14, v17
	s_delay_alu instid0(VALU_DEP_2) | instskip(NEXT) | instid1(VALU_DEP_1)
	v_fmamk_f32 v10, v9, 0xb102e308, v10
	v_pk_add_f32 v[8:9], v[16:17], v[10:11]
	v_mov_b32_e32 v13, v17
	v_ldexp_f32 v11, v20, 1
	s_delay_alu instid0(VALU_DEP_3) | instskip(NEXT) | instid1(VALU_DEP_1)
	v_dual_mov_b32 v15, v9 :: v_dual_mov_b32 v22, v9
	v_pk_add_f32 v[14:15], v[14:15], v[18:19] neg_lo:[0,1] neg_hi:[0,1]
	s_delay_alu instid0(VALU_DEP_1) | instskip(NEXT) | instid1(VALU_DEP_1)
	v_pk_add_f32 v[12:13], v[12:13], v[14:15] neg_lo:[0,1] neg_hi:[0,1]
	v_add_f32_e32 v11, v11, v12
	s_delay_alu instid0(VALU_DEP_1) | instskip(NEXT) | instid1(VALU_DEP_1)
	v_dual_add_f32 v17, v11, v13 :: v_dual_mov_b32 v11, v8
	v_pk_add_f32 v[12:13], v[8:9], v[16:17]
	v_pk_add_f32 v[14:15], v[8:9], v[16:17] neg_lo:[0,1] neg_hi:[0,1]
	s_delay_alu instid0(VALU_DEP_2) | instskip(NEXT) | instid1(VALU_DEP_1)
	v_mov_b32_e32 v15, v13
	v_pk_add_f32 v[18:19], v[10:11], v[14:15]
	v_pk_add_f32 v[10:11], v[10:11], v[14:15] neg_lo:[0,1] neg_hi:[0,1]
	s_delay_alu instid0(VALU_DEP_2) | instskip(NEXT) | instid1(VALU_DEP_1)
	v_dual_mov_b32 v16, v19 :: v_dual_mov_b32 v11, v19
	v_pk_add_f32 v[20:21], v[16:17], v[8:9] neg_lo:[0,1] neg_hi:[0,1]
	v_dual_mov_b32 v18, v13 :: v_dual_mov_b32 v9, v8
	s_delay_alu instid0(VALU_DEP_2) | instskip(SKIP_1) | instid1(VALU_DEP_2)
	v_dual_mov_b32 v8, v17 :: v_dual_mov_b32 v23, v20
	v_mov_b32_e32 v17, v20
	v_pk_add_f32 v[14:15], v[18:19], v[22:23] neg_lo:[0,1] neg_hi:[0,1]
	s_delay_alu instid0(VALU_DEP_2) | instskip(SKIP_1) | instid1(VALU_DEP_3)
	v_pk_add_f32 v[12:13], v[12:13], v[16:17] neg_lo:[0,1] neg_hi:[0,1]
	v_mov_b32_e32 v12, v10
	v_pk_add_f32 v[8:9], v[8:9], v[14:15] neg_lo:[0,1] neg_hi:[0,1]
	s_delay_alu instid0(VALU_DEP_1) | instskip(NEXT) | instid1(VALU_DEP_1)
	v_pk_add_f32 v[12:13], v[12:13], v[8:9]
	v_mov_b32_e32 v14, v13
	s_delay_alu instid0(VALU_DEP_1) | instskip(NEXT) | instid1(VALU_DEP_1)
	v_pk_add_f32 v[14:15], v[12:13], v[14:15]
	v_pk_add_f32 v[16:17], v[16:17], v[14:15]
	s_delay_alu instid0(VALU_DEP_1) | instskip(NEXT) | instid1(VALU_DEP_1)
	v_dual_mov_b32 v9, v14 :: v_dual_mov_b32 v13, v16
	v_pk_add_f32 v[18:19], v[12:13], v[10:11] neg_lo:[0,1] neg_hi:[0,1]
	s_delay_alu instid0(VALU_DEP_1) | instskip(NEXT) | instid1(VALU_DEP_2)
	v_sub_f32_e32 v11, v12, v18
	v_pk_add_f32 v[8:9], v[8:9], v[18:19] neg_lo:[0,1] neg_hi:[0,1]
	s_delay_alu instid0(VALU_DEP_2) | instskip(NEXT) | instid1(VALU_DEP_1)
	v_sub_f32_e32 v10, v10, v11
	v_add_f32_e32 v8, v8, v10
	s_delay_alu instid0(VALU_DEP_1) | instskip(NEXT) | instid1(VALU_DEP_1)
	v_add_f32_e32 v8, v8, v9
	v_add_f32_e32 v9, v16, v8
	s_delay_alu instid0(VALU_DEP_1) | instskip(NEXT) | instid1(VALU_DEP_1)
	v_dual_sub_f32 v10, v9, v16 :: v_dual_mul_f32 v11, v7, v9
	v_dual_sub_f32 v8, v8, v10 :: v_dual_fma_f32 v9, v7, v9, -v11
	v_cmp_class_f32_e64 vcc_lo, v11, 0x204
	s_delay_alu instid0(VALU_DEP_2) | instskip(NEXT) | instid1(VALU_DEP_1)
	v_fmac_f32_e32 v9, v7, v8
	v_add_f32_e32 v8, v11, v9
	s_delay_alu instid0(VALU_DEP_1) | instskip(NEXT) | instid1(VALU_DEP_1)
	v_cndmask_b32_e32 v10, v8, v11, vcc_lo
	v_cmp_eq_f32_e32 vcc_lo, 0x42b17218, v10
	v_cndmask_b32_e64 v12, 0, 0x37000000, vcc_lo
	v_cmp_neq_f32_e64 vcc_lo, 0x7f800000, |v10|
	s_delay_alu instid0(VALU_DEP_2) | instskip(SKIP_1) | instid1(VALU_DEP_2)
	v_dual_sub_f32 v13, v10, v12 :: v_dual_sub_f32 v8, v8, v11
	v_trunc_f32_e32 v10, v7
	v_mul_f32_e32 v14, 0x3fb8aa3b, v13
	s_delay_alu instid0(VALU_DEP_3) | instskip(NEXT) | instid1(VALU_DEP_2)
	v_sub_f32_e32 v8, v9, v8
	v_fma_f32 v15, 0x3fb8aa3b, v13, -v14
	v_rndne_f32_e32 v16, v14
	s_delay_alu instid0(VALU_DEP_3) | instskip(SKIP_1) | instid1(VALU_DEP_3)
	v_cndmask_b32_e32 v8, 0, v8, vcc_lo
	v_cmp_ngt_f32_e32 vcc_lo, 0xc2ce8ed0, v13
	v_dual_fmamk_f32 v15, v13, 0x32a5705f, v15 :: v_dual_sub_f32 v14, v14, v16
	s_delay_alu instid0(VALU_DEP_1) | instskip(NEXT) | instid1(VALU_DEP_1)
	v_add_f32_e32 v14, v14, v15
	v_exp_f32_e32 v11, v14
	v_nop
	v_cvt_i32_f32_e32 v14, v16
	s_delay_alu instid0(TRANS32_DEP_1) | instid1(VALU_DEP_1)
	v_ldexp_f32 v9, v11, v14
	s_delay_alu instid0(VALU_DEP_1) | instskip(NEXT) | instid1(VALU_DEP_1)
	v_dual_mul_f32 v11, 0.5, v7 :: v_dual_cndmask_b32 v9, 0, v9, vcc_lo
	v_trunc_f32_e32 v14, v11
	v_cmp_nlt_f32_e32 vcc_lo, 0x42b17218, v13
	v_add_f32_e32 v8, v12, v8
	s_delay_alu instid0(VALU_DEP_3) | instskip(SKIP_2) | instid1(VALU_DEP_2)
	v_cmp_neq_f32_e64 s0, v14, v11
	v_cndmask_b32_e32 v9, 0x7f800000, v9, vcc_lo
	v_cmp_eq_f32_e32 vcc_lo, v10, v7
	v_cmp_class_f32_e64 s1, v9, 0x204
	s_and_b32 s0, vcc_lo, s0
	s_delay_alu instid0(SALU_CYCLE_1) | instskip(NEXT) | instid1(VALU_DEP_1)
	v_dual_fma_f32 v8, v9, v8, v9 :: v_dual_cndmask_b32 v10, 1.0, v6, s0
	v_cndmask_b32_e64 v8, v8, v9, s1
	v_cndmask_b32_e64 v9, 0x7f800000, 0, s19
	v_cmp_gt_f32_e64 s1, 0, v7
	s_delay_alu instid0(VALU_DEP_3) | instskip(SKIP_1) | instid1(SALU_CYCLE_1)
	v_bfi_b32 v8, 0x7fffffff, v8, v10
	s_xor_b32 s1, s1, s2
	v_cndmask_b32_e64 v11, 0x7f800000, 0, s1
	s_delay_alu instid0(VALU_DEP_2) | instskip(SKIP_3) | instid1(VALU_DEP_4)
	v_cndmask_b32_e32 v10, 0x7fc00000, v8, vcc_lo
	v_cmp_neq_f32_e64 vcc_lo, |v6|, 1.0
	v_cndmask_b32_e32 v9, 1.0, v9, vcc_lo
	v_cmp_gt_f32_e32 vcc_lo, 0, v6
	v_cndmask_b32_e32 v8, v8, v10, vcc_lo
	v_cmp_class_f32_e64 vcc_lo, v7, 0x204
	v_cndmask_b32_e64 v10, 0, v6, s0
	v_cmp_class_f32_e64 s0, v6, 0x204
	s_delay_alu instid0(VALU_DEP_4) | instskip(NEXT) | instid1(VALU_DEP_3)
	v_cndmask_b32_e32 v7, v8, v9, vcc_lo
	v_bfi_b32 v8, 0x7fffffff, v11, v10
	s_or_b32 vcc_lo, s2, s0
	s_delay_alu instid0(VALU_DEP_1) | instskip(SKIP_3) | instid1(VALU_DEP_3)
	v_cndmask_b32_e32 v7, v7, v8, vcc_lo
	v_cmp_o_f32_e32 vcc_lo, v6, v6
	s_wait_loadcnt 0x0
	v_cvt_f32_i32_e32 v8, v24
	v_cndmask_b32_e32 v6, 0x7fc00000, v7, vcc_lo
	s_delay_alu instid0(VALU_DEP_1)
	v_mul_f32_e32 v6, v6, v8
.LBB28_17:
	s_wait_xcnt 0x0
	s_or_b32 exec_lo, exec_lo, s7
	s_cbranch_execz .LBB28_21
; %bb.18:
	s_delay_alu instid0(VALU_DEP_1)
	v_mul_f32_e32 v4, s8, v6
	s_cmp_eq_f32 s9, 0
	s_cbranch_scc1 .LBB28_34
.LBB28_19:
	v_cvt_f32_i32_e32 v1, v1
	s_sub_f32 s0, s4, s11
	v_div_scale_f32 v5, null, s8, s8, 1.0
	s_delay_alu instid0(SALU_CYCLE_2) | instskip(SKIP_4) | instid1(VALU_DEP_3)
	s_max_num_f32 s1, s0, 0x3a83126f
	v_subrev_f32_e32 v1, s11, v1
	v_rcp_f32_e32 v8, v5
	v_nop
	v_xor_b32_e32 v5, 0x80000000, v5
	v_div_scale_f32 v3, null, s1, s1, v1
	s_delay_alu instid0(TRANS32_DEP_1) | instid1(VALU_DEP_2)
	v_fma_f32 v10, v5, v8, 1.0
	s_delay_alu instid0(VALU_DEP_2) | instskip(SKIP_1) | instid1(TRANS32_DEP_1)
	v_rcp_f32_e32 v7, v3
	v_nop
	v_fma_f32 v9, -v3, v7, 1.0
	s_delay_alu instid0(VALU_DEP_1) | instskip(SKIP_2) | instid1(VALU_DEP_2)
	v_fmac_f32_e32 v7, v9, v7
	v_div_scale_f32 v11, vcc_lo, v1, s1, v1
	v_div_scale_f32 v9, s0, 1.0, s8, 1.0
	v_dual_fmac_f32 v8, v10, v8 :: v_dual_mul_f32 v10, v11, v7
	s_delay_alu instid0(VALU_DEP_1) | instskip(NEXT) | instid1(VALU_DEP_1)
	v_dual_mul_f32 v12, v9, v8 :: v_dual_fma_f32 v13, -v3, v10, v11
	v_fmac_f32_e32 v10, v13, v7
	s_delay_alu instid0(VALU_DEP_1) | instskip(NEXT) | instid1(VALU_DEP_1)
	v_dual_fma_f32 v14, v5, v12, v9 :: v_dual_fma_f32 v3, -v3, v10, v11
	v_fmac_f32_e32 v12, v14, v8
	s_delay_alu instid0(VALU_DEP_2) | instskip(NEXT) | instid1(VALU_DEP_2)
	v_div_fmas_f32 v3, v3, v7, v10
	v_fmac_f32_e32 v9, v5, v12
	s_mov_b32 vcc_lo, s0
	s_delay_alu instid0(VALU_DEP_2) | instskip(NEXT) | instid1(VALU_DEP_2)
	v_div_fixup_f32 v1, v3, s1, v1 clamp
	v_div_fmas_f32 v5, v9, v8, v12
	s_delay_alu instid0(VALU_DEP_1) | instskip(NEXT) | instid1(VALU_DEP_1)
	v_div_fixup_f32 v5, v5, s8, 1.0
	v_readfirstlane_b32 s0, v5
	s_cmp_lt_f32 s0, 0x800000
	s_cselect_b32 s0, 0x4f800000, 1.0
	s_delay_alu instid0(SALU_CYCLE_1) | instskip(SKIP_1) | instid1(VALU_DEP_1)
	v_mul_f32_e32 v5, s0, v5
	s_cselect_b32 s0, 0x41b17218, 0
	v_log_f32_e32 v5, v5
	v_nop
	s_delay_alu instid0(TRANS32_DEP_1) | instskip(SKIP_1) | instid1(VALU_DEP_2)
	v_mul_f32_e32 v7, 0x3f317217, v5
	v_and_b32_e32 v3, 0x7fffffff, v5
	v_xor_b32_e32 v7, 0x80000000, v7
	s_delay_alu instid0(VALU_DEP_2) | instskip(NEXT) | instid1(VALU_DEP_2)
	v_cmp_gt_f32_e32 vcc_lo, 0x7f800000, v3
	v_fmac_f32_e32 v7, 0x3f317217, v5
	s_delay_alu instid0(VALU_DEP_1) | instskip(NEXT) | instid1(VALU_DEP_1)
	v_fmamk_f32 v7, v5, 0x3377d1cf, v7
	v_fmac_f32_e32 v7, 0x3f317217, v5
	s_delay_alu instid0(VALU_DEP_1) | instskip(NEXT) | instid1(VALU_DEP_1)
	v_dual_sub_f32 v1, 1.0, v1 :: v_dual_cndmask_b32 v3, v5, v7, vcc_lo
	v_fma_f32 v5, -s9, v1, 1.0
	s_delay_alu instid0(VALU_DEP_2) | instskip(NEXT) | instid1(VALU_DEP_1)
	v_dual_mov_b32 v7, 1.0 :: v_dual_subrev_f32 v3, s0, v3
	v_dual_mul_f32 v4, v5, v4 :: v_dual_fmamk_f32 v3, v3, 0x3dcccccd, v7
	s_delay_alu instid0(VALU_DEP_1) | instskip(NEXT) | instid1(VALU_DEP_1)
	v_dual_mul_f32 v1, s9, v1 :: v_dual_mul_f32 v5, s10, v3
	v_fmac_f32_e32 v4, v1, v6
	s_branch .LBB28_35
.LBB28_20:
                                        ; implicit-def: $vgpr6
.LBB28_21:
	s_delay_alu instid0(VALU_DEP_1) | instskip(SKIP_1) | instid1(SALU_CYCLE_1)
	v_mul_hi_i32 v6, 0x55555556, v5
	s_mul_i32 s0, s17, 3
	v_cmp_le_i32_e64 s0, s0, v5
	s_delay_alu instid0(VALU_DEP_2) | instskip(NEXT) | instid1(VALU_DEP_1)
	v_lshrrev_b32_e32 v7, 31, v6
	v_add_nc_u32_e32 v6, v6, v7
	s_delay_alu instid0(VALU_DEP_1) | instskip(NEXT) | instid1(VALU_DEP_1)
	v_lshl_add_u32 v6, v6, 1, v6
	v_sub_nc_u32_e32 v7, v5, v6
                                        ; implicit-def: $vgpr6
	s_delay_alu instid0(VALU_DEP_1) | instskip(SKIP_1) | instid1(SALU_CYCLE_1)
	v_cmp_ne_u32_e32 vcc_lo, 1, v7
	s_or_b32 s0, vcc_lo, s0
	s_and_saveexec_b32 s1, s0
	s_delay_alu instid0(SALU_CYCLE_1)
	s_xor_b32 s7, exec_lo, s1
	s_cbranch_execz .LBB28_31
; %bb.22:
	s_mul_i32 s0, s18, 3
	v_cmp_ne_u32_e32 vcc_lo, 2, v7
	v_cmp_le_i32_e64 s0, s0, v5
                                        ; implicit-def: $vgpr6
	s_or_b32 s0, vcc_lo, s0
	s_delay_alu instid0(SALU_CYCLE_1) | instskip(NEXT) | instid1(SALU_CYCLE_1)
	s_and_saveexec_b32 s1, s0
	s_xor_b32 s17, exec_lo, s1
	s_cbranch_execz .LBB28_28
; %bb.23:
	s_mul_i32 s0, s16, 3
	v_cmp_ne_u32_e32 vcc_lo, 0, v7
	v_cmp_le_i32_e64 s0, s0, v5
                                        ; implicit-def: $vgpr6
	s_or_b32 s0, vcc_lo, s0
	s_delay_alu instid0(SALU_CYCLE_1) | instskip(NEXT) | instid1(SALU_CYCLE_1)
	s_and_saveexec_b32 s1, s0
	s_xor_b32 s16, exec_lo, s1
	s_cbranch_execz .LBB28_25
; %bb.24:
	v_cvt_f32_i32_e32 v4, v4
	s_cmp_neq_f32 s5, 1.0
	s_mov_b32 s0, 0x3e76c4e1
	v_mad_u32 v3, s6, 3, v3
	s_cselect_b32 vcc_lo, -1, 0
	v_mul_f32_e32 v4, 0.5, v4
	s_delay_alu instid0(VALU_DEP_1) | instskip(SKIP_3) | instid1(VALU_DEP_1)
	v_cndmask_b32_e32 v5, 1.0, v4, vcc_lo
	global_load_b32 v22, v3, s[20:21] scale_offset
	v_cmp_neq_f32_e32 vcc_lo, 0, v5
	v_cndmask_b32_e64 v4, 1.0, s5, vcc_lo
	v_frexp_mant_f32_e64 v6, |v4|
	v_cmp_lt_f32_e64 s19, |v4|, 1.0
	v_cmp_eq_f32_e64 s2, 0, v4
	s_delay_alu instid0(VALU_DEP_3) | instskip(SKIP_1) | instid1(VALU_DEP_1)
	v_cmp_gt_f32_e32 vcc_lo, 0x3f2aaaab, v6
	v_cndmask_b32_e64 v7, 1.0, 2.0, vcc_lo
	v_mul_f32_e32 v6, v6, v7
	s_delay_alu instid0(VALU_DEP_1) | instskip(SKIP_1) | instid1(VALU_DEP_2)
	v_dual_add_f32 v9, 1.0, v6 :: v_dual_add_f32 v7, -1.0, v6
	v_cmp_neq_f32_e64 s18, v5, |v5|
	v_rcp_f32_e32 v12, v9
	v_add_f32_e32 v10, -1.0, v9
	s_xor_b32 s18, s18, s19
	s_delay_alu instid0(TRANS32_DEP_1) | instid1(VALU_DEP_1)
	v_dual_sub_f32 v6, v6, v10 :: v_dual_mul_f32 v13, v7, v12
	s_delay_alu instid0(VALU_DEP_1) | instskip(NEXT) | instid1(VALU_DEP_1)
	v_mul_f32_e32 v8, v9, v13
	v_fma_f32 v10, v13, v9, -v8
	s_delay_alu instid0(VALU_DEP_1) | instskip(NEXT) | instid1(VALU_DEP_1)
	v_fmac_f32_e32 v10, v13, v6
	v_add_f32_e32 v6, v8, v10
	s_delay_alu instid0(VALU_DEP_1) | instskip(NEXT) | instid1(VALU_DEP_1)
	v_dual_sub_f32 v9, v7, v6 :: v_dual_mov_b32 v11, v6
	v_pk_add_f32 v[6:7], v[6:7], v[8:9] neg_lo:[0,1] neg_hi:[0,1]
	s_delay_alu instid0(VALU_DEP_1) | instskip(NEXT) | instid1(VALU_DEP_1)
	v_pk_add_f32 v[6:7], v[6:7], v[10:11] neg_lo:[0,1] neg_hi:[0,1]
	v_add_f32_e32 v6, v6, v7
	s_delay_alu instid0(VALU_DEP_1) | instskip(NEXT) | instid1(VALU_DEP_1)
	v_add_f32_e32 v6, v9, v6
	v_mul_f32_e32 v7, v12, v6
	s_delay_alu instid0(VALU_DEP_1) | instskip(NEXT) | instid1(VALU_DEP_1)
	v_add_f32_e32 v6, v13, v7
	v_sub_f32_e32 v8, v6, v13
	s_delay_alu instid0(VALU_DEP_1) | instskip(NEXT) | instid1(VALU_DEP_1)
	v_sub_f32_e32 v18, v7, v8
	v_add_f32_e32 v8, v18, v18
	v_mul_f32_e32 v9, v6, v6
	s_delay_alu instid0(VALU_DEP_1) | instskip(NEXT) | instid1(VALU_DEP_1)
	v_fma_f32 v7, v6, v6, -v9
	v_fmac_f32_e32 v7, v6, v8
	s_delay_alu instid0(VALU_DEP_1) | instskip(NEXT) | instid1(VALU_DEP_1)
	v_add_f32_e32 v8, v9, v7
	v_dual_fmaak_f32 v10, s0, v8, 0x3e91f4c4 :: v_dual_sub_f32 v9, v8, v9
	s_delay_alu instid0(VALU_DEP_1) | instskip(SKIP_1) | instid1(VALU_DEP_2)
	v_fmaak_f32 v12, v8, v10, 0x3ecccdef
	v_cvt_f64_f32_e64 v[10:11], |v4|
	v_dual_sub_f32 v16, v7, v9 :: v_dual_mul_f32 v13, v8, v12
	s_delay_alu instid0(VALU_DEP_1) | instskip(NEXT) | instid1(VALU_DEP_1)
	v_fma_f32 v7, v8, v12, -v13
	v_fmac_f32_e32 v7, v16, v12
	s_wait_xcnt 0x0
	s_delay_alu instid0(VALU_DEP_1) | instskip(NEXT) | instid1(VALU_DEP_1)
	v_add_f32_e32 v3, v13, v7
	v_sub_f32_e32 v9, v3, v13
	v_add_f32_e32 v13, 0x3f2aaaaa, v3
	s_delay_alu instid0(VALU_DEP_2) | instskip(NEXT) | instid1(VALU_DEP_2)
	v_sub_f32_e32 v7, v7, v9
	v_add_f32_e32 v9, 0xbf2aaaaa, v13
	v_frexp_exp_i32_f64_e32 v17, v[10:11]
	s_delay_alu instid0(VALU_DEP_3) | instskip(NEXT) | instid1(VALU_DEP_3)
	v_add_f32_e32 v7, 0x31739010, v7
	v_sub_f32_e32 v9, v3, v9
	s_delay_alu instid0(VALU_DEP_1) | instskip(SKIP_1) | instid1(VALU_DEP_1)
	v_pk_mul_f32 v[10:11], v[6:7], v[8:9]
	v_pk_add_f32 v[14:15], v[6:7], v[8:9]
	v_dual_fma_f32 v12, v8, v6, -v10 :: v_dual_mov_b32 v11, v15
	s_delay_alu instid0(VALU_DEP_1) | instskip(NEXT) | instid1(VALU_DEP_1)
	v_fmac_f32_e32 v12, v8, v18
	v_fmac_f32_e32 v12, v16, v6
	s_delay_alu instid0(VALU_DEP_1) | instskip(SKIP_1) | instid1(VALU_DEP_2)
	v_pk_add_f32 v[8:9], v[10:11], v[12:13]
	v_subrev_co_ci_u32_e64 v3, null, 0, v17, vcc_lo
	v_mov_b32_e32 v14, v9
	s_delay_alu instid0(VALU_DEP_3) | instskip(NEXT) | instid1(VALU_DEP_3)
	v_dual_sub_f32 v7, v13, v9 :: v_dual_sub_f32 v11, v8, v10
	v_cvt_f32_i32_e32 v3, v3
	s_delay_alu instid0(VALU_DEP_3) | instskip(NEXT) | instid1(VALU_DEP_3)
	v_pk_mul_f32 v[16:17], v[8:9], v[14:15]
	v_add_f32_e32 v7, v15, v7
	s_delay_alu instid0(VALU_DEP_4) | instskip(NEXT) | instid1(VALU_DEP_3)
	v_sub_f32_e32 v11, v12, v11
	v_fma_f32 v10, v8, v9, -v16
	s_delay_alu instid0(VALU_DEP_1) | instskip(NEXT) | instid1(VALU_DEP_1)
	v_fmac_f32_e32 v10, v8, v7
	v_fmac_f32_e32 v10, v11, v9
	v_mul_f32_e32 v14, 0x3f317218, v3
	v_ldexp_f32 v9, v6, 1
	s_delay_alu instid0(VALU_DEP_3) | instskip(NEXT) | instid1(VALU_DEP_3)
	v_add_f32_e32 v15, v16, v10
	v_fma_f32 v7, 0x3f317218, v3, -v14
	s_delay_alu instid0(VALU_DEP_2) | instskip(NEXT) | instid1(VALU_DEP_2)
	v_dual_mov_b32 v17, v9 :: v_dual_mov_b32 v11, v15
	v_fmamk_f32 v8, v3, 0xb102e308, v7
	v_ldexp_f32 v3, v18, 1
	s_delay_alu instid0(VALU_DEP_2) | instskip(NEXT) | instid1(VALU_DEP_1)
	v_pk_add_f32 v[6:7], v[14:15], v[8:9]
	v_dual_mov_b32 v12, v15 :: v_dual_mov_b32 v13, v7
	s_delay_alu instid0(VALU_DEP_2) | instskip(NEXT) | instid1(VALU_DEP_2)
	v_dual_mov_b32 v9, v6 :: v_dual_mov_b32 v20, v7
	v_pk_add_f32 v[12:13], v[12:13], v[16:17] neg_lo:[0,1] neg_hi:[0,1]
	s_delay_alu instid0(VALU_DEP_1) | instskip(NEXT) | instid1(VALU_DEP_1)
	v_pk_add_f32 v[10:11], v[10:11], v[12:13] neg_lo:[0,1] neg_hi:[0,1]
	v_add_f32_e32 v3, v3, v10
	s_delay_alu instid0(VALU_DEP_1) | instskip(NEXT) | instid1(VALU_DEP_1)
	v_add_f32_e32 v15, v3, v11
	v_pk_add_f32 v[10:11], v[6:7], v[14:15]
	v_pk_add_f32 v[12:13], v[6:7], v[14:15] neg_lo:[0,1] neg_hi:[0,1]
	s_delay_alu instid0(VALU_DEP_2) | instskip(NEXT) | instid1(VALU_DEP_1)
	v_mov_b32_e32 v13, v11
	v_pk_add_f32 v[16:17], v[8:9], v[12:13]
	v_mov_b32_e32 v16, v11
	v_pk_add_f32 v[8:9], v[8:9], v[12:13] neg_lo:[0,1] neg_hi:[0,1]
	s_delay_alu instid0(VALU_DEP_3) | instskip(NEXT) | instid1(VALU_DEP_1)
	v_dual_mov_b32 v14, v17 :: v_dual_mov_b32 v9, v17
	v_pk_add_f32 v[18:19], v[14:15], v[6:7] neg_lo:[0,1] neg_hi:[0,1]
	v_dual_mov_b32 v7, v6 :: v_dual_mov_b32 v6, v15
	s_delay_alu instid0(VALU_DEP_2) | instskip(NEXT) | instid1(VALU_DEP_1)
	v_dual_mov_b32 v21, v18 :: v_dual_mov_b32 v3, v18
	v_pk_add_f32 v[12:13], v[16:17], v[20:21] neg_lo:[0,1] neg_hi:[0,1]
	s_delay_alu instid0(VALU_DEP_2) | instskip(SKIP_1) | instid1(VALU_DEP_3)
	v_pk_add_f32 v[10:11], v[10:11], v[2:3] neg_lo:[0,1] neg_hi:[0,1]
	v_mov_b32_e32 v10, v8
	v_pk_add_f32 v[6:7], v[6:7], v[12:13] neg_lo:[0,1] neg_hi:[0,1]
	s_delay_alu instid0(VALU_DEP_1) | instskip(NEXT) | instid1(VALU_DEP_1)
	v_pk_add_f32 v[10:11], v[10:11], v[6:7]
	v_mov_b32_e32 v12, v11
	s_delay_alu instid0(VALU_DEP_1) | instskip(NEXT) | instid1(VALU_DEP_1)
	v_pk_add_f32 v[12:13], v[10:11], v[12:13]
	v_pk_add_f32 v[14:15], v[14:15], v[12:13]
	s_delay_alu instid0(VALU_DEP_1) | instskip(NEXT) | instid1(VALU_DEP_1)
	v_dual_mov_b32 v7, v12 :: v_dual_mov_b32 v11, v14
	v_pk_add_f32 v[16:17], v[10:11], v[8:9] neg_lo:[0,1] neg_hi:[0,1]
	s_delay_alu instid0(VALU_DEP_1) | instskip(NEXT) | instid1(VALU_DEP_2)
	v_sub_f32_e32 v3, v10, v16
	v_pk_add_f32 v[6:7], v[6:7], v[16:17] neg_lo:[0,1] neg_hi:[0,1]
	s_delay_alu instid0(VALU_DEP_2) | instskip(NEXT) | instid1(VALU_DEP_1)
	v_sub_f32_e32 v3, v8, v3
	v_add_f32_e32 v3, v6, v3
	s_delay_alu instid0(VALU_DEP_1) | instskip(NEXT) | instid1(VALU_DEP_1)
	v_add_f32_e32 v3, v3, v7
	v_add_f32_e32 v6, v14, v3
	s_delay_alu instid0(VALU_DEP_1) | instskip(NEXT) | instid1(VALU_DEP_1)
	v_sub_f32_e32 v7, v6, v14
	v_dual_mul_f32 v8, v5, v6 :: v_dual_sub_f32 v3, v3, v7
	s_delay_alu instid0(VALU_DEP_1) | instskip(SKIP_1) | instid1(VALU_DEP_2)
	v_fma_f32 v6, v5, v6, -v8
	v_cmp_class_f32_e64 vcc_lo, v8, 0x204
	v_fmac_f32_e32 v6, v5, v3
	s_delay_alu instid0(VALU_DEP_1) | instskip(NEXT) | instid1(VALU_DEP_1)
	v_add_f32_e32 v3, v8, v6
	v_cndmask_b32_e32 v7, v3, v8, vcc_lo
	s_delay_alu instid0(VALU_DEP_1) | instskip(SKIP_2) | instid1(VALU_DEP_2)
	v_cmp_eq_f32_e32 vcc_lo, 0x42b17218, v7
	v_cndmask_b32_e64 v9, 0, 0x37000000, vcc_lo
	v_cmp_neq_f32_e64 vcc_lo, 0x7f800000, |v7|
	v_sub_f32_e32 v10, v7, v9
	v_trunc_f32_e32 v7, v5
	s_delay_alu instid0(VALU_DEP_2) | instskip(NEXT) | instid1(VALU_DEP_1)
	v_mul_f32_e32 v11, 0x3fb8aa3b, v10
	v_fma_f32 v12, 0x3fb8aa3b, v10, -v11
	v_rndne_f32_e32 v13, v11
	s_delay_alu instid0(VALU_DEP_1) | instskip(SKIP_1) | instid1(VALU_DEP_1)
	v_dual_fmamk_f32 v12, v10, 0x32a5705f, v12 :: v_dual_sub_f32 v11, v11, v13
	v_sub_f32_e32 v3, v3, v8
	v_dual_add_f32 v11, v11, v12 :: v_dual_sub_f32 v3, v6, v3
	s_delay_alu instid0(VALU_DEP_1) | instskip(SKIP_2) | instid1(VALU_DEP_3)
	v_exp_f32_e32 v8, v11
	v_nop
	v_cvt_i32_f32_e32 v11, v13
	v_cndmask_b32_e32 v3, 0, v3, vcc_lo
	v_cmp_ngt_f32_e32 vcc_lo, 0xc2ce8ed0, v10
	s_delay_alu instid0(TRANS32_DEP_1) | instid1(VALU_DEP_3)
	v_ldexp_f32 v6, v8, v11
	s_delay_alu instid0(VALU_DEP_1) | instskip(NEXT) | instid1(VALU_DEP_1)
	v_dual_mul_f32 v8, 0.5, v5 :: v_dual_cndmask_b32 v6, 0, v6, vcc_lo
	v_trunc_f32_e32 v11, v8
	v_cmp_nlt_f32_e32 vcc_lo, 0x42b17218, v10
	s_delay_alu instid0(VALU_DEP_2) | instskip(NEXT) | instid1(VALU_DEP_4)
	v_cmp_neq_f32_e64 s0, v11, v8
	v_cndmask_b32_e32 v6, 0x7f800000, v6, vcc_lo
	v_cmp_eq_f32_e32 vcc_lo, v7, v5
	s_delay_alu instid0(VALU_DEP_2) | instskip(SKIP_1) | instid1(SALU_CYCLE_1)
	v_cmp_class_f32_e64 s1, v6, 0x204
	s_and_b32 s0, vcc_lo, s0
	v_dual_cndmask_b32 v7, 1.0, v4, s0 :: v_dual_add_f32 v3, v9, v3
	s_delay_alu instid0(VALU_DEP_1) | instskip(NEXT) | instid1(VALU_DEP_1)
	v_fma_f32 v3, v6, v3, v6
	v_cndmask_b32_e64 v3, v3, v6, s1
	v_cndmask_b32_e64 v6, 0x7f800000, 0, s18
	v_cmp_gt_f32_e64 s1, 0, v5
	s_delay_alu instid0(VALU_DEP_3) | instskip(SKIP_1) | instid1(SALU_CYCLE_1)
	v_bfi_b32 v3, 0x7fffffff, v3, v7
	s_xor_b32 s1, s1, s2
	v_cndmask_b32_e64 v8, 0x7f800000, 0, s1
	s_delay_alu instid0(VALU_DEP_2) | instskip(SKIP_3) | instid1(VALU_DEP_3)
	v_cndmask_b32_e32 v7, 0x7fc00000, v3, vcc_lo
	v_cmp_neq_f32_e64 vcc_lo, |v4|, 1.0
	v_cndmask_b32_e32 v6, 1.0, v6, vcc_lo
	v_cmp_gt_f32_e32 vcc_lo, 0, v4
	v_dual_cndmask_b32 v3, v3, v7, vcc_lo :: v_dual_cndmask_b32 v7, 0, v4, s0
	v_cmp_class_f32_e64 vcc_lo, v5, 0x204
	v_cmp_class_f32_e64 s0, v4, 0x204
	s_delay_alu instid0(VALU_DEP_3) | instskip(NEXT) | instid1(VALU_DEP_4)
	v_bfi_b32 v5, 0x7fffffff, v8, v7
	v_cndmask_b32_e32 v3, v3, v6, vcc_lo
	s_or_b32 vcc_lo, s2, s0
	s_delay_alu instid0(VALU_DEP_1) | instskip(SKIP_3) | instid1(VALU_DEP_3)
	v_cndmask_b32_e32 v3, v3, v5, vcc_lo
	v_cmp_o_f32_e32 vcc_lo, v4, v4
	s_wait_loadcnt 0x0
	v_cvt_f32_i32_e32 v5, v22
                                        ; implicit-def: $vgpr4
	v_cndmask_b32_e32 v3, 0x7fc00000, v3, vcc_lo
	s_delay_alu instid0(VALU_DEP_1)
	v_mul_f32_e32 v6, v3, v5
                                        ; implicit-def: $vgpr3
.LBB28_25:
	s_and_not1_saveexec_b32 s16, s16
	s_cbranch_execz .LBB28_27
; %bb.26:
	v_cvt_f32_i32_e32 v4, v4
	s_cmp_neq_f32 s5, 1.0
	s_mov_b32 s0, 0x3e76c4e1
	global_load_b32 v22, v3, s[20:21] scale_offset
	s_cselect_b32 vcc_lo, -1, 0
	v_mul_f32_e32 v4, 0.5, v4
	s_delay_alu instid0(VALU_DEP_1) | instskip(NEXT) | instid1(VALU_DEP_1)
	v_cndmask_b32_e32 v5, 1.0, v4, vcc_lo
	v_cmp_neq_f32_e32 vcc_lo, 0, v5
	v_cndmask_b32_e64 v4, 1.0, s5, vcc_lo
	s_delay_alu instid0(VALU_DEP_1) | instskip(SKIP_2) | instid1(VALU_DEP_3)
	v_frexp_mant_f32_e64 v6, |v4|
	v_cmp_lt_f32_e64 s19, |v4|, 1.0
	v_cmp_eq_f32_e64 s2, 0, v4
	v_cmp_gt_f32_e32 vcc_lo, 0x3f2aaaab, v6
	v_cndmask_b32_e64 v7, 1.0, 2.0, vcc_lo
	s_delay_alu instid0(VALU_DEP_1) | instskip(NEXT) | instid1(VALU_DEP_1)
	v_mul_f32_e32 v6, v6, v7
	v_dual_add_f32 v9, 1.0, v6 :: v_dual_add_f32 v7, -1.0, v6
	v_cmp_neq_f32_e64 s18, v5, |v5|
	s_delay_alu instid0(VALU_DEP_2)
	v_rcp_f32_e32 v12, v9
	v_add_f32_e32 v10, -1.0, v9
	s_xor_b32 s18, s18, s19
	s_delay_alu instid0(TRANS32_DEP_1) | instid1(VALU_DEP_1)
	v_dual_sub_f32 v6, v6, v10 :: v_dual_mul_f32 v13, v7, v12
	s_delay_alu instid0(VALU_DEP_1) | instskip(NEXT) | instid1(VALU_DEP_1)
	v_mul_f32_e32 v8, v9, v13
	v_fma_f32 v10, v13, v9, -v8
	s_delay_alu instid0(VALU_DEP_1) | instskip(NEXT) | instid1(VALU_DEP_1)
	v_fmac_f32_e32 v10, v13, v6
	v_add_f32_e32 v6, v8, v10
	s_delay_alu instid0(VALU_DEP_1) | instskip(NEXT) | instid1(VALU_DEP_1)
	v_dual_sub_f32 v9, v7, v6 :: v_dual_mov_b32 v11, v6
	v_pk_add_f32 v[6:7], v[6:7], v[8:9] neg_lo:[0,1] neg_hi:[0,1]
	s_delay_alu instid0(VALU_DEP_1) | instskip(NEXT) | instid1(VALU_DEP_1)
	v_pk_add_f32 v[6:7], v[6:7], v[10:11] neg_lo:[0,1] neg_hi:[0,1]
	v_add_f32_e32 v6, v6, v7
	s_delay_alu instid0(VALU_DEP_1) | instskip(NEXT) | instid1(VALU_DEP_1)
	v_add_f32_e32 v6, v9, v6
	v_mul_f32_e32 v7, v12, v6
	s_delay_alu instid0(VALU_DEP_1) | instskip(NEXT) | instid1(VALU_DEP_1)
	v_add_f32_e32 v6, v13, v7
	v_sub_f32_e32 v8, v6, v13
	s_delay_alu instid0(VALU_DEP_1) | instskip(NEXT) | instid1(VALU_DEP_1)
	v_sub_f32_e32 v18, v7, v8
	v_add_f32_e32 v8, v18, v18
	v_mul_f32_e32 v9, v6, v6
	s_delay_alu instid0(VALU_DEP_1) | instskip(NEXT) | instid1(VALU_DEP_1)
	v_fma_f32 v7, v6, v6, -v9
	v_fmac_f32_e32 v7, v6, v8
	s_delay_alu instid0(VALU_DEP_1) | instskip(NEXT) | instid1(VALU_DEP_1)
	v_add_f32_e32 v8, v9, v7
	v_dual_fmaak_f32 v10, s0, v8, 0x3e91f4c4 :: v_dual_sub_f32 v9, v8, v9
	s_delay_alu instid0(VALU_DEP_1) | instskip(SKIP_1) | instid1(VALU_DEP_2)
	v_fmaak_f32 v12, v8, v10, 0x3ecccdef
	v_cvt_f64_f32_e64 v[10:11], |v4|
	v_dual_sub_f32 v16, v7, v9 :: v_dual_mul_f32 v13, v8, v12
	s_delay_alu instid0(VALU_DEP_1) | instskip(NEXT) | instid1(VALU_DEP_1)
	v_fma_f32 v7, v8, v12, -v13
	v_fmac_f32_e32 v7, v16, v12
	s_wait_xcnt 0x0
	s_delay_alu instid0(VALU_DEP_1) | instskip(NEXT) | instid1(VALU_DEP_1)
	v_add_f32_e32 v3, v13, v7
	v_sub_f32_e32 v9, v3, v13
	v_add_f32_e32 v13, 0x3f2aaaaa, v3
	s_delay_alu instid0(VALU_DEP_2) | instskip(NEXT) | instid1(VALU_DEP_2)
	v_sub_f32_e32 v7, v7, v9
	v_add_f32_e32 v9, 0xbf2aaaaa, v13
	v_frexp_exp_i32_f64_e32 v17, v[10:11]
	s_delay_alu instid0(VALU_DEP_3) | instskip(NEXT) | instid1(VALU_DEP_3)
	v_add_f32_e32 v7, 0x31739010, v7
	v_sub_f32_e32 v9, v3, v9
	s_delay_alu instid0(VALU_DEP_1) | instskip(SKIP_1) | instid1(VALU_DEP_1)
	v_pk_mul_f32 v[10:11], v[6:7], v[8:9]
	v_pk_add_f32 v[14:15], v[6:7], v[8:9]
	v_dual_fma_f32 v12, v8, v6, -v10 :: v_dual_mov_b32 v11, v15
	s_delay_alu instid0(VALU_DEP_1) | instskip(NEXT) | instid1(VALU_DEP_1)
	v_fmac_f32_e32 v12, v8, v18
	v_fmac_f32_e32 v12, v16, v6
	s_delay_alu instid0(VALU_DEP_1) | instskip(SKIP_1) | instid1(VALU_DEP_2)
	v_pk_add_f32 v[8:9], v[10:11], v[12:13]
	v_subrev_co_ci_u32_e64 v3, null, 0, v17, vcc_lo
	v_mov_b32_e32 v14, v9
	s_delay_alu instid0(VALU_DEP_3) | instskip(NEXT) | instid1(VALU_DEP_3)
	v_dual_sub_f32 v7, v13, v9 :: v_dual_sub_f32 v11, v8, v10
	v_cvt_f32_i32_e32 v3, v3
	s_delay_alu instid0(VALU_DEP_3) | instskip(NEXT) | instid1(VALU_DEP_3)
	v_pk_mul_f32 v[16:17], v[8:9], v[14:15]
	v_add_f32_e32 v7, v15, v7
	s_delay_alu instid0(VALU_DEP_4) | instskip(NEXT) | instid1(VALU_DEP_3)
	v_sub_f32_e32 v11, v12, v11
	v_fma_f32 v10, v8, v9, -v16
	s_delay_alu instid0(VALU_DEP_1) | instskip(NEXT) | instid1(VALU_DEP_1)
	v_fmac_f32_e32 v10, v8, v7
	v_fmac_f32_e32 v10, v11, v9
	v_mul_f32_e32 v14, 0x3f317218, v3
	v_ldexp_f32 v9, v6, 1
	s_delay_alu instid0(VALU_DEP_3) | instskip(NEXT) | instid1(VALU_DEP_3)
	v_add_f32_e32 v15, v16, v10
	v_fma_f32 v7, 0x3f317218, v3, -v14
	s_delay_alu instid0(VALU_DEP_2) | instskip(NEXT) | instid1(VALU_DEP_2)
	v_dual_mov_b32 v17, v9 :: v_dual_mov_b32 v11, v15
	v_fmamk_f32 v8, v3, 0xb102e308, v7
	v_ldexp_f32 v3, v18, 1
	s_delay_alu instid0(VALU_DEP_2) | instskip(NEXT) | instid1(VALU_DEP_1)
	v_pk_add_f32 v[6:7], v[14:15], v[8:9]
	v_dual_mov_b32 v12, v15 :: v_dual_mov_b32 v13, v7
	s_delay_alu instid0(VALU_DEP_2) | instskip(NEXT) | instid1(VALU_DEP_2)
	v_dual_mov_b32 v9, v6 :: v_dual_mov_b32 v20, v7
	v_pk_add_f32 v[12:13], v[12:13], v[16:17] neg_lo:[0,1] neg_hi:[0,1]
	s_delay_alu instid0(VALU_DEP_1) | instskip(NEXT) | instid1(VALU_DEP_1)
	v_pk_add_f32 v[10:11], v[10:11], v[12:13] neg_lo:[0,1] neg_hi:[0,1]
	v_add_f32_e32 v3, v3, v10
	s_delay_alu instid0(VALU_DEP_1) | instskip(NEXT) | instid1(VALU_DEP_1)
	v_add_f32_e32 v15, v3, v11
	v_pk_add_f32 v[10:11], v[6:7], v[14:15]
	v_pk_add_f32 v[12:13], v[6:7], v[14:15] neg_lo:[0,1] neg_hi:[0,1]
	s_delay_alu instid0(VALU_DEP_2) | instskip(NEXT) | instid1(VALU_DEP_1)
	v_mov_b32_e32 v13, v11
	v_pk_add_f32 v[16:17], v[8:9], v[12:13]
	v_mov_b32_e32 v16, v11
	v_pk_add_f32 v[8:9], v[8:9], v[12:13] neg_lo:[0,1] neg_hi:[0,1]
	s_delay_alu instid0(VALU_DEP_3) | instskip(NEXT) | instid1(VALU_DEP_1)
	v_dual_mov_b32 v14, v17 :: v_dual_mov_b32 v9, v17
	v_pk_add_f32 v[18:19], v[14:15], v[6:7] neg_lo:[0,1] neg_hi:[0,1]
	v_dual_mov_b32 v7, v6 :: v_dual_mov_b32 v6, v15
	s_delay_alu instid0(VALU_DEP_2) | instskip(NEXT) | instid1(VALU_DEP_1)
	v_dual_mov_b32 v21, v18 :: v_dual_mov_b32 v3, v18
	v_pk_add_f32 v[12:13], v[16:17], v[20:21] neg_lo:[0,1] neg_hi:[0,1]
	s_delay_alu instid0(VALU_DEP_2) | instskip(SKIP_1) | instid1(VALU_DEP_3)
	v_pk_add_f32 v[10:11], v[10:11], v[2:3] neg_lo:[0,1] neg_hi:[0,1]
	v_mov_b32_e32 v10, v8
	v_pk_add_f32 v[6:7], v[6:7], v[12:13] neg_lo:[0,1] neg_hi:[0,1]
	s_delay_alu instid0(VALU_DEP_1) | instskip(NEXT) | instid1(VALU_DEP_1)
	v_pk_add_f32 v[10:11], v[10:11], v[6:7]
	v_mov_b32_e32 v12, v11
	s_delay_alu instid0(VALU_DEP_1) | instskip(NEXT) | instid1(VALU_DEP_1)
	v_pk_add_f32 v[12:13], v[10:11], v[12:13]
	v_pk_add_f32 v[14:15], v[14:15], v[12:13]
	s_delay_alu instid0(VALU_DEP_1) | instskip(NEXT) | instid1(VALU_DEP_1)
	v_dual_mov_b32 v7, v12 :: v_dual_mov_b32 v11, v14
	v_pk_add_f32 v[16:17], v[10:11], v[8:9] neg_lo:[0,1] neg_hi:[0,1]
	s_delay_alu instid0(VALU_DEP_1) | instskip(NEXT) | instid1(VALU_DEP_2)
	v_sub_f32_e32 v3, v10, v16
	v_pk_add_f32 v[6:7], v[6:7], v[16:17] neg_lo:[0,1] neg_hi:[0,1]
	s_delay_alu instid0(VALU_DEP_2) | instskip(NEXT) | instid1(VALU_DEP_1)
	v_sub_f32_e32 v3, v8, v3
	v_add_f32_e32 v3, v6, v3
	s_delay_alu instid0(VALU_DEP_1) | instskip(NEXT) | instid1(VALU_DEP_1)
	v_add_f32_e32 v3, v3, v7
	v_add_f32_e32 v6, v14, v3
	s_delay_alu instid0(VALU_DEP_1) | instskip(NEXT) | instid1(VALU_DEP_1)
	v_sub_f32_e32 v7, v6, v14
	v_dual_mul_f32 v8, v5, v6 :: v_dual_sub_f32 v3, v3, v7
	s_delay_alu instid0(VALU_DEP_1) | instskip(SKIP_1) | instid1(VALU_DEP_2)
	v_fma_f32 v6, v5, v6, -v8
	v_cmp_class_f32_e64 vcc_lo, v8, 0x204
	v_fmac_f32_e32 v6, v5, v3
	s_delay_alu instid0(VALU_DEP_1) | instskip(NEXT) | instid1(VALU_DEP_1)
	v_add_f32_e32 v3, v8, v6
	v_cndmask_b32_e32 v7, v3, v8, vcc_lo
	s_delay_alu instid0(VALU_DEP_1) | instskip(SKIP_2) | instid1(VALU_DEP_2)
	v_cmp_eq_f32_e32 vcc_lo, 0x42b17218, v7
	v_cndmask_b32_e64 v9, 0, 0x37000000, vcc_lo
	v_cmp_neq_f32_e64 vcc_lo, 0x7f800000, |v7|
	v_sub_f32_e32 v10, v7, v9
	v_trunc_f32_e32 v7, v5
	s_delay_alu instid0(VALU_DEP_2) | instskip(NEXT) | instid1(VALU_DEP_1)
	v_mul_f32_e32 v11, 0x3fb8aa3b, v10
	v_fma_f32 v12, 0x3fb8aa3b, v10, -v11
	v_rndne_f32_e32 v13, v11
	s_delay_alu instid0(VALU_DEP_1) | instskip(SKIP_1) | instid1(VALU_DEP_1)
	v_dual_fmamk_f32 v12, v10, 0x32a5705f, v12 :: v_dual_sub_f32 v11, v11, v13
	v_sub_f32_e32 v3, v3, v8
	v_dual_add_f32 v11, v11, v12 :: v_dual_sub_f32 v3, v6, v3
	s_delay_alu instid0(VALU_DEP_1) | instskip(SKIP_2) | instid1(VALU_DEP_3)
	v_exp_f32_e32 v8, v11
	v_nop
	v_cvt_i32_f32_e32 v11, v13
	v_cndmask_b32_e32 v3, 0, v3, vcc_lo
	v_cmp_ngt_f32_e32 vcc_lo, 0xc2ce8ed0, v10
	s_delay_alu instid0(TRANS32_DEP_1) | instid1(VALU_DEP_3)
	v_ldexp_f32 v6, v8, v11
	s_delay_alu instid0(VALU_DEP_1) | instskip(NEXT) | instid1(VALU_DEP_1)
	v_dual_mul_f32 v8, 0.5, v5 :: v_dual_cndmask_b32 v6, 0, v6, vcc_lo
	v_trunc_f32_e32 v11, v8
	v_cmp_nlt_f32_e32 vcc_lo, 0x42b17218, v10
	s_delay_alu instid0(VALU_DEP_2) | instskip(NEXT) | instid1(VALU_DEP_4)
	v_cmp_neq_f32_e64 s0, v11, v8
	v_cndmask_b32_e32 v6, 0x7f800000, v6, vcc_lo
	v_cmp_eq_f32_e32 vcc_lo, v7, v5
	s_delay_alu instid0(VALU_DEP_2) | instskip(SKIP_1) | instid1(SALU_CYCLE_1)
	v_cmp_class_f32_e64 s1, v6, 0x204
	s_and_b32 s0, vcc_lo, s0
	v_dual_cndmask_b32 v7, 1.0, v4, s0 :: v_dual_add_f32 v3, v9, v3
	s_delay_alu instid0(VALU_DEP_1) | instskip(NEXT) | instid1(VALU_DEP_1)
	v_fma_f32 v3, v6, v3, v6
	v_cndmask_b32_e64 v3, v3, v6, s1
	v_cndmask_b32_e64 v6, 0x7f800000, 0, s18
	v_cmp_gt_f32_e64 s1, 0, v5
	s_delay_alu instid0(VALU_DEP_3) | instskip(SKIP_1) | instid1(SALU_CYCLE_1)
	v_bfi_b32 v3, 0x7fffffff, v3, v7
	s_xor_b32 s1, s1, s2
	v_cndmask_b32_e64 v8, 0x7f800000, 0, s1
	s_delay_alu instid0(VALU_DEP_2) | instskip(SKIP_3) | instid1(VALU_DEP_3)
	v_cndmask_b32_e32 v7, 0x7fc00000, v3, vcc_lo
	v_cmp_neq_f32_e64 vcc_lo, |v4|, 1.0
	v_cndmask_b32_e32 v6, 1.0, v6, vcc_lo
	v_cmp_gt_f32_e32 vcc_lo, 0, v4
	v_dual_cndmask_b32 v3, v3, v7, vcc_lo :: v_dual_cndmask_b32 v7, 0, v4, s0
	v_cmp_class_f32_e64 vcc_lo, v5, 0x204
	v_cmp_class_f32_e64 s0, v4, 0x204
	s_delay_alu instid0(VALU_DEP_3) | instskip(NEXT) | instid1(VALU_DEP_4)
	v_bfi_b32 v5, 0x7fffffff, v8, v7
	v_cndmask_b32_e32 v3, v3, v6, vcc_lo
	s_or_b32 vcc_lo, s2, s0
	s_delay_alu instid0(VALU_DEP_1) | instskip(SKIP_3) | instid1(VALU_DEP_3)
	v_cndmask_b32_e32 v3, v3, v5, vcc_lo
	v_cmp_o_f32_e32 vcc_lo, v4, v4
	s_wait_loadcnt 0x0
	v_cvt_f32_i32_e32 v5, v22
	v_cndmask_b32_e32 v3, 0x7fc00000, v3, vcc_lo
	s_delay_alu instid0(VALU_DEP_1)
	v_mul_f32_e32 v6, v3, v5
.LBB28_27:
	s_or_b32 exec_lo, exec_lo, s16
                                        ; implicit-def: $vgpr3
                                        ; implicit-def: $vgpr4
.LBB28_28:
	s_and_not1_saveexec_b32 s16, s17
	s_cbranch_execz .LBB28_30
; %bb.29:
	v_cvt_f32_i32_e32 v4, v4
	s_cmp_neq_f32 s5, 1.0
	s_mov_b32 s0, 0x3e76c4e1
	v_lshl_add_u32 v3, s6, 1, v3
	s_cselect_b32 vcc_lo, -1, 0
	v_mul_f32_e32 v4, 0.5, v4
	global_load_b32 v22, v3, s[20:21] scale_offset
	v_cndmask_b32_e32 v5, 1.0, v4, vcc_lo
	s_delay_alu instid0(VALU_DEP_1) | instskip(SKIP_1) | instid1(VALU_DEP_1)
	v_cmp_neq_f32_e32 vcc_lo, 0, v5
	v_cndmask_b32_e64 v4, 1.0, s5, vcc_lo
	v_frexp_mant_f32_e64 v6, |v4|
	v_cmp_lt_f32_e64 s18, |v4|, 1.0
	v_cmp_eq_f32_e64 s2, 0, v4
	s_delay_alu instid0(VALU_DEP_3) | instskip(SKIP_1) | instid1(VALU_DEP_1)
	v_cmp_gt_f32_e32 vcc_lo, 0x3f2aaaab, v6
	v_cndmask_b32_e64 v7, 1.0, 2.0, vcc_lo
	v_mul_f32_e32 v6, v6, v7
	s_delay_alu instid0(VALU_DEP_1) | instskip(SKIP_1) | instid1(VALU_DEP_2)
	v_dual_add_f32 v9, 1.0, v6 :: v_dual_add_f32 v7, -1.0, v6
	v_cmp_neq_f32_e64 s17, v5, |v5|
	v_rcp_f32_e32 v12, v9
	v_add_f32_e32 v10, -1.0, v9
	s_xor_b32 s17, s17, s18
	s_delay_alu instid0(TRANS32_DEP_1) | instid1(VALU_DEP_1)
	v_dual_sub_f32 v6, v6, v10 :: v_dual_mul_f32 v13, v7, v12
	s_delay_alu instid0(VALU_DEP_1) | instskip(NEXT) | instid1(VALU_DEP_1)
	v_mul_f32_e32 v8, v9, v13
	v_fma_f32 v10, v13, v9, -v8
	s_delay_alu instid0(VALU_DEP_1) | instskip(NEXT) | instid1(VALU_DEP_1)
	v_fmac_f32_e32 v10, v13, v6
	v_add_f32_e32 v6, v8, v10
	s_delay_alu instid0(VALU_DEP_1) | instskip(NEXT) | instid1(VALU_DEP_1)
	v_dual_sub_f32 v9, v7, v6 :: v_dual_mov_b32 v11, v6
	v_pk_add_f32 v[6:7], v[6:7], v[8:9] neg_lo:[0,1] neg_hi:[0,1]
	s_delay_alu instid0(VALU_DEP_1) | instskip(NEXT) | instid1(VALU_DEP_1)
	v_pk_add_f32 v[6:7], v[6:7], v[10:11] neg_lo:[0,1] neg_hi:[0,1]
	v_add_f32_e32 v6, v6, v7
	s_delay_alu instid0(VALU_DEP_1) | instskip(NEXT) | instid1(VALU_DEP_1)
	v_add_f32_e32 v6, v9, v6
	v_mul_f32_e32 v7, v12, v6
	s_delay_alu instid0(VALU_DEP_1) | instskip(NEXT) | instid1(VALU_DEP_1)
	v_add_f32_e32 v6, v13, v7
	v_sub_f32_e32 v8, v6, v13
	s_delay_alu instid0(VALU_DEP_1) | instskip(NEXT) | instid1(VALU_DEP_1)
	v_sub_f32_e32 v18, v7, v8
	v_add_f32_e32 v8, v18, v18
	v_mul_f32_e32 v9, v6, v6
	s_delay_alu instid0(VALU_DEP_1) | instskip(NEXT) | instid1(VALU_DEP_1)
	v_fma_f32 v7, v6, v6, -v9
	v_fmac_f32_e32 v7, v6, v8
	s_delay_alu instid0(VALU_DEP_1) | instskip(NEXT) | instid1(VALU_DEP_1)
	v_add_f32_e32 v8, v9, v7
	v_dual_fmaak_f32 v10, s0, v8, 0x3e91f4c4 :: v_dual_sub_f32 v9, v8, v9
	s_delay_alu instid0(VALU_DEP_1) | instskip(SKIP_1) | instid1(VALU_DEP_2)
	v_fmaak_f32 v12, v8, v10, 0x3ecccdef
	v_cvt_f64_f32_e64 v[10:11], |v4|
	v_dual_sub_f32 v16, v7, v9 :: v_dual_mul_f32 v13, v8, v12
	s_delay_alu instid0(VALU_DEP_1) | instskip(NEXT) | instid1(VALU_DEP_1)
	v_fma_f32 v7, v8, v12, -v13
	v_fmac_f32_e32 v7, v16, v12
	s_wait_xcnt 0x0
	s_delay_alu instid0(VALU_DEP_1) | instskip(NEXT) | instid1(VALU_DEP_1)
	v_add_f32_e32 v3, v13, v7
	v_sub_f32_e32 v9, v3, v13
	v_add_f32_e32 v13, 0x3f2aaaaa, v3
	s_delay_alu instid0(VALU_DEP_2) | instskip(NEXT) | instid1(VALU_DEP_2)
	v_sub_f32_e32 v7, v7, v9
	v_add_f32_e32 v9, 0xbf2aaaaa, v13
	v_frexp_exp_i32_f64_e32 v17, v[10:11]
	s_delay_alu instid0(VALU_DEP_3) | instskip(NEXT) | instid1(VALU_DEP_3)
	v_add_f32_e32 v7, 0x31739010, v7
	v_sub_f32_e32 v9, v3, v9
	s_delay_alu instid0(VALU_DEP_1) | instskip(SKIP_1) | instid1(VALU_DEP_1)
	v_pk_mul_f32 v[10:11], v[6:7], v[8:9]
	v_pk_add_f32 v[14:15], v[6:7], v[8:9]
	v_dual_fma_f32 v12, v8, v6, -v10 :: v_dual_mov_b32 v11, v15
	s_delay_alu instid0(VALU_DEP_1) | instskip(NEXT) | instid1(VALU_DEP_1)
	v_fmac_f32_e32 v12, v8, v18
	v_fmac_f32_e32 v12, v16, v6
	s_delay_alu instid0(VALU_DEP_1) | instskip(SKIP_1) | instid1(VALU_DEP_2)
	v_pk_add_f32 v[8:9], v[10:11], v[12:13]
	v_subrev_co_ci_u32_e64 v3, null, 0, v17, vcc_lo
	v_mov_b32_e32 v14, v9
	s_delay_alu instid0(VALU_DEP_3) | instskip(NEXT) | instid1(VALU_DEP_3)
	v_dual_sub_f32 v7, v13, v9 :: v_dual_sub_f32 v11, v8, v10
	v_cvt_f32_i32_e32 v3, v3
	s_delay_alu instid0(VALU_DEP_3) | instskip(NEXT) | instid1(VALU_DEP_3)
	v_pk_mul_f32 v[16:17], v[8:9], v[14:15]
	v_add_f32_e32 v7, v15, v7
	s_delay_alu instid0(VALU_DEP_4) | instskip(NEXT) | instid1(VALU_DEP_3)
	v_sub_f32_e32 v11, v12, v11
	v_fma_f32 v10, v8, v9, -v16
	s_delay_alu instid0(VALU_DEP_1) | instskip(NEXT) | instid1(VALU_DEP_1)
	v_fmac_f32_e32 v10, v8, v7
	v_fmac_f32_e32 v10, v11, v9
	v_mul_f32_e32 v14, 0x3f317218, v3
	v_ldexp_f32 v9, v6, 1
	s_delay_alu instid0(VALU_DEP_3) | instskip(NEXT) | instid1(VALU_DEP_3)
	v_add_f32_e32 v15, v16, v10
	v_fma_f32 v7, 0x3f317218, v3, -v14
	s_delay_alu instid0(VALU_DEP_2) | instskip(NEXT) | instid1(VALU_DEP_2)
	v_dual_mov_b32 v17, v9 :: v_dual_mov_b32 v11, v15
	v_fmamk_f32 v8, v3, 0xb102e308, v7
	v_ldexp_f32 v3, v18, 1
	s_delay_alu instid0(VALU_DEP_2) | instskip(NEXT) | instid1(VALU_DEP_1)
	v_pk_add_f32 v[6:7], v[14:15], v[8:9]
	v_dual_mov_b32 v12, v15 :: v_dual_mov_b32 v13, v7
	s_delay_alu instid0(VALU_DEP_2) | instskip(NEXT) | instid1(VALU_DEP_2)
	v_dual_mov_b32 v9, v6 :: v_dual_mov_b32 v20, v7
	v_pk_add_f32 v[12:13], v[12:13], v[16:17] neg_lo:[0,1] neg_hi:[0,1]
	s_delay_alu instid0(VALU_DEP_1) | instskip(NEXT) | instid1(VALU_DEP_1)
	v_pk_add_f32 v[10:11], v[10:11], v[12:13] neg_lo:[0,1] neg_hi:[0,1]
	v_add_f32_e32 v3, v3, v10
	s_delay_alu instid0(VALU_DEP_1) | instskip(NEXT) | instid1(VALU_DEP_1)
	v_add_f32_e32 v15, v3, v11
	v_pk_add_f32 v[10:11], v[6:7], v[14:15]
	v_pk_add_f32 v[12:13], v[6:7], v[14:15] neg_lo:[0,1] neg_hi:[0,1]
	s_delay_alu instid0(VALU_DEP_2) | instskip(NEXT) | instid1(VALU_DEP_1)
	v_mov_b32_e32 v13, v11
	v_pk_add_f32 v[16:17], v[8:9], v[12:13]
	v_mov_b32_e32 v16, v11
	v_pk_add_f32 v[8:9], v[8:9], v[12:13] neg_lo:[0,1] neg_hi:[0,1]
	s_delay_alu instid0(VALU_DEP_3) | instskip(NEXT) | instid1(VALU_DEP_1)
	v_dual_mov_b32 v14, v17 :: v_dual_mov_b32 v9, v17
	v_pk_add_f32 v[18:19], v[14:15], v[6:7] neg_lo:[0,1] neg_hi:[0,1]
	v_dual_mov_b32 v7, v6 :: v_dual_mov_b32 v6, v15
	s_delay_alu instid0(VALU_DEP_2) | instskip(NEXT) | instid1(VALU_DEP_1)
	v_dual_mov_b32 v21, v18 :: v_dual_mov_b32 v3, v18
	v_pk_add_f32 v[12:13], v[16:17], v[20:21] neg_lo:[0,1] neg_hi:[0,1]
	s_delay_alu instid0(VALU_DEP_2) | instskip(SKIP_1) | instid1(VALU_DEP_3)
	v_pk_add_f32 v[10:11], v[10:11], v[2:3] neg_lo:[0,1] neg_hi:[0,1]
	v_mov_b32_e32 v10, v8
	v_pk_add_f32 v[6:7], v[6:7], v[12:13] neg_lo:[0,1] neg_hi:[0,1]
	s_delay_alu instid0(VALU_DEP_1) | instskip(NEXT) | instid1(VALU_DEP_1)
	v_pk_add_f32 v[10:11], v[10:11], v[6:7]
	v_mov_b32_e32 v12, v11
	s_delay_alu instid0(VALU_DEP_1) | instskip(NEXT) | instid1(VALU_DEP_1)
	v_pk_add_f32 v[12:13], v[10:11], v[12:13]
	v_pk_add_f32 v[14:15], v[14:15], v[12:13]
	s_delay_alu instid0(VALU_DEP_1) | instskip(NEXT) | instid1(VALU_DEP_1)
	v_dual_mov_b32 v7, v12 :: v_dual_mov_b32 v11, v14
	v_pk_add_f32 v[16:17], v[10:11], v[8:9] neg_lo:[0,1] neg_hi:[0,1]
	s_delay_alu instid0(VALU_DEP_1) | instskip(NEXT) | instid1(VALU_DEP_2)
	v_sub_f32_e32 v3, v10, v16
	v_pk_add_f32 v[6:7], v[6:7], v[16:17] neg_lo:[0,1] neg_hi:[0,1]
	s_delay_alu instid0(VALU_DEP_2) | instskip(NEXT) | instid1(VALU_DEP_1)
	v_sub_f32_e32 v3, v8, v3
	v_add_f32_e32 v3, v6, v3
	s_delay_alu instid0(VALU_DEP_1) | instskip(NEXT) | instid1(VALU_DEP_1)
	v_add_f32_e32 v3, v3, v7
	v_add_f32_e32 v6, v14, v3
	s_delay_alu instid0(VALU_DEP_1) | instskip(NEXT) | instid1(VALU_DEP_1)
	v_sub_f32_e32 v7, v6, v14
	v_dual_mul_f32 v8, v5, v6 :: v_dual_sub_f32 v3, v3, v7
	s_delay_alu instid0(VALU_DEP_1) | instskip(SKIP_1) | instid1(VALU_DEP_2)
	v_fma_f32 v6, v5, v6, -v8
	v_cmp_class_f32_e64 vcc_lo, v8, 0x204
	v_fmac_f32_e32 v6, v5, v3
	s_delay_alu instid0(VALU_DEP_1) | instskip(NEXT) | instid1(VALU_DEP_1)
	v_add_f32_e32 v3, v8, v6
	v_cndmask_b32_e32 v7, v3, v8, vcc_lo
	s_delay_alu instid0(VALU_DEP_1) | instskip(SKIP_2) | instid1(VALU_DEP_2)
	v_cmp_eq_f32_e32 vcc_lo, 0x42b17218, v7
	v_cndmask_b32_e64 v9, 0, 0x37000000, vcc_lo
	v_cmp_neq_f32_e64 vcc_lo, 0x7f800000, |v7|
	v_sub_f32_e32 v10, v7, v9
	v_trunc_f32_e32 v7, v5
	s_delay_alu instid0(VALU_DEP_2) | instskip(NEXT) | instid1(VALU_DEP_1)
	v_mul_f32_e32 v11, 0x3fb8aa3b, v10
	v_fma_f32 v12, 0x3fb8aa3b, v10, -v11
	v_rndne_f32_e32 v13, v11
	s_delay_alu instid0(VALU_DEP_1) | instskip(SKIP_1) | instid1(VALU_DEP_1)
	v_dual_fmamk_f32 v12, v10, 0x32a5705f, v12 :: v_dual_sub_f32 v11, v11, v13
	v_sub_f32_e32 v3, v3, v8
	v_dual_add_f32 v11, v11, v12 :: v_dual_sub_f32 v3, v6, v3
	s_delay_alu instid0(VALU_DEP_1) | instskip(SKIP_2) | instid1(VALU_DEP_3)
	v_exp_f32_e32 v8, v11
	v_nop
	v_cvt_i32_f32_e32 v11, v13
	v_cndmask_b32_e32 v3, 0, v3, vcc_lo
	v_cmp_ngt_f32_e32 vcc_lo, 0xc2ce8ed0, v10
	s_delay_alu instid0(TRANS32_DEP_1) | instid1(VALU_DEP_3)
	v_ldexp_f32 v6, v8, v11
	s_delay_alu instid0(VALU_DEP_1) | instskip(NEXT) | instid1(VALU_DEP_1)
	v_dual_mul_f32 v8, 0.5, v5 :: v_dual_cndmask_b32 v6, 0, v6, vcc_lo
	v_trunc_f32_e32 v11, v8
	v_cmp_nlt_f32_e32 vcc_lo, 0x42b17218, v10
	s_delay_alu instid0(VALU_DEP_2) | instskip(NEXT) | instid1(VALU_DEP_4)
	v_cmp_neq_f32_e64 s0, v11, v8
	v_cndmask_b32_e32 v6, 0x7f800000, v6, vcc_lo
	v_cmp_eq_f32_e32 vcc_lo, v7, v5
	s_delay_alu instid0(VALU_DEP_2) | instskip(SKIP_1) | instid1(SALU_CYCLE_1)
	v_cmp_class_f32_e64 s1, v6, 0x204
	s_and_b32 s0, vcc_lo, s0
	v_dual_cndmask_b32 v7, 1.0, v4, s0 :: v_dual_add_f32 v3, v9, v3
	s_delay_alu instid0(VALU_DEP_1) | instskip(NEXT) | instid1(VALU_DEP_1)
	v_fma_f32 v3, v6, v3, v6
	v_cndmask_b32_e64 v3, v3, v6, s1
	v_cndmask_b32_e64 v6, 0x7f800000, 0, s17
	v_cmp_gt_f32_e64 s1, 0, v5
	s_delay_alu instid0(VALU_DEP_3) | instskip(SKIP_1) | instid1(SALU_CYCLE_1)
	v_bfi_b32 v3, 0x7fffffff, v3, v7
	s_xor_b32 s1, s1, s2
	v_cndmask_b32_e64 v8, 0x7f800000, 0, s1
	s_delay_alu instid0(VALU_DEP_2) | instskip(SKIP_3) | instid1(VALU_DEP_3)
	v_cndmask_b32_e32 v7, 0x7fc00000, v3, vcc_lo
	v_cmp_neq_f32_e64 vcc_lo, |v4|, 1.0
	v_cndmask_b32_e32 v6, 1.0, v6, vcc_lo
	v_cmp_gt_f32_e32 vcc_lo, 0, v4
	v_dual_cndmask_b32 v3, v3, v7, vcc_lo :: v_dual_cndmask_b32 v7, 0, v4, s0
	v_cmp_class_f32_e64 vcc_lo, v5, 0x204
	v_cmp_class_f32_e64 s0, v4, 0x204
	s_delay_alu instid0(VALU_DEP_3) | instskip(NEXT) | instid1(VALU_DEP_4)
	v_bfi_b32 v5, 0x7fffffff, v8, v7
	v_cndmask_b32_e32 v3, v3, v6, vcc_lo
	s_or_b32 vcc_lo, s2, s0
	s_delay_alu instid0(VALU_DEP_1) | instskip(SKIP_3) | instid1(VALU_DEP_3)
	v_cndmask_b32_e32 v3, v3, v5, vcc_lo
	v_cmp_o_f32_e32 vcc_lo, v4, v4
	s_wait_loadcnt 0x0
	v_cvt_f32_i32_e32 v5, v22
	v_cndmask_b32_e32 v3, 0x7fc00000, v3, vcc_lo
	s_delay_alu instid0(VALU_DEP_1)
	v_mul_f32_e32 v6, v3, v5
.LBB28_30:
	s_or_b32 exec_lo, exec_lo, s16
                                        ; implicit-def: $vgpr3
                                        ; implicit-def: $vgpr4
.LBB28_31:
	s_and_not1_saveexec_b32 s7, s7
	s_cbranch_execz .LBB28_33
; %bb.32:
	v_cvt_f32_i32_e32 v4, v4
	s_cmp_neq_f32 s5, 1.0
	s_mov_b32 s0, 0x3e76c4e1
	s_delay_alu instid0(VALU_DEP_1) | instskip(SKIP_3) | instid1(VALU_DEP_1)
	v_dual_mul_f32 v4, 0.5, v4 :: v_dual_add_nc_u32 v3, s6, v3
	s_cselect_b32 vcc_lo, -1, 0
	global_load_b32 v22, v3, s[20:21] scale_offset
	v_cndmask_b32_e32 v5, 1.0, v4, vcc_lo
	v_cmp_neq_f32_e32 vcc_lo, 0, v5
	v_cndmask_b32_e64 v4, 1.0, s5, vcc_lo
	s_delay_alu instid0(VALU_DEP_1) | instskip(SKIP_2) | instid1(VALU_DEP_3)
	v_frexp_mant_f32_e64 v6, |v4|
	v_cmp_lt_f32_e64 s6, |v4|, 1.0
	v_cmp_eq_f32_e64 s2, 0, v4
	v_cmp_gt_f32_e32 vcc_lo, 0x3f2aaaab, v6
	v_cndmask_b32_e64 v7, 1.0, 2.0, vcc_lo
	s_delay_alu instid0(VALU_DEP_1) | instskip(NEXT) | instid1(VALU_DEP_1)
	v_mul_f32_e32 v6, v6, v7
	v_dual_add_f32 v9, 1.0, v6 :: v_dual_add_f32 v7, -1.0, v6
	v_cmp_neq_f32_e64 s5, v5, |v5|
	s_delay_alu instid0(VALU_DEP_2)
	v_rcp_f32_e32 v12, v9
	v_add_f32_e32 v10, -1.0, v9
	s_xor_b32 s5, s5, s6
	s_delay_alu instid0(TRANS32_DEP_1) | instid1(VALU_DEP_1)
	v_dual_sub_f32 v6, v6, v10 :: v_dual_mul_f32 v13, v7, v12
	s_delay_alu instid0(VALU_DEP_1) | instskip(NEXT) | instid1(VALU_DEP_1)
	v_mul_f32_e32 v8, v9, v13
	v_fma_f32 v10, v13, v9, -v8
	s_delay_alu instid0(VALU_DEP_1) | instskip(NEXT) | instid1(VALU_DEP_1)
	v_fmac_f32_e32 v10, v13, v6
	v_add_f32_e32 v6, v8, v10
	s_delay_alu instid0(VALU_DEP_1) | instskip(NEXT) | instid1(VALU_DEP_1)
	v_dual_sub_f32 v9, v7, v6 :: v_dual_mov_b32 v11, v6
	v_pk_add_f32 v[6:7], v[6:7], v[8:9] neg_lo:[0,1] neg_hi:[0,1]
	s_delay_alu instid0(VALU_DEP_1) | instskip(NEXT) | instid1(VALU_DEP_1)
	v_pk_add_f32 v[6:7], v[6:7], v[10:11] neg_lo:[0,1] neg_hi:[0,1]
	v_add_f32_e32 v6, v6, v7
	s_delay_alu instid0(VALU_DEP_1) | instskip(NEXT) | instid1(VALU_DEP_1)
	v_add_f32_e32 v6, v9, v6
	v_mul_f32_e32 v7, v12, v6
	s_delay_alu instid0(VALU_DEP_1) | instskip(NEXT) | instid1(VALU_DEP_1)
	v_add_f32_e32 v6, v13, v7
	v_sub_f32_e32 v8, v6, v13
	s_delay_alu instid0(VALU_DEP_1) | instskip(NEXT) | instid1(VALU_DEP_1)
	v_sub_f32_e32 v18, v7, v8
	v_add_f32_e32 v8, v18, v18
	v_mul_f32_e32 v9, v6, v6
	s_delay_alu instid0(VALU_DEP_1) | instskip(NEXT) | instid1(VALU_DEP_1)
	v_fma_f32 v7, v6, v6, -v9
	v_fmac_f32_e32 v7, v6, v8
	s_delay_alu instid0(VALU_DEP_1) | instskip(NEXT) | instid1(VALU_DEP_1)
	v_add_f32_e32 v8, v9, v7
	v_dual_fmaak_f32 v10, s0, v8, 0x3e91f4c4 :: v_dual_sub_f32 v9, v8, v9
	s_delay_alu instid0(VALU_DEP_1) | instskip(SKIP_1) | instid1(VALU_DEP_2)
	v_fmaak_f32 v12, v8, v10, 0x3ecccdef
	v_cvt_f64_f32_e64 v[10:11], |v4|
	v_dual_sub_f32 v16, v7, v9 :: v_dual_mul_f32 v13, v8, v12
	s_delay_alu instid0(VALU_DEP_1) | instskip(NEXT) | instid1(VALU_DEP_1)
	v_fma_f32 v7, v8, v12, -v13
	v_fmac_f32_e32 v7, v16, v12
	s_wait_xcnt 0x0
	s_delay_alu instid0(VALU_DEP_1) | instskip(NEXT) | instid1(VALU_DEP_1)
	v_add_f32_e32 v3, v13, v7
	v_sub_f32_e32 v9, v3, v13
	v_add_f32_e32 v13, 0x3f2aaaaa, v3
	s_delay_alu instid0(VALU_DEP_2) | instskip(NEXT) | instid1(VALU_DEP_2)
	v_sub_f32_e32 v7, v7, v9
	v_add_f32_e32 v9, 0xbf2aaaaa, v13
	v_frexp_exp_i32_f64_e32 v17, v[10:11]
	s_delay_alu instid0(VALU_DEP_3) | instskip(NEXT) | instid1(VALU_DEP_3)
	v_add_f32_e32 v7, 0x31739010, v7
	v_sub_f32_e32 v9, v3, v9
	s_delay_alu instid0(VALU_DEP_1) | instskip(SKIP_1) | instid1(VALU_DEP_2)
	v_pk_mul_f32 v[10:11], v[6:7], v[8:9]
	v_pk_add_f32 v[14:15], v[6:7], v[8:9]
	v_fma_f32 v12, v8, v6, -v10
	s_delay_alu instid0(VALU_DEP_1) | instskip(NEXT) | instid1(VALU_DEP_1)
	v_dual_fmac_f32 v12, v8, v18 :: v_dual_mov_b32 v11, v15
	v_fmac_f32_e32 v12, v16, v6
	s_delay_alu instid0(VALU_DEP_1) | instskip(SKIP_1) | instid1(VALU_DEP_2)
	v_pk_add_f32 v[8:9], v[10:11], v[12:13]
	v_subrev_co_ci_u32_e64 v3, null, 0, v17, vcc_lo
	v_mov_b32_e32 v14, v9
	s_delay_alu instid0(VALU_DEP_3) | instskip(NEXT) | instid1(VALU_DEP_3)
	v_dual_sub_f32 v7, v13, v9 :: v_dual_sub_f32 v11, v8, v10
	v_cvt_f32_i32_e32 v3, v3
	s_delay_alu instid0(VALU_DEP_3) | instskip(NEXT) | instid1(VALU_DEP_3)
	v_pk_mul_f32 v[16:17], v[8:9], v[14:15]
	v_add_f32_e32 v7, v15, v7
	s_delay_alu instid0(VALU_DEP_4) | instskip(NEXT) | instid1(VALU_DEP_3)
	v_sub_f32_e32 v11, v12, v11
	v_fma_f32 v10, v8, v9, -v16
	s_delay_alu instid0(VALU_DEP_1) | instskip(NEXT) | instid1(VALU_DEP_1)
	v_fmac_f32_e32 v10, v8, v7
	v_fmac_f32_e32 v10, v11, v9
	v_mul_f32_e32 v14, 0x3f317218, v3
	v_ldexp_f32 v9, v6, 1
	s_delay_alu instid0(VALU_DEP_3) | instskip(NEXT) | instid1(VALU_DEP_3)
	v_add_f32_e32 v15, v16, v10
	v_fma_f32 v7, 0x3f317218, v3, -v14
	s_delay_alu instid0(VALU_DEP_2) | instskip(NEXT) | instid1(VALU_DEP_2)
	v_dual_mov_b32 v17, v9 :: v_dual_mov_b32 v12, v15
	v_fmamk_f32 v8, v3, 0xb102e308, v7
	v_ldexp_f32 v3, v18, 1
	v_mov_b32_e32 v11, v15
	s_delay_alu instid0(VALU_DEP_3) | instskip(NEXT) | instid1(VALU_DEP_1)
	v_pk_add_f32 v[6:7], v[14:15], v[8:9]
	v_dual_mov_b32 v13, v7 :: v_dual_mov_b32 v9, v6
	v_mov_b32_e32 v20, v7
	s_delay_alu instid0(VALU_DEP_2) | instskip(NEXT) | instid1(VALU_DEP_1)
	v_pk_add_f32 v[12:13], v[12:13], v[16:17] neg_lo:[0,1] neg_hi:[0,1]
	v_pk_add_f32 v[10:11], v[10:11], v[12:13] neg_lo:[0,1] neg_hi:[0,1]
	s_delay_alu instid0(VALU_DEP_1) | instskip(NEXT) | instid1(VALU_DEP_1)
	v_add_f32_e32 v3, v3, v10
	v_add_f32_e32 v15, v3, v11
	s_delay_alu instid0(VALU_DEP_1) | instskip(SKIP_1) | instid1(VALU_DEP_2)
	v_pk_add_f32 v[10:11], v[6:7], v[14:15]
	v_pk_add_f32 v[12:13], v[6:7], v[14:15] neg_lo:[0,1] neg_hi:[0,1]
	v_mov_b32_e32 v13, v11
	s_delay_alu instid0(VALU_DEP_1) | instskip(SKIP_2) | instid1(VALU_DEP_3)
	v_pk_add_f32 v[16:17], v[8:9], v[12:13]
	v_mov_b32_e32 v16, v11
	v_pk_add_f32 v[8:9], v[8:9], v[12:13] neg_lo:[0,1] neg_hi:[0,1]
	v_mov_b32_e32 v14, v17
	s_delay_alu instid0(VALU_DEP_1) | instskip(NEXT) | instid1(VALU_DEP_1)
	v_pk_add_f32 v[18:19], v[14:15], v[6:7] neg_lo:[0,1] neg_hi:[0,1]
	v_dual_mov_b32 v7, v6 :: v_dual_mov_b32 v21, v18
	v_dual_mov_b32 v6, v15 :: v_dual_mov_b32 v3, v18
	s_delay_alu instid0(VALU_DEP_2) | instskip(NEXT) | instid1(VALU_DEP_2)
	v_pk_add_f32 v[12:13], v[16:17], v[20:21] neg_lo:[0,1] neg_hi:[0,1]
	v_pk_add_f32 v[10:11], v[10:11], v[2:3] neg_lo:[0,1] neg_hi:[0,1]
	v_mov_b32_e32 v10, v8
	s_delay_alu instid0(VALU_DEP_3) | instskip(NEXT) | instid1(VALU_DEP_1)
	v_pk_add_f32 v[6:7], v[6:7], v[12:13] neg_lo:[0,1] neg_hi:[0,1]
	v_pk_add_f32 v[10:11], v[10:11], v[6:7]
	s_delay_alu instid0(VALU_DEP_1) | instskip(NEXT) | instid1(VALU_DEP_1)
	v_mov_b32_e32 v12, v11
	v_pk_add_f32 v[12:13], v[10:11], v[12:13]
	s_delay_alu instid0(VALU_DEP_1) | instskip(NEXT) | instid1(VALU_DEP_1)
	v_pk_add_f32 v[14:15], v[14:15], v[12:13]
	v_dual_mov_b32 v9, v17 :: v_dual_mov_b32 v11, v14
	s_delay_alu instid0(VALU_DEP_1) | instskip(NEXT) | instid1(VALU_DEP_1)
	v_pk_add_f32 v[16:17], v[10:11], v[8:9] neg_lo:[0,1] neg_hi:[0,1]
	v_dual_mov_b32 v7, v12 :: v_dual_sub_f32 v3, v10, v16
	s_delay_alu instid0(VALU_DEP_1) | instskip(NEXT) | instid1(VALU_DEP_2)
	v_pk_add_f32 v[6:7], v[6:7], v[16:17] neg_lo:[0,1] neg_hi:[0,1]
	v_sub_f32_e32 v3, v8, v3
	s_delay_alu instid0(VALU_DEP_1) | instskip(NEXT) | instid1(VALU_DEP_1)
	v_add_f32_e32 v3, v6, v3
	v_add_f32_e32 v3, v3, v7
	s_delay_alu instid0(VALU_DEP_1) | instskip(NEXT) | instid1(VALU_DEP_1)
	v_add_f32_e32 v6, v14, v3
	v_sub_f32_e32 v7, v6, v14
	v_mul_f32_e32 v8, v5, v6
	s_delay_alu instid0(VALU_DEP_1) | instskip(SKIP_1) | instid1(VALU_DEP_2)
	v_dual_fma_f32 v6, v5, v6, -v8 :: v_dual_sub_f32 v3, v3, v7
	v_cmp_class_f32_e64 vcc_lo, v8, 0x204
	v_fmac_f32_e32 v6, v5, v3
	s_delay_alu instid0(VALU_DEP_1) | instskip(NEXT) | instid1(VALU_DEP_1)
	v_add_f32_e32 v3, v8, v6
	v_cndmask_b32_e32 v7, v3, v8, vcc_lo
	s_delay_alu instid0(VALU_DEP_1) | instskip(SKIP_2) | instid1(VALU_DEP_2)
	v_cmp_eq_f32_e32 vcc_lo, 0x42b17218, v7
	v_cndmask_b32_e64 v9, 0, 0x37000000, vcc_lo
	v_cmp_neq_f32_e64 vcc_lo, 0x7f800000, |v7|
	v_sub_f32_e32 v10, v7, v9
	v_trunc_f32_e32 v7, v5
	s_delay_alu instid0(VALU_DEP_2) | instskip(NEXT) | instid1(VALU_DEP_1)
	v_mul_f32_e32 v11, 0x3fb8aa3b, v10
	v_fma_f32 v12, 0x3fb8aa3b, v10, -v11
	v_rndne_f32_e32 v13, v11
	s_delay_alu instid0(VALU_DEP_1) | instskip(SKIP_1) | instid1(VALU_DEP_1)
	v_dual_fmamk_f32 v12, v10, 0x32a5705f, v12 :: v_dual_sub_f32 v11, v11, v13
	v_sub_f32_e32 v3, v3, v8
	v_dual_add_f32 v11, v11, v12 :: v_dual_sub_f32 v3, v6, v3
	s_delay_alu instid0(VALU_DEP_1) | instskip(SKIP_2) | instid1(VALU_DEP_3)
	v_exp_f32_e32 v8, v11
	v_nop
	v_cvt_i32_f32_e32 v11, v13
	v_cndmask_b32_e32 v3, 0, v3, vcc_lo
	v_cmp_ngt_f32_e32 vcc_lo, 0xc2ce8ed0, v10
	s_delay_alu instid0(TRANS32_DEP_1) | instid1(VALU_DEP_3)
	v_ldexp_f32 v6, v8, v11
	s_delay_alu instid0(VALU_DEP_1) | instskip(NEXT) | instid1(VALU_DEP_1)
	v_dual_mul_f32 v8, 0.5, v5 :: v_dual_cndmask_b32 v6, 0, v6, vcc_lo
	v_trunc_f32_e32 v11, v8
	v_cmp_nlt_f32_e32 vcc_lo, 0x42b17218, v10
	s_delay_alu instid0(VALU_DEP_2) | instskip(NEXT) | instid1(VALU_DEP_4)
	v_cmp_neq_f32_e64 s0, v11, v8
	v_cndmask_b32_e32 v6, 0x7f800000, v6, vcc_lo
	v_cmp_eq_f32_e32 vcc_lo, v7, v5
	s_delay_alu instid0(VALU_DEP_2) | instskip(SKIP_1) | instid1(SALU_CYCLE_1)
	v_cmp_class_f32_e64 s1, v6, 0x204
	s_and_b32 s0, vcc_lo, s0
	v_dual_cndmask_b32 v7, 1.0, v4, s0 :: v_dual_add_f32 v3, v9, v3
	s_delay_alu instid0(VALU_DEP_1) | instskip(NEXT) | instid1(VALU_DEP_1)
	v_fma_f32 v3, v6, v3, v6
	v_cndmask_b32_e64 v3, v3, v6, s1
	v_cndmask_b32_e64 v6, 0x7f800000, 0, s5
	v_cmp_gt_f32_e64 s1, 0, v5
	s_delay_alu instid0(VALU_DEP_3) | instskip(SKIP_1) | instid1(SALU_CYCLE_1)
	v_bfi_b32 v3, 0x7fffffff, v3, v7
	s_xor_b32 s1, s1, s2
	v_cndmask_b32_e64 v8, 0x7f800000, 0, s1
	s_delay_alu instid0(VALU_DEP_2) | instskip(SKIP_3) | instid1(VALU_DEP_3)
	v_cndmask_b32_e32 v7, 0x7fc00000, v3, vcc_lo
	v_cmp_neq_f32_e64 vcc_lo, |v4|, 1.0
	v_cndmask_b32_e32 v6, 1.0, v6, vcc_lo
	v_cmp_gt_f32_e32 vcc_lo, 0, v4
	v_dual_cndmask_b32 v3, v3, v7, vcc_lo :: v_dual_cndmask_b32 v7, 0, v4, s0
	v_cmp_class_f32_e64 vcc_lo, v5, 0x204
	v_cmp_class_f32_e64 s0, v4, 0x204
	s_delay_alu instid0(VALU_DEP_3) | instskip(NEXT) | instid1(VALU_DEP_4)
	v_bfi_b32 v5, 0x7fffffff, v8, v7
	v_cndmask_b32_e32 v3, v3, v6, vcc_lo
	s_or_b32 vcc_lo, s2, s0
	s_delay_alu instid0(VALU_DEP_1) | instskip(SKIP_3) | instid1(VALU_DEP_3)
	v_cndmask_b32_e32 v3, v3, v5, vcc_lo
	v_cmp_o_f32_e32 vcc_lo, v4, v4
	s_wait_loadcnt 0x0
	v_cvt_f32_i32_e32 v5, v22
	v_cndmask_b32_e32 v3, 0x7fc00000, v3, vcc_lo
	s_delay_alu instid0(VALU_DEP_1)
	v_mul_f32_e32 v6, v3, v5
.LBB28_33:
	s_or_b32 exec_lo, exec_lo, s7
	s_delay_alu instid0(VALU_DEP_1)
	v_mul_f32_e32 v4, s8, v6
	s_cmp_eq_f32 s9, 0
	s_cbranch_scc0 .LBB28_19
.LBB28_34:
	v_mov_b32_e32 v5, s10
.LBB28_35:
	s_delay_alu instid0(VALU_DEP_1) | instskip(SKIP_1) | instid1(VALU_DEP_2)
	v_and_b32_e32 v1, 0x7fffffff, v4
	v_cmp_ngt_f32_e64 s2, 0x48000000, |v4|
                                        ; implicit-def: $vgpr7
                                        ; implicit-def: $vgpr6
	v_lshrrev_b32_e32 v3, 23, v1
	s_and_saveexec_b32 s0, s2
	s_delay_alu instid0(SALU_CYCLE_1)
	s_xor_b32 s4, exec_lo, s0
	s_cbranch_execz .LBB28_37
; %bb.36:
	s_mov_b32 s0, 0x7fffff
	v_mov_b32_e32 v7, 0
	v_and_or_b32 v6, v1, s0, 0x800000
	s_mov_b64 s[0:1], 0xfe5163ab
	s_delay_alu instid0(VALU_DEP_1) | instid1(SALU_CYCLE_1)
	v_mul_u64_e32 v[8:9], s[0:1], v[6:7]
	s_delay_alu instid0(VALU_DEP_1) | instskip(SKIP_2) | instid1(VALU_DEP_3)
	v_dual_mov_b32 v10, v9 :: v_dual_mov_b32 v11, v7
	v_dual_mov_b32 v13, v7 :: v_dual_mov_b32 v15, v7
	;; [unrolled: 1-line block ×3, first 2 shown]
	v_mad_nc_u64_u32 v[10:11], 0x3c439041, v6, v[10:11]
	v_add_nc_u32_e32 v9, 0xffffff88, v3
	s_delay_alu instid0(VALU_DEP_1) | instskip(NEXT) | instid1(VALU_DEP_3)
	v_cmp_lt_u32_e32 vcc_lo, 63, v9
	v_mov_b32_e32 v12, v11
	v_cndmask_b32_e64 v11, 0, 0xffffffc0, vcc_lo
	s_delay_alu instid0(VALU_DEP_2) | instskip(NEXT) | instid1(VALU_DEP_1)
	v_mad_nc_u64_u32 v[12:13], 0xdb629599, v6, v[12:13]
	v_dual_mov_b32 v14, v13 :: v_dual_cndmask_b32 v8, v12, v8, vcc_lo
	s_delay_alu instid0(VALU_DEP_1) | instskip(NEXT) | instid1(VALU_DEP_1)
	v_mad_nc_u64_u32 v[14:15], 0xf534ddc0, v6, v[14:15]
	v_dual_mov_b32 v16, v15 :: v_dual_cndmask_b32 v10, v14, v10, vcc_lo
	s_delay_alu instid0(VALU_DEP_1) | instskip(NEXT) | instid1(VALU_DEP_1)
	v_mad_nc_u64_u32 v[16:17], 0xfc2757d1, v6, v[16:17]
	v_dual_mov_b32 v18, v17 :: v_dual_cndmask_b32 v15, v16, v12
	s_delay_alu instid0(VALU_DEP_1) | instskip(SKIP_1) | instid1(VALU_DEP_2)
	v_mad_nc_u64_u32 v[18:19], 0x4e441529, v6, v[18:19]
	v_add_nc_u32_e32 v9, v11, v9
	v_dual_mov_b32 v21, v7 :: v_dual_mov_b32 v20, v19
	s_delay_alu instid0(VALU_DEP_3) | instskip(NEXT) | instid1(VALU_DEP_3)
	v_cndmask_b32_e32 v13, v18, v14, vcc_lo
	v_cmp_lt_u32_e64 s0, 31, v9
	s_delay_alu instid0(VALU_DEP_3) | instskip(NEXT) | instid1(VALU_DEP_2)
	v_mad_nc_u64_u32 v[6:7], 0xa2f9836e, v6, v[20:21]
	v_cndmask_b32_e64 v11, 0, 0xffffffe0, s0
	s_delay_alu instid0(VALU_DEP_1) | instskip(NEXT) | instid1(VALU_DEP_3)
	v_dual_cndmask_b32 v8, v10, v8, s0 :: v_dual_add_nc_u32 v9, v11, v9
	v_cndmask_b32_e32 v6, v6, v16, vcc_lo
	s_delay_alu instid0(VALU_DEP_2) | instskip(SKIP_1) | instid1(VALU_DEP_2)
	v_cmp_lt_u32_e64 s1, 31, v9
	v_cndmask_b32_e32 v7, v7, v18, vcc_lo
	v_cndmask_b32_e64 v11, 0, 0xffffffe0, s1
	s_delay_alu instid0(VALU_DEP_1) | instskip(NEXT) | instid1(VALU_DEP_3)
	v_add_nc_u32_e32 v9, v11, v9
	v_dual_cndmask_b32 v11, v6, v13, s0 :: v_dual_cndmask_b32 v6, v7, v6, s0
	v_dual_cndmask_b32 v7, v13, v15, s0 :: v_dual_cndmask_b32 v14, v15, v10, s0
	s_delay_alu instid0(VALU_DEP_3) | instskip(SKIP_1) | instid1(VALU_DEP_4)
	v_sub_nc_u32_e32 v13, 32, v9
	v_cmp_eq_u32_e32 vcc_lo, 0, v9
	v_cndmask_b32_e64 v6, v6, v11, s1
	s_delay_alu instid0(VALU_DEP_4) | instskip(SKIP_1) | instid1(VALU_DEP_2)
	v_cndmask_b32_e64 v11, v11, v7, s1
	v_cndmask_b32_e64 v7, v7, v14, s1
	v_alignbit_b32 v15, v6, v11, v13
	s_delay_alu instid0(VALU_DEP_2) | instskip(NEXT) | instid1(VALU_DEP_1)
	v_alignbit_b32 v12, v11, v7, v13
	v_dual_cndmask_b32 v6, v15, v6 :: v_dual_cndmask_b32 v9, v12, v11
	s_delay_alu instid0(VALU_DEP_1) | instskip(SKIP_1) | instid1(VALU_DEP_3)
	v_bfe_u32 v10, v6, 29, 1
	v_cndmask_b32_e64 v8, v14, v8, s1
	v_alignbit_b32 v11, v6, v9, 30
	s_delay_alu instid0(VALU_DEP_3) | instskip(NEXT) | instid1(VALU_DEP_3)
	v_sub_nc_u32_e32 v12, 0, v10
	v_alignbit_b32 v13, v7, v8, v13
	s_delay_alu instid0(VALU_DEP_1) | instskip(NEXT) | instid1(VALU_DEP_1)
	v_dual_cndmask_b32 v7, v13, v7, vcc_lo :: v_dual_bitop2_b32 v11, v11, v12 bitop3:0x14
	v_clz_i32_u32_e32 v13, v11
	s_delay_alu instid0(VALU_DEP_2) | instskip(SKIP_1) | instid1(VALU_DEP_3)
	v_alignbit_b32 v9, v9, v7, 30
	v_alignbit_b32 v7, v7, v8, 30
	v_min_u32_e32 v13, 32, v13
	s_delay_alu instid0(VALU_DEP_3) | instskip(NEXT) | instid1(VALU_DEP_3)
	v_xor_b32_e32 v8, v9, v12
	v_dual_lshrrev_b32 v12, 29, v6 :: v_dual_bitop2_b32 v7, v7, v12 bitop3:0x14
	s_delay_alu instid0(VALU_DEP_3) | instskip(NEXT) | instid1(VALU_DEP_1)
	v_dual_sub_nc_u32 v9, 31, v13 :: v_dual_lshlrev_b32 v14, 23, v13
	v_alignbit_b32 v11, v11, v8, v9
	s_delay_alu instid0(VALU_DEP_3) | instskip(NEXT) | instid1(VALU_DEP_4)
	v_alignbit_b32 v7, v8, v7, v9
	v_lshlrev_b32_e32 v8, 31, v12
	s_delay_alu instid0(VALU_DEP_2) | instskip(NEXT) | instid1(VALU_DEP_2)
	v_alignbit_b32 v9, v11, v7, 9
	v_dual_lshrrev_b32 v11, 9, v11 :: v_dual_bitop2_b32 v12, 0.5, v8 bitop3:0x54
	v_or_b32_e32 v8, 0x33000000, v8
	s_delay_alu instid0(VALU_DEP_3) | instskip(NEXT) | instid1(VALU_DEP_3)
	v_clz_i32_u32_e32 v15, v9
	v_sub_nc_u32_e32 v12, v12, v14
	s_delay_alu instid0(VALU_DEP_2) | instskip(NEXT) | instid1(VALU_DEP_1)
	v_min_u32_e32 v14, 32, v15
	v_add_lshl_u32 v13, v14, v13, 23
	s_delay_alu instid0(VALU_DEP_3) | instskip(SKIP_1) | instid1(VALU_DEP_2)
	v_or_b32_e32 v11, v11, v12
	v_not_b32_e32 v12, v14
	v_dual_mul_f32 v15, 0x3fc90fda, v11 :: v_dual_sub_nc_u32 v8, v8, v13
	s_delay_alu instid0(VALU_DEP_2) | instskip(NEXT) | instid1(VALU_DEP_2)
	v_alignbit_b32 v7, v9, v7, v12
	v_fma_f32 v9, 0x3fc90fda, v11, -v15
	s_delay_alu instid0(VALU_DEP_2) | instskip(NEXT) | instid1(VALU_DEP_2)
	v_lshrrev_b32_e32 v7, 9, v7
	v_fmamk_f32 v9, v11, 0x33a22168, v9
	s_delay_alu instid0(VALU_DEP_2) | instskip(NEXT) | instid1(VALU_DEP_1)
	v_or_b32_e32 v7, v8, v7
	v_fmac_f32_e32 v9, 0x3fc90fda, v7
	s_delay_alu instid0(VALU_DEP_1) | instskip(NEXT) | instid1(VALU_DEP_1)
	v_dual_add_f32 v6, v15, v9 :: v_dual_lshrrev_b32 v7, 30, v6
	v_add_nc_u32_e32 v7, v10, v7
	s_or_saveexec_b32 s0, s4
	v_mul_f32_e64 v10, 0x3f22f983, |v4|
	s_xor_b32 exec_lo, exec_lo, s0
	s_branch .LBB28_38
.LBB28_37:
	s_or_saveexec_b32 s0, s4
	v_mul_f32_e64 v10, 0x3f22f983, |v4|
	s_xor_b32 exec_lo, exec_lo, s0
.LBB28_38:
	s_delay_alu instid0(VALU_DEP_1) | instskip(NEXT) | instid1(VALU_DEP_1)
	v_rndne_f32_e32 v7, v10
	v_fma_f32 v6, 0xbfc90fda, v7, |v4|
	s_delay_alu instid0(VALU_DEP_1) | instskip(NEXT) | instid1(VALU_DEP_1)
	v_fmamk_f32 v6, v7, 0xb3a22168, v6
	v_fmamk_f32 v6, v7, 0xa7c234c4, v6
	v_cvt_i32_f32_e32 v7, v7
; %bb.39:
	s_or_b32 exec_lo, exec_lo, s0
                                        ; implicit-def: $vgpr9
                                        ; implicit-def: $vgpr8
	s_and_saveexec_b32 s0, s2
	s_delay_alu instid0(SALU_CYCLE_1)
	s_xor_b32 s2, exec_lo, s0
	s_cbranch_execz .LBB28_41
; %bb.40:
	s_mov_b32 s0, 0x7fffff
	v_mov_b32_e32 v9, 0
	v_and_or_b32 v8, v1, s0, 0x800000
	s_mov_b64 s[0:1], 0xfe5163ab
	v_add_nc_u32_e32 v3, 0xffffff88, v3
	s_delay_alu instid0(VALU_DEP_2) | instskip(NEXT) | instid1(VALU_DEP_2)
	v_mul_u64_e32 v[10:11], s[0:1], v[8:9]
	v_cmp_lt_u32_e32 vcc_lo, 63, v3
	s_delay_alu instid0(VALU_DEP_2) | instskip(SKIP_2) | instid1(VALU_DEP_3)
	v_dual_mov_b32 v12, v11 :: v_dual_mov_b32 v13, v9
	v_dual_mov_b32 v15, v9 :: v_dual_mov_b32 v17, v9
	;; [unrolled: 1-line block ×3, first 2 shown]
	v_mad_nc_u64_u32 v[12:13], 0x3c439041, v8, v[12:13]
	v_cndmask_b32_e64 v11, 0, 0xffffffc0, vcc_lo
	s_delay_alu instid0(VALU_DEP_1) | instskip(NEXT) | instid1(VALU_DEP_3)
	v_dual_mov_b32 v23, v9 :: v_dual_add_nc_u32 v3, v11, v3
	v_mov_b32_e32 v14, v13
	s_delay_alu instid0(VALU_DEP_2) | instskip(NEXT) | instid1(VALU_DEP_2)
	v_cmp_lt_u32_e64 s0, 31, v3
	v_mad_nc_u64_u32 v[14:15], 0xdb629599, v8, v[14:15]
	s_delay_alu instid0(VALU_DEP_2) | instskip(NEXT) | instid1(VALU_DEP_1)
	v_cndmask_b32_e64 v11, 0, 0xffffffe0, s0
	v_add_nc_u32_e32 v3, v11, v3
	s_delay_alu instid0(VALU_DEP_3) | instskip(NEXT) | instid1(VALU_DEP_2)
	v_mov_b32_e32 v16, v15
	v_cmp_lt_u32_e64 s1, 31, v3
	v_cndmask_b32_e32 v10, v14, v10, vcc_lo
	s_delay_alu instid0(VALU_DEP_3) | instskip(NEXT) | instid1(VALU_DEP_3)
	v_mad_nc_u64_u32 v[16:17], 0xf534ddc0, v8, v[16:17]
	v_cndmask_b32_e64 v11, 0, 0xffffffe0, s1
	s_delay_alu instid0(VALU_DEP_1) | instskip(NEXT) | instid1(VALU_DEP_3)
	v_dual_add_nc_u32 v3, v11, v3 :: v_dual_cndmask_b32 v11, v16, v12, vcc_lo
	v_mov_b32_e32 v18, v17
	s_delay_alu instid0(VALU_DEP_1) | instskip(NEXT) | instid1(VALU_DEP_1)
	v_mad_nc_u64_u32 v[18:19], 0xfc2757d1, v8, v[18:19]
	v_dual_mov_b32 v20, v19 :: v_dual_cndmask_b32 v15, v18, v14
	s_delay_alu instid0(VALU_DEP_1) | instskip(NEXT) | instid1(VALU_DEP_1)
	v_mad_nc_u64_u32 v[20:21], 0x4e441529, v8, v[20:21]
	v_dual_mov_b32 v22, v21 :: v_dual_cndmask_b32 v13, v20, v16
	s_delay_alu instid0(VALU_DEP_1) | instskip(NEXT) | instid1(VALU_DEP_1)
	v_mad_nc_u64_u32 v[8:9], 0xa2f9836e, v8, v[22:23]
	v_dual_cndmask_b32 v8, v8, v18 :: v_dual_cndmask_b32 v9, v9, v20
	v_cmp_eq_u32_e32 vcc_lo, 0, v3
	s_delay_alu instid0(VALU_DEP_2) | instskip(SKIP_2) | instid1(VALU_DEP_3)
	v_dual_cndmask_b32 v12, v8, v13, s0 :: v_dual_cndmask_b32 v8, v9, v8, s0
	v_cndmask_b32_e64 v9, v13, v15, s0
	v_sub_nc_u32_e32 v13, 32, v3
	v_dual_cndmask_b32 v15, v15, v11, s0 :: v_dual_cndmask_b32 v8, v8, v12, s1
	s_delay_alu instid0(VALU_DEP_3) | instskip(NEXT) | instid1(VALU_DEP_1)
	v_cndmask_b32_e64 v12, v12, v9, s1
	v_alignbit_b32 v16, v8, v12, v13
	s_delay_alu instid0(VALU_DEP_1) | instskip(NEXT) | instid1(VALU_DEP_1)
	v_dual_cndmask_b32 v9, v9, v15, s1 :: v_dual_cndmask_b32 v3, v16, v8, vcc_lo
	v_alignbit_b32 v14, v12, v9, v13
	v_cndmask_b32_e64 v8, v11, v10, s0
	s_delay_alu instid0(VALU_DEP_3) | instskip(NEXT) | instid1(VALU_DEP_3)
	v_bfe_u32 v11, v3, 29, 1
	v_cndmask_b32_e32 v10, v14, v12, vcc_lo
	s_delay_alu instid0(VALU_DEP_2) | instskip(NEXT) | instid1(VALU_DEP_2)
	v_dual_cndmask_b32 v8, v15, v8, s1 :: v_dual_sub_nc_u32 v14, 0, v11
	v_alignbit_b32 v12, v3, v10, 30
	s_delay_alu instid0(VALU_DEP_2) | instskip(NEXT) | instid1(VALU_DEP_1)
	v_alignbit_b32 v13, v9, v8, v13
	v_dual_cndmask_b32 v9, v13, v9, vcc_lo :: v_dual_bitop2_b32 v12, v12, v14 bitop3:0x14
	s_delay_alu instid0(VALU_DEP_1) | instskip(NEXT) | instid1(VALU_DEP_2)
	v_clz_i32_u32_e32 v13, v12
	v_alignbit_b32 v10, v10, v9, 30
	v_alignbit_b32 v8, v9, v8, 30
	s_delay_alu instid0(VALU_DEP_3) | instskip(NEXT) | instid1(VALU_DEP_3)
	v_min_u32_e32 v13, 32, v13
	v_xor_b32_e32 v9, v10, v14
	s_delay_alu instid0(VALU_DEP_3) | instskip(NEXT) | instid1(VALU_DEP_3)
	v_dual_lshrrev_b32 v14, 29, v3 :: v_dual_bitop2_b32 v8, v8, v14 bitop3:0x14
	v_dual_lshrrev_b32 v3, 30, v3 :: v_dual_sub_nc_u32 v10, 31, v13
	v_lshlrev_b32_e32 v15, 23, v13
	s_delay_alu instid0(VALU_DEP_2) | instskip(NEXT) | instid1(VALU_DEP_4)
	v_alignbit_b32 v12, v12, v9, v10
	v_alignbit_b32 v8, v9, v8, v10
	v_lshlrev_b32_e32 v9, 31, v14
	s_delay_alu instid0(VALU_DEP_2) | instskip(NEXT) | instid1(VALU_DEP_2)
	v_alignbit_b32 v10, v12, v8, 9
	v_dual_lshrrev_b32 v12, 9, v12 :: v_dual_bitop2_b32 v14, 0.5, v9 bitop3:0x54
	v_or_b32_e32 v9, 0x33000000, v9
	s_delay_alu instid0(VALU_DEP_3) | instskip(NEXT) | instid1(VALU_DEP_3)
	v_clz_i32_u32_e32 v16, v10
	v_sub_nc_u32_e32 v14, v14, v15
	s_delay_alu instid0(VALU_DEP_2) | instskip(NEXT) | instid1(VALU_DEP_1)
	v_min_u32_e32 v15, 32, v16
	v_add_lshl_u32 v13, v15, v13, 23
	s_delay_alu instid0(VALU_DEP_1) | instskip(SKIP_1) | instid1(VALU_DEP_1)
	v_dual_sub_nc_u32 v9, v9, v13 :: v_dual_bitop2_b32 v12, v12, v14 bitop3:0x54
	v_not_b32_e32 v14, v15
	v_alignbit_b32 v8, v10, v8, v14
	s_delay_alu instid0(VALU_DEP_1) | instskip(NEXT) | instid1(VALU_DEP_4)
	v_lshrrev_b32_e32 v8, 9, v8
	v_mul_f32_e32 v16, 0x3fc90fda, v12
	s_delay_alu instid0(VALU_DEP_2) | instskip(NEXT) | instid1(VALU_DEP_2)
	v_or_b32_e32 v8, v9, v8
	v_fma_f32 v10, 0x3fc90fda, v12, -v16
	s_delay_alu instid0(VALU_DEP_1) | instskip(NEXT) | instid1(VALU_DEP_1)
	v_dual_fmamk_f32 v10, v12, 0x33a22168, v10 :: v_dual_add_nc_u32 v9, v11, v3
	v_fmac_f32_e32 v10, 0x3fc90fda, v8
	s_delay_alu instid0(VALU_DEP_1)
	v_add_f32_e32 v8, v16, v10
                                        ; implicit-def: $vgpr10
	s_and_not1_saveexec_b32 s0, s2
	s_cbranch_execnz .LBB28_42
	s_branch .LBB28_43
.LBB28_41:
	s_and_not1_saveexec_b32 s0, s2
.LBB28_42:
	v_rndne_f32_e32 v3, v10
	s_delay_alu instid0(VALU_DEP_1) | instskip(SKIP_1) | instid1(VALU_DEP_2)
	v_fma_f32 v8, 0xbfc90fda, v3, |v4|
	v_cvt_i32_f32_e32 v9, v3
	v_fmamk_f32 v8, v3, 0xb3a22168, v8
	s_delay_alu instid0(VALU_DEP_1)
	v_fmamk_f32 v8, v3, 0xa7c234c4, v8
.LBB28_43:
	s_or_b32 exec_lo, exec_lo, s0
	v_ashrrev_i32_e32 v3, 31, v2
	s_lshr_b32 s0, s3, 31
	s_mov_b32 s2, 0xb94c1982
	s_add_co_i32 s0, s3, s0
	s_mov_b32 s3, 0x37d75334
	s_ashr_i32 s0, s0, 1
	v_lshl_add_u64 v[10:11], v[2:3], 1, s[12:13]
	s_ashr_i32 s1, s0, 31
	v_mul_f32_e32 v3, v8, v8
	s_lshl_b64 s[0:1], s[0:1], 1
	s_delay_alu instid0(VALU_DEP_2) | instid1(SALU_CYCLE_1)
	v_add_nc_u64_e32 v[10:11], s[0:1], v[10:11]
	s_clause 0x1
	global_load_u16 v12, v[10:11], off
	global_load_u16 v13, v2, s[12:13] scale_offset
	s_wait_xcnt 0x0
	v_dual_mul_f32 v2, v6, v6 :: v_dual_bitop2_b32 v10, 1, v7 bitop3:0x40
	v_lshlrev_b32_e32 v7, 30, v7
	v_fmaak_f32 v15, s2, v3, 0x3c0881c4
	v_fmaak_f32 v16, s3, v3, 0xbab64f3b
	s_delay_alu instid0(VALU_DEP_4) | instskip(SKIP_1) | instid1(VALU_DEP_4)
	v_fmaak_f32 v14, s3, v2, 0xbab64f3b
	v_cmp_eq_u32_e32 vcc_lo, 0, v10
	v_fmaak_f32 v15, v3, v15, 0xbe2aaa9d
	s_delay_alu instid0(VALU_DEP_1) | instskip(NEXT) | instid1(VALU_DEP_1)
	v_dual_fmaak_f32 v14, v2, v14, 0x3d2aabf7 :: v_dual_mul_f32 v15, v3, v15
	v_dual_fmaak_f32 v11, s2, v2, 0x3c0881c4 :: v_dual_fmac_f32 v8, v8, v15
	s_delay_alu instid0(VALU_DEP_1) | instskip(SKIP_1) | instid1(VALU_DEP_2)
	v_fmaak_f32 v11, v2, v11, 0xbe2aaa9d
	v_dual_lshlrev_b32 v9, 30, v9 :: v_dual_bitop2_b32 v17, 1, v9 bitop3:0x40
	v_dual_fmaak_f32 v16, v3, v16, 0x3d2aabf7 :: v_dual_mul_f32 v11, v2, v11
	v_xor_b32_e32 v1, v1, v4
	s_delay_alu instid0(VALU_DEP_3) | instskip(NEXT) | instid1(VALU_DEP_3)
	v_and_b32_e32 v9, 0x80000000, v9
	v_fmaak_f32 v16, v3, v16, 0xbf000004
	s_delay_alu instid0(VALU_DEP_4) | instskip(NEXT) | instid1(VALU_DEP_2)
	v_fmac_f32_e32 v6, v6, v11
	v_fma_f32 v3, v3, v16, 1.0
	v_fmaak_f32 v14, v2, v14, 0xbf000004
	s_delay_alu instid0(VALU_DEP_1) | instskip(NEXT) | instid1(VALU_DEP_1)
	v_fma_f32 v2, v2, v14, 1.0
	v_cndmask_b32_e64 v2, -v6, v2, vcc_lo
	v_cmp_eq_u32_e32 vcc_lo, 0, v17
	s_delay_alu instid0(VALU_DEP_2) | instskip(SKIP_2) | instid1(VALU_DEP_2)
	v_bitop3_b32 v2, v7, v2, 0x80000000 bitop3:0x6c
	v_cndmask_b32_e32 v3, v3, v8, vcc_lo
	v_cmp_class_f32_e64 vcc_lo, v4, 0x1f8
	v_xor3_b32 v1, v1, v9, v3
	s_wait_loadcnt 0x1
	v_cvt_f32_f16_e32 v7, v12
	s_wait_loadcnt 0x0
	v_cvt_f32_f16_e32 v8, v13
	v_cndmask_b32_e32 v4, 0x7fc00000, v2, vcc_lo
	v_dual_cndmask_b32 v2, 0x7fc00000, v1 :: v_dual_ashrrev_i32 v1, 31, v0
	s_delay_alu instid0(VALU_DEP_1) | instskip(NEXT) | instid1(VALU_DEP_2)
	v_mul_f32_e64 v6, v2, -v5
	v_lshl_add_u64 v[2:3], v[0:1], 1, s[14:15]
	s_delay_alu instid0(VALU_DEP_2) | instskip(SKIP_1) | instid1(VALU_DEP_3)
	v_dual_mul_f32 v1, v5, v4 :: v_dual_mul_f32 v4, v6, v7
	v_mul_f32_e32 v5, v6, v8
	v_add_nc_u64_e32 v[2:3], s[0:1], v[2:3]
	s_delay_alu instid0(VALU_DEP_3) | instskip(NEXT) | instid1(VALU_DEP_3)
	v_fma_mixlo_f16 v4, v1, v13, -v4 op_sel_hi:[0,1,0]
	v_fma_mixlo_f16 v1, v1, v12, v5 op_sel_hi:[0,1,0]
	s_clause 0x1
	global_store_b16 v0, v4, s[14:15] scale_offset
	global_store_b16 v[2:3], v1, off
.LBB28_44:
	s_endpgm
	.section	.rodata,"a",@progbits
	.p2align	6, 0x0
	.amdhsa_kernel _ZL10rope_multiILb0ELb0E6__halfEvPKT1_PS1_iiiiiiiiiiPKifff14rope_corr_dimsfPKf14mrope_sectionsb
		.amdhsa_group_segment_fixed_size 0
		.amdhsa_private_segment_fixed_size 0
		.amdhsa_kernarg_size 376
		.amdhsa_user_sgpr_count 2
		.amdhsa_user_sgpr_dispatch_ptr 0
		.amdhsa_user_sgpr_queue_ptr 0
		.amdhsa_user_sgpr_kernarg_segment_ptr 1
		.amdhsa_user_sgpr_dispatch_id 0
		.amdhsa_user_sgpr_kernarg_preload_length 0
		.amdhsa_user_sgpr_kernarg_preload_offset 0
		.amdhsa_user_sgpr_private_segment_size 0
		.amdhsa_wavefront_size32 1
		.amdhsa_uses_dynamic_stack 0
		.amdhsa_enable_private_segment 0
		.amdhsa_system_sgpr_workgroup_id_x 1
		.amdhsa_system_sgpr_workgroup_id_y 1
		.amdhsa_system_sgpr_workgroup_id_z 0
		.amdhsa_system_sgpr_workgroup_info 0
		.amdhsa_system_vgpr_workitem_id 1
		.amdhsa_next_free_vgpr 25
		.amdhsa_next_free_sgpr 25
		.amdhsa_named_barrier_count 0
		.amdhsa_reserve_vcc 1
		.amdhsa_float_round_mode_32 0
		.amdhsa_float_round_mode_16_64 0
		.amdhsa_float_denorm_mode_32 3
		.amdhsa_float_denorm_mode_16_64 3
		.amdhsa_fp16_overflow 0
		.amdhsa_memory_ordered 1
		.amdhsa_forward_progress 1
		.amdhsa_inst_pref_size 105
		.amdhsa_round_robin_scheduling 0
		.amdhsa_exception_fp_ieee_invalid_op 0
		.amdhsa_exception_fp_denorm_src 0
		.amdhsa_exception_fp_ieee_div_zero 0
		.amdhsa_exception_fp_ieee_overflow 0
		.amdhsa_exception_fp_ieee_underflow 0
		.amdhsa_exception_fp_ieee_inexact 0
		.amdhsa_exception_int_div_zero 0
	.end_amdhsa_kernel
	.section	.text._ZL10rope_multiILb0ELb0E6__halfEvPKT1_PS1_iiiiiiiiiiPKifff14rope_corr_dimsfPKf14mrope_sectionsb,"axG",@progbits,_ZL10rope_multiILb0ELb0E6__halfEvPKT1_PS1_iiiiiiiiiiPKifff14rope_corr_dimsfPKf14mrope_sectionsb,comdat
.Lfunc_end28:
	.size	_ZL10rope_multiILb0ELb0E6__halfEvPKT1_PS1_iiiiiiiiiiPKifff14rope_corr_dimsfPKf14mrope_sectionsb, .Lfunc_end28-_ZL10rope_multiILb0ELb0E6__halfEvPKT1_PS1_iiiiiiiiiiPKifff14rope_corr_dimsfPKf14mrope_sectionsb
                                        ; -- End function
	.set _ZL10rope_multiILb0ELb0E6__halfEvPKT1_PS1_iiiiiiiiiiPKifff14rope_corr_dimsfPKf14mrope_sectionsb.num_vgpr, 25
	.set _ZL10rope_multiILb0ELb0E6__halfEvPKT1_PS1_iiiiiiiiiiPKifff14rope_corr_dimsfPKf14mrope_sectionsb.num_agpr, 0
	.set _ZL10rope_multiILb0ELb0E6__halfEvPKT1_PS1_iiiiiiiiiiPKifff14rope_corr_dimsfPKf14mrope_sectionsb.numbered_sgpr, 25
	.set _ZL10rope_multiILb0ELb0E6__halfEvPKT1_PS1_iiiiiiiiiiPKifff14rope_corr_dimsfPKf14mrope_sectionsb.num_named_barrier, 0
	.set _ZL10rope_multiILb0ELb0E6__halfEvPKT1_PS1_iiiiiiiiiiPKifff14rope_corr_dimsfPKf14mrope_sectionsb.private_seg_size, 0
	.set _ZL10rope_multiILb0ELb0E6__halfEvPKT1_PS1_iiiiiiiiiiPKifff14rope_corr_dimsfPKf14mrope_sectionsb.uses_vcc, 1
	.set _ZL10rope_multiILb0ELb0E6__halfEvPKT1_PS1_iiiiiiiiiiPKifff14rope_corr_dimsfPKf14mrope_sectionsb.uses_flat_scratch, 0
	.set _ZL10rope_multiILb0ELb0E6__halfEvPKT1_PS1_iiiiiiiiiiPKifff14rope_corr_dimsfPKf14mrope_sectionsb.has_dyn_sized_stack, 0
	.set _ZL10rope_multiILb0ELb0E6__halfEvPKT1_PS1_iiiiiiiiiiPKifff14rope_corr_dimsfPKf14mrope_sectionsb.has_recursion, 0
	.set _ZL10rope_multiILb0ELb0E6__halfEvPKT1_PS1_iiiiiiiiiiPKifff14rope_corr_dimsfPKf14mrope_sectionsb.has_indirect_call, 0
	.section	.AMDGPU.csdata,"",@progbits
; Kernel info:
; codeLenInByte = 13396
; TotalNumSgprs: 27
; NumVgprs: 25
; ScratchSize: 0
; MemoryBound: 0
; FloatMode: 240
; IeeeMode: 1
; LDSByteSize: 0 bytes/workgroup (compile time only)
; SGPRBlocks: 0
; VGPRBlocks: 1
; NumSGPRsForWavesPerEU: 27
; NumVGPRsForWavesPerEU: 25
; NamedBarCnt: 0
; Occupancy: 16
; WaveLimiterHint : 0
; COMPUTE_PGM_RSRC2:SCRATCH_EN: 0
; COMPUTE_PGM_RSRC2:USER_SGPR: 2
; COMPUTE_PGM_RSRC2:TRAP_HANDLER: 0
; COMPUTE_PGM_RSRC2:TGID_X_EN: 1
; COMPUTE_PGM_RSRC2:TGID_Y_EN: 1
; COMPUTE_PGM_RSRC2:TGID_Z_EN: 0
; COMPUTE_PGM_RSRC2:TIDIG_COMP_CNT: 1
	.section	.text._ZL10rope_multiILb0ELb1E6__halfEvPKT1_PS1_iiiiiiiiiiPKifff14rope_corr_dimsfPKf14mrope_sectionsb,"axG",@progbits,_ZL10rope_multiILb0ELb1E6__halfEvPKT1_PS1_iiiiiiiiiiPKifff14rope_corr_dimsfPKf14mrope_sectionsb,comdat
	.globl	_ZL10rope_multiILb0ELb1E6__halfEvPKT1_PS1_iiiiiiiiiiPKifff14rope_corr_dimsfPKf14mrope_sectionsb ; -- Begin function _ZL10rope_multiILb0ELb1E6__halfEvPKT1_PS1_iiiiiiiiiiPKifff14rope_corr_dimsfPKf14mrope_sectionsb
	.p2align	8
	.type	_ZL10rope_multiILb0ELb1E6__halfEvPKT1_PS1_iiiiiiiiiiPKifff14rope_corr_dimsfPKf14mrope_sectionsb,@function
_ZL10rope_multiILb0ELb1E6__halfEvPKT1_PS1_iiiiiiiiiiPKifff14rope_corr_dimsfPKf14mrope_sectionsb: ; @_ZL10rope_multiILb0ELb1E6__halfEvPKT1_PS1_iiiiiiiiiiPKifff14rope_corr_dimsfPKf14mrope_sectionsb
; %bb.0:
	s_clause 0x1
	s_load_u16 s3, s[0:1], 0x86
	s_load_b256 s[4:11], s[0:1], 0x10
	s_bfe_u32 s2, ttmp6, 0x40010
	s_bfe_u32 s13, ttmp6, 0x40004
	s_add_co_i32 s2, s2, 1
	v_bfe_u32 v1, v0, 10, 10
	s_mul_i32 s12, ttmp7, s2
	s_getreg_b32 s2, hwreg(HW_REG_IB_STS2, 6, 4)
	s_add_co_i32 s13, s13, s12
	s_cmp_eq_u32 s2, 0
	s_cselect_b32 s12, ttmp7, s13
	s_wait_kmcnt 0x0
	s_mul_i32 s12, s12, s3
	s_mov_b32 s3, exec_lo
	v_add_lshl_u32 v4, s12, v1, 1
	s_delay_alu instid0(VALU_DEP_1)
	v_cmpx_gt_i32_e64 s4, v4
	s_cbranch_execz .LBB29_44
; %bb.1:
	s_add_nc_u64 s[12:13], s[0:1], 0x78
	s_bfe_u32 s4, ttmp6, 0x4000c
	s_load_b32 s3, s[12:13], 0xc
	s_add_co_i32 s4, s4, 1
	s_wait_xcnt 0x0
	s_and_b32 s12, ttmp6, 15
	s_mul_i32 s4, ttmp9, s4
	v_and_b32_e32 v0, 0x3ff, v0
	s_add_co_i32 s12, s12, s4
	s_load_b64 s[20:21], s[0:1], 0x30
	s_wait_kmcnt 0x0
	s_and_b32 s3, s3, 0xffff
	s_cmp_eq_u32 s2, 0
	s_mul_i32 s2, s6, s5
	s_cselect_b32 s4, ttmp9, s12
	s_abs_i32 s12, s2
	v_mad_u32 v0, s4, s3, v0
	s_cvt_f32_u32 s13, s12
	s_sub_co_i32 s4, 0, s12
	s_delay_alu instid0(SALU_CYCLE_2) | instskip(SKIP_1) | instid1(TRANS32_DEP_1)
	v_rcp_iflag_f32_e32 v1, s13
	v_nop
	v_readfirstlane_b32 s3, v1
	s_delay_alu instid0(VALU_DEP_3) | instskip(SKIP_1) | instid1(VALU_DEP_1)
	v_sub_nc_u32_e32 v1, 0, v0
	s_mul_f32 s3, s3, 0x4f7ffffe
	v_max_i32_e32 v1, v0, v1
	s_delay_alu instid0(SALU_CYCLE_2) | instskip(NEXT) | instid1(SALU_CYCLE_3)
	s_cvt_u32_f32 s3, s3
	s_mul_i32 s4, s4, s3
	s_delay_alu instid0(SALU_CYCLE_1) | instskip(NEXT) | instid1(SALU_CYCLE_1)
	s_mul_hi_u32 s4, s3, s4
	s_add_co_i32 s3, s3, s4
	s_delay_alu instid0(SALU_CYCLE_1) | instskip(SKIP_1) | instid1(VALU_DEP_1)
	v_mul_hi_u32 v2, v1, s3
	s_cvt_f32_u32 s3, s5
	v_mul_lo_u32 v3, v2, s12
	s_delay_alu instid0(VALU_DEP_1) | instskip(NEXT) | instid1(VALU_DEP_1)
	v_dual_sub_nc_u32 v1, v1, v3 :: v_dual_add_nc_u32 v3, 1, v2
	v_cmp_le_u32_e32 vcc_lo, s12, v1
	s_delay_alu instid0(VALU_DEP_2) | instskip(SKIP_1) | instid1(VALU_DEP_1)
	v_dual_cndmask_b32 v2, v2, v3, vcc_lo :: v_dual_bitop2_b32 v3, s2, v0 bitop3:0x14
	v_subrev_nc_u32_e32 v5, s12, v1
	v_dual_cndmask_b32 v1, v1, v5, vcc_lo :: v_dual_add_nc_u32 v5, 1, v2
	s_delay_alu instid0(VALU_DEP_1) | instskip(NEXT) | instid1(VALU_DEP_4)
	v_cmp_le_u32_e32 vcc_lo, s12, v1
	v_ashrrev_i32_e32 v3, 31, v3
	s_load_b128 s[12:15], s[0:1], 0x0
	s_delay_alu instid0(VALU_DEP_3) | instskip(SKIP_1) | instid1(VALU_DEP_1)
	v_cndmask_b32_e32 v1, v2, v5, vcc_lo
	v_rcp_iflag_f32_e32 v2, s3
	v_xor_b32_e32 v1, v1, v3
	s_delay_alu instid0(TRANS32_DEP_1) | instskip(NEXT) | instid1(VALU_DEP_2)
	v_readfirstlane_b32 s3, v2
	v_sub_nc_u32_e32 v3, v1, v3
	s_delay_alu instid0(VALU_DEP_1) | instskip(SKIP_2) | instid1(SALU_CYCLE_2)
	v_mul_lo_u32 v1, s2, v3
	s_mul_f32 s2, s3, 0x4f7ffffe
	s_sub_co_i32 s3, 0, s5
	s_cvt_u32_f32 s2, s2
	s_delay_alu instid0(SALU_CYCLE_3) | instskip(NEXT) | instid1(VALU_DEP_1)
	s_mul_i32 s3, s3, s2
	v_sub_nc_u32_e32 v0, v0, v1
	s_mul_hi_u32 s3, s2, s3
	s_delay_alu instid0(SALU_CYCLE_1)
	s_add_co_i32 s2, s2, s3
	s_delay_alu instid0(VALU_DEP_1) | instid1(SALU_CYCLE_1)
	v_mul_hi_u32 v1, v0, s2
	s_mov_b32 s2, exec_lo
	s_delay_alu instid0(VALU_DEP_1) | instskip(NEXT) | instid1(VALU_DEP_1)
	v_mul_lo_u32 v2, v1, s5
	v_dual_add_nc_u32 v5, 1, v1 :: v_dual_sub_nc_u32 v2, v0, v2
	s_delay_alu instid0(VALU_DEP_1) | instskip(SKIP_1) | instid1(VALU_DEP_2)
	v_subrev_nc_u32_e32 v6, s5, v2
	v_cmp_le_u32_e32 vcc_lo, s5, v2
	v_dual_cndmask_b32 v5, v1, v5 :: v_dual_cndmask_b32 v2, v2, v6
	s_delay_alu instid0(VALU_DEP_1) | instskip(NEXT) | instid1(VALU_DEP_2)
	v_dual_ashrrev_i32 v1, 1, v4 :: v_dual_add_nc_u32 v6, 1, v5
	v_cmp_le_u32_e32 vcc_lo, s5, v2
	s_delay_alu instid0(VALU_DEP_2) | instskip(SKIP_1) | instid1(VALU_DEP_4)
	v_mad_u32 v7, v3, s20, v1
	v_mad_u32 v8, v3, s9, v1
	v_cndmask_b32_e32 v3, v5, v6, vcc_lo
	s_delay_alu instid0(VALU_DEP_1) | instskip(NEXT) | instid1(VALU_DEP_4)
	v_mul_lo_u32 v2, v3, s5
	v_mad_u32 v5, v3, s11, v7
	s_delay_alu instid0(VALU_DEP_4) | instskip(NEXT) | instid1(VALU_DEP_3)
	v_mad_u32 v6, v3, s8, v8
	v_sub_nc_u32_e32 v2, v0, v2
	s_delay_alu instid0(VALU_DEP_1) | instskip(NEXT) | instid1(VALU_DEP_3)
	v_mad_u32 v0, v2, s10, v5
	v_mad_u32 v2, v2, s7, v6
	v_cmpx_le_i32_e64 s21, v4
	s_xor_b32 s2, exec_lo, s2
	s_cbranch_execz .LBB29_3
; %bb.2:
	s_delay_alu instid0(VALU_DEP_2)
	v_dual_add_nc_u32 v2, v2, v1 :: v_dual_add_nc_u32 v0, v0, v1
                                        ; implicit-def: $vgpr4
	s_wait_kmcnt 0x0
	global_load_u16 v3, v2, s[12:13] scale_offset
	s_wait_loadcnt 0x0
	global_store_b16 v0, v3, s[14:15] scale_offset
	global_load_u16 v1, v2, s[12:13] offset:2 scale_offset
                                        ; implicit-def: $vgpr2
                                        ; implicit-def: $vgpr3
	s_wait_loadcnt 0x0
	global_store_b16 v0, v1, s[14:15] offset:2 scale_offset
                                        ; implicit-def: $vgpr0
                                        ; implicit-def: $vgpr1
.LBB29_3:
	s_wait_xcnt 0x0
	s_and_not1_saveexec_b32 s2, s2
	s_cbranch_execz .LBB29_44
; %bb.4:
	s_clause 0x3
	s_load_b128 s[16:19], s[0:1], 0x60
	s_load_b64 s[22:23], s[0:1], 0x50
	s_load_b64 s[24:25], s[0:1], 0x38
	s_load_b128 s[8:11], s[0:1], 0x40
	v_ashrrev_i32_e32 v7, 31, v1
	s_wait_kmcnt 0x0
	s_add_co_i32 s2, s17, s16
	s_delay_alu instid0(SALU_CYCLE_1) | instskip(NEXT) | instid1(SALU_CYCLE_1)
	s_add_co_i32 s7, s2, s18
	s_add_co_i32 s3, s7, s19
	s_delay_alu instid0(SALU_CYCLE_1) | instskip(NEXT) | instid1(SALU_CYCLE_1)
	s_abs_i32 s3, s3
	s_cvt_f32_u32 s4, s3
	s_sub_co_i32 s5, 0, s3
	s_delay_alu instid0(SALU_CYCLE_2) | instskip(SKIP_1) | instid1(TRANS32_DEP_1)
	v_rcp_iflag_f32_e32 v5, s4
	v_nop
	v_readfirstlane_b32 s4, v5
	v_sub_nc_u32_e32 v5, 0, v1
	s_mul_f32 s4, s4, 0x4f7ffffe
	s_delay_alu instid0(VALU_DEP_1) | instskip(NEXT) | instid1(SALU_CYCLE_2)
	v_max_i32_e32 v5, v1, v5
	s_cvt_u32_f32 s4, s4
	s_delay_alu instid0(SALU_CYCLE_3) | instskip(NEXT) | instid1(SALU_CYCLE_1)
	s_mul_i32 s5, s5, s4
	s_mul_hi_u32 s5, s4, s5
	s_delay_alu instid0(SALU_CYCLE_1) | instskip(NEXT) | instid1(SALU_CYCLE_1)
	s_add_co_i32 s4, s4, s5
	v_mul_hi_u32 v6, v5, s4
	s_load_b32 s4, s[0:1], 0x70
	s_delay_alu instid0(VALU_DEP_1) | instskip(NEXT) | instid1(VALU_DEP_1)
	v_mul_lo_u32 v6, v6, s3
	v_sub_nc_u32_e32 v5, v5, v6
	s_delay_alu instid0(VALU_DEP_1) | instskip(SKIP_1) | instid1(VALU_DEP_2)
	v_subrev_nc_u32_e32 v6, s3, v5
	v_cmp_le_u32_e32 vcc_lo, s3, v5
	v_cndmask_b32_e32 v5, v5, v6, vcc_lo
	s_delay_alu instid0(VALU_DEP_1) | instskip(SKIP_3) | instid1(SALU_CYCLE_1)
	v_subrev_nc_u32_e32 v6, s3, v5
	v_cmp_le_u32_e32 vcc_lo, s3, v5
	s_wait_kmcnt 0x0
	s_and_b32 s3, s4, 1
	s_cmp_eq_u32 s3, 0
	v_cndmask_b32_e32 v5, v5, v6, vcc_lo
	s_delay_alu instid0(VALU_DEP_1) | instskip(NEXT) | instid1(VALU_DEP_1)
	v_xor_b32_e32 v5, v5, v7
	v_sub_nc_u32_e32 v5, v5, v7
	s_cbranch_scc0 .LBB29_18
; %bb.5:
                                        ; implicit-def: $vgpr6
	s_mov_b32 s3, exec_lo
	s_delay_alu instid0(VALU_DEP_1)
	v_cmpx_le_i32_e64 s16, v5
	s_xor_b32 s5, exec_lo, s3
	s_cbranch_execz .LBB29_15
; %bb.6:
	v_cmp_le_i32_e32 vcc_lo, s2, v5
                                        ; implicit-def: $vgpr6
	s_and_saveexec_b32 s2, vcc_lo
	s_delay_alu instid0(SALU_CYCLE_1)
	s_xor_b32 s19, exec_lo, s2
	s_cbranch_execz .LBB29_12
; %bb.7:
	v_cvt_f32_i32_e32 v6, v4
	s_cmp_neq_f32 s23, 1.0
	s_mov_b32 s2, 0x3e76c4e1
	s_cselect_b32 vcc_lo, -1, 0
	s_delay_alu instid0(VALU_DEP_1) | instskip(NEXT) | instid1(VALU_DEP_1)
	v_mul_f32_e32 v6, 0.5, v6
	v_cndmask_b32_e32 v7, 1.0, v6, vcc_lo
	s_delay_alu instid0(VALU_DEP_1) | instskip(SKIP_1) | instid1(VALU_DEP_1)
	v_cmp_neq_f32_e32 vcc_lo, 0, v7
	v_cndmask_b32_e64 v6, 1.0, s23, vcc_lo
	v_frexp_mant_f32_e64 v8, |v6|
	v_cmp_lt_f32_e64 s26, |v6|, 1.0
	v_cmp_eq_f32_e64 s4, 0, v6
	s_delay_alu instid0(VALU_DEP_3) | instskip(SKIP_1) | instid1(VALU_DEP_1)
	v_cmp_gt_f32_e32 vcc_lo, 0x3f2aaaab, v8
	v_cndmask_b32_e64 v9, 1.0, 2.0, vcc_lo
	v_mul_f32_e32 v8, v8, v9
	s_delay_alu instid0(VALU_DEP_1) | instskip(SKIP_1) | instid1(VALU_DEP_2)
	v_dual_add_f32 v11, 1.0, v8 :: v_dual_add_f32 v9, -1.0, v8
	v_cmp_neq_f32_e64 s20, v7, |v7|
	v_rcp_f32_e32 v14, v11
	v_add_f32_e32 v12, -1.0, v11
	s_xor_b32 s20, s20, s26
	s_delay_alu instid0(TRANS32_DEP_1) | instid1(VALU_DEP_1)
	v_dual_sub_f32 v8, v8, v12 :: v_dual_mul_f32 v15, v9, v14
	s_delay_alu instid0(VALU_DEP_1) | instskip(NEXT) | instid1(VALU_DEP_1)
	v_mul_f32_e32 v10, v11, v15
	v_fma_f32 v12, v15, v11, -v10
	s_delay_alu instid0(VALU_DEP_1) | instskip(NEXT) | instid1(VALU_DEP_1)
	v_fmac_f32_e32 v12, v15, v8
	v_add_f32_e32 v8, v10, v12
	s_delay_alu instid0(VALU_DEP_1) | instskip(NEXT) | instid1(VALU_DEP_1)
	v_dual_sub_f32 v11, v9, v8 :: v_dual_mov_b32 v13, v8
	v_pk_add_f32 v[8:9], v[8:9], v[10:11] neg_lo:[0,1] neg_hi:[0,1]
	s_delay_alu instid0(VALU_DEP_1) | instskip(NEXT) | instid1(VALU_DEP_1)
	v_pk_add_f32 v[8:9], v[8:9], v[12:13] neg_lo:[0,1] neg_hi:[0,1]
	v_add_f32_e32 v8, v8, v9
	s_delay_alu instid0(VALU_DEP_1) | instskip(NEXT) | instid1(VALU_DEP_1)
	v_add_f32_e32 v8, v11, v8
	v_mul_f32_e32 v9, v14, v8
	s_delay_alu instid0(VALU_DEP_1) | instskip(NEXT) | instid1(VALU_DEP_1)
	v_add_f32_e32 v8, v15, v9
	v_sub_f32_e32 v10, v8, v15
	s_delay_alu instid0(VALU_DEP_1) | instskip(NEXT) | instid1(VALU_DEP_1)
	v_sub_f32_e32 v20, v9, v10
	v_add_f32_e32 v10, v20, v20
	v_mul_f32_e32 v11, v8, v8
	s_delay_alu instid0(VALU_DEP_1) | instskip(NEXT) | instid1(VALU_DEP_1)
	v_fma_f32 v9, v8, v8, -v11
	v_fmac_f32_e32 v9, v8, v10
	s_delay_alu instid0(VALU_DEP_1) | instskip(NEXT) | instid1(VALU_DEP_1)
	v_add_f32_e32 v10, v11, v9
	v_dual_fmaak_f32 v12, s2, v10, 0x3e91f4c4 :: v_dual_sub_f32 v11, v10, v11
	s_delay_alu instid0(VALU_DEP_1) | instskip(SKIP_1) | instid1(VALU_DEP_2)
	v_fmaak_f32 v14, v10, v12, 0x3ecccdef
	v_cvt_f64_f32_e64 v[12:13], |v6|
	v_dual_sub_f32 v18, v9, v11 :: v_dual_mul_f32 v15, v10, v14
	s_delay_alu instid0(VALU_DEP_1) | instskip(NEXT) | instid1(VALU_DEP_1)
	v_fma_f32 v9, v10, v14, -v15
	v_fmac_f32_e32 v9, v18, v14
	s_delay_alu instid0(VALU_DEP_1) | instskip(NEXT) | instid1(VALU_DEP_1)
	v_add_f32_e32 v11, v15, v9
	v_sub_f32_e32 v14, v11, v15
	v_add_f32_e32 v15, 0x3f2aaaaa, v11
	s_delay_alu instid0(VALU_DEP_1) | instskip(SKIP_1) | instid1(VALU_DEP_2)
	v_dual_sub_f32 v9, v9, v14 :: v_dual_add_f32 v14, 0xbf2aaaaa, v15
	v_frexp_exp_i32_f64_e32 v19, v[12:13]
	v_sub_f32_e32 v11, v11, v14
	s_delay_alu instid0(VALU_DEP_3) | instskip(NEXT) | instid1(VALU_DEP_1)
	v_add_f32_e32 v9, 0x31739010, v9
	v_pk_mul_f32 v[12:13], v[8:9], v[10:11]
	s_delay_alu instid0(VALU_DEP_1) | instskip(NEXT) | instid1(VALU_DEP_1)
	v_fma_f32 v14, v10, v8, -v12
	v_fmac_f32_e32 v14, v10, v20
	s_delay_alu instid0(VALU_DEP_1) | instskip(SKIP_1) | instid1(VALU_DEP_1)
	v_fmac_f32_e32 v14, v18, v8
	v_pk_add_f32 v[16:17], v[8:9], v[10:11]
	v_mov_b32_e32 v13, v17
	v_subrev_co_ci_u32_e64 v9, null, 0, v19, vcc_lo
	s_delay_alu instid0(VALU_DEP_2) | instskip(NEXT) | instid1(VALU_DEP_2)
	v_pk_add_f32 v[10:11], v[12:13], v[14:15]
	v_cvt_f32_i32_e32 v9, v9
	s_delay_alu instid0(VALU_DEP_2) | instskip(NEXT) | instid1(VALU_DEP_3)
	v_mov_b32_e32 v16, v11
	v_dual_sub_f32 v13, v15, v11 :: v_dual_sub_f32 v15, v10, v12
	s_delay_alu instid0(VALU_DEP_2) | instskip(NEXT) | instid1(VALU_DEP_2)
	v_pk_mul_f32 v[18:19], v[10:11], v[16:17]
	v_dual_add_f32 v13, v17, v13 :: v_dual_sub_f32 v14, v14, v15
	s_delay_alu instid0(VALU_DEP_2) | instskip(NEXT) | instid1(VALU_DEP_1)
	v_fma_f32 v12, v10, v11, -v18
	v_fmac_f32_e32 v12, v10, v13
	s_delay_alu instid0(VALU_DEP_1) | instskip(SKIP_2) | instid1(VALU_DEP_3)
	v_fmac_f32_e32 v12, v14, v11
	v_mul_f32_e32 v16, 0x3f317218, v9
	v_ldexp_f32 v11, v8, 1
	v_add_f32_e32 v17, v18, v12
	s_delay_alu instid0(VALU_DEP_3) | instskip(NEXT) | instid1(VALU_DEP_2)
	v_fma_f32 v10, 0x3f317218, v9, -v16
	v_dual_mov_b32 v19, v11 :: v_dual_mov_b32 v14, v17
	s_delay_alu instid0(VALU_DEP_2) | instskip(NEXT) | instid1(VALU_DEP_1)
	v_fmamk_f32 v10, v9, 0xb102e308, v10
	v_pk_add_f32 v[8:9], v[16:17], v[10:11]
	v_mov_b32_e32 v13, v17
	v_ldexp_f32 v11, v20, 1
	s_delay_alu instid0(VALU_DEP_3) | instskip(NEXT) | instid1(VALU_DEP_1)
	v_dual_mov_b32 v15, v9 :: v_dual_mov_b32 v22, v9
	v_pk_add_f32 v[14:15], v[14:15], v[18:19] neg_lo:[0,1] neg_hi:[0,1]
	s_delay_alu instid0(VALU_DEP_1) | instskip(NEXT) | instid1(VALU_DEP_1)
	v_pk_add_f32 v[12:13], v[12:13], v[14:15] neg_lo:[0,1] neg_hi:[0,1]
	v_add_f32_e32 v11, v11, v12
	s_delay_alu instid0(VALU_DEP_1) | instskip(NEXT) | instid1(VALU_DEP_1)
	v_dual_add_f32 v17, v11, v13 :: v_dual_mov_b32 v11, v8
	v_pk_add_f32 v[12:13], v[8:9], v[16:17]
	v_pk_add_f32 v[14:15], v[8:9], v[16:17] neg_lo:[0,1] neg_hi:[0,1]
	s_delay_alu instid0(VALU_DEP_2) | instskip(NEXT) | instid1(VALU_DEP_1)
	v_mov_b32_e32 v15, v13
	v_pk_add_f32 v[18:19], v[10:11], v[14:15]
	v_pk_add_f32 v[10:11], v[10:11], v[14:15] neg_lo:[0,1] neg_hi:[0,1]
	s_delay_alu instid0(VALU_DEP_2) | instskip(NEXT) | instid1(VALU_DEP_1)
	v_dual_mov_b32 v16, v19 :: v_dual_mov_b32 v11, v19
	v_pk_add_f32 v[20:21], v[16:17], v[8:9] neg_lo:[0,1] neg_hi:[0,1]
	v_dual_mov_b32 v18, v13 :: v_dual_mov_b32 v9, v8
	s_delay_alu instid0(VALU_DEP_2) | instskip(SKIP_1) | instid1(VALU_DEP_2)
	v_dual_mov_b32 v8, v17 :: v_dual_mov_b32 v23, v20
	v_mov_b32_e32 v17, v20
	v_pk_add_f32 v[14:15], v[18:19], v[22:23] neg_lo:[0,1] neg_hi:[0,1]
	s_delay_alu instid0(VALU_DEP_2) | instskip(SKIP_1) | instid1(VALU_DEP_3)
	v_pk_add_f32 v[12:13], v[12:13], v[16:17] neg_lo:[0,1] neg_hi:[0,1]
	v_mov_b32_e32 v12, v10
	v_pk_add_f32 v[8:9], v[8:9], v[14:15] neg_lo:[0,1] neg_hi:[0,1]
	s_delay_alu instid0(VALU_DEP_1) | instskip(NEXT) | instid1(VALU_DEP_1)
	v_pk_add_f32 v[12:13], v[12:13], v[8:9]
	v_mov_b32_e32 v14, v13
	s_delay_alu instid0(VALU_DEP_1) | instskip(NEXT) | instid1(VALU_DEP_1)
	v_pk_add_f32 v[14:15], v[12:13], v[14:15]
	v_pk_add_f32 v[16:17], v[16:17], v[14:15]
	s_delay_alu instid0(VALU_DEP_1) | instskip(NEXT) | instid1(VALU_DEP_1)
	v_dual_mov_b32 v9, v14 :: v_dual_mov_b32 v13, v16
	v_pk_add_f32 v[18:19], v[12:13], v[10:11] neg_lo:[0,1] neg_hi:[0,1]
	s_delay_alu instid0(VALU_DEP_1) | instskip(NEXT) | instid1(VALU_DEP_2)
	v_sub_f32_e32 v11, v12, v18
	v_pk_add_f32 v[8:9], v[8:9], v[18:19] neg_lo:[0,1] neg_hi:[0,1]
	s_delay_alu instid0(VALU_DEP_2) | instskip(NEXT) | instid1(VALU_DEP_1)
	v_sub_f32_e32 v10, v10, v11
	v_add_f32_e32 v8, v8, v10
	s_delay_alu instid0(VALU_DEP_1) | instskip(NEXT) | instid1(VALU_DEP_1)
	v_add_f32_e32 v8, v8, v9
	v_add_f32_e32 v9, v16, v8
	s_delay_alu instid0(VALU_DEP_1) | instskip(NEXT) | instid1(VALU_DEP_1)
	v_dual_sub_f32 v10, v9, v16 :: v_dual_mul_f32 v11, v7, v9
	v_dual_sub_f32 v8, v8, v10 :: v_dual_fma_f32 v9, v7, v9, -v11
	v_cmp_class_f32_e64 vcc_lo, v11, 0x204
	s_delay_alu instid0(VALU_DEP_2) | instskip(NEXT) | instid1(VALU_DEP_1)
	v_fmac_f32_e32 v9, v7, v8
	v_add_f32_e32 v8, v11, v9
	s_delay_alu instid0(VALU_DEP_1) | instskip(NEXT) | instid1(VALU_DEP_1)
	v_cndmask_b32_e32 v10, v8, v11, vcc_lo
	v_cmp_eq_f32_e32 vcc_lo, 0x42b17218, v10
	v_cndmask_b32_e64 v12, 0, 0x37000000, vcc_lo
	v_cmp_neq_f32_e64 vcc_lo, 0x7f800000, |v10|
	s_delay_alu instid0(VALU_DEP_2) | instskip(SKIP_1) | instid1(VALU_DEP_2)
	v_dual_sub_f32 v13, v10, v12 :: v_dual_sub_f32 v8, v8, v11
	v_trunc_f32_e32 v10, v7
	v_mul_f32_e32 v14, 0x3fb8aa3b, v13
	s_delay_alu instid0(VALU_DEP_3) | instskip(NEXT) | instid1(VALU_DEP_2)
	v_sub_f32_e32 v8, v9, v8
	v_fma_f32 v15, 0x3fb8aa3b, v13, -v14
	v_rndne_f32_e32 v16, v14
	s_delay_alu instid0(VALU_DEP_3) | instskip(SKIP_1) | instid1(VALU_DEP_3)
	v_cndmask_b32_e32 v8, 0, v8, vcc_lo
	v_cmp_ngt_f32_e32 vcc_lo, 0xc2ce8ed0, v13
	v_dual_fmamk_f32 v15, v13, 0x32a5705f, v15 :: v_dual_sub_f32 v14, v14, v16
	s_delay_alu instid0(VALU_DEP_1) | instskip(NEXT) | instid1(VALU_DEP_1)
	v_add_f32_e32 v14, v14, v15
	v_exp_f32_e32 v11, v14
	v_nop
	v_cvt_i32_f32_e32 v14, v16
	s_delay_alu instid0(TRANS32_DEP_1) | instid1(VALU_DEP_1)
	v_ldexp_f32 v9, v11, v14
	s_delay_alu instid0(VALU_DEP_1) | instskip(NEXT) | instid1(VALU_DEP_1)
	v_dual_mul_f32 v11, 0.5, v7 :: v_dual_cndmask_b32 v9, 0, v9, vcc_lo
	v_trunc_f32_e32 v14, v11
	v_cmp_nlt_f32_e32 vcc_lo, 0x42b17218, v13
	v_add_f32_e32 v8, v12, v8
	s_delay_alu instid0(VALU_DEP_3) | instskip(SKIP_2) | instid1(VALU_DEP_2)
	v_cmp_neq_f32_e64 s2, v14, v11
	v_cndmask_b32_e32 v9, 0x7f800000, v9, vcc_lo
	v_cmp_eq_f32_e32 vcc_lo, v10, v7
	v_cmp_class_f32_e64 s3, v9, 0x204
	s_and_b32 s2, vcc_lo, s2
	s_delay_alu instid0(SALU_CYCLE_1) | instskip(NEXT) | instid1(VALU_DEP_1)
	v_dual_fma_f32 v8, v9, v8, v9 :: v_dual_cndmask_b32 v10, 1.0, v6, s2
	v_cndmask_b32_e64 v8, v8, v9, s3
	v_cndmask_b32_e64 v9, 0x7f800000, 0, s20
	v_cmp_gt_f32_e64 s3, 0, v7
	s_delay_alu instid0(VALU_DEP_3) | instskip(SKIP_1) | instid1(SALU_CYCLE_1)
	v_bfi_b32 v8, 0x7fffffff, v8, v10
	s_xor_b32 s3, s3, s4
	v_cndmask_b32_e64 v11, 0x7f800000, 0, s3
	s_delay_alu instid0(VALU_DEP_2) | instskip(SKIP_3) | instid1(VALU_DEP_4)
	v_cndmask_b32_e32 v10, 0x7fc00000, v8, vcc_lo
	v_cmp_neq_f32_e64 vcc_lo, |v6|, 1.0
	v_cndmask_b32_e32 v9, 1.0, v9, vcc_lo
	v_cmp_gt_f32_e32 vcc_lo, 0, v6
	v_cndmask_b32_e32 v8, v8, v10, vcc_lo
	v_cmp_class_f32_e64 vcc_lo, v7, 0x204
	v_cndmask_b32_e64 v10, 0, v6, s2
	v_cmp_class_f32_e64 s2, v6, 0x204
	s_delay_alu instid0(VALU_DEP_4) | instskip(NEXT) | instid1(VALU_DEP_3)
	v_cndmask_b32_e32 v7, v8, v9, vcc_lo
	v_bfi_b32 v8, 0x7fffffff, v11, v10
	s_or_b32 vcc_lo, s4, s2
	v_cmp_o_f32_e64 s2, v6, v6
                                        ; implicit-def: $vgpr6
	s_delay_alu instid0(VALU_DEP_2) | instskip(NEXT) | instid1(VALU_DEP_1)
	v_cndmask_b32_e32 v7, v7, v8, vcc_lo
	v_cndmask_b32_e64 v7, 0x7fc00000, v7, s2
	s_mov_b32 s2, exec_lo
	v_cmpx_le_i32_e64 s7, v5
	s_xor_b32 s2, exec_lo, s2
	s_cbranch_execz .LBB29_9
; %bb.8:
	v_mad_u32 v6, s6, 3, v3
	global_load_b32 v6, v6, s[24:25] scale_offset
	s_wait_loadcnt 0x0
	v_cvt_f32_i32_e32 v6, v6
	s_delay_alu instid0(VALU_DEP_1)
	v_mul_f32_e32 v6, v7, v6
                                        ; implicit-def: $vgpr7
.LBB29_9:
	s_and_not1_saveexec_b32 s2, s2
	s_cbranch_execz .LBB29_11
; %bb.10:
	v_lshl_add_u32 v6, s6, 1, v3
	global_load_b32 v6, v6, s[24:25] scale_offset
	s_wait_loadcnt 0x0
	v_cvt_f32_i32_e32 v6, v6
	s_delay_alu instid0(VALU_DEP_1)
	v_mul_f32_e32 v6, v7, v6
.LBB29_11:
	s_or_b32 exec_lo, exec_lo, s2
.LBB29_12:
	s_and_not1_saveexec_b32 s7, s19
	s_cbranch_execz .LBB29_14
; %bb.13:
	v_cvt_f32_i32_e32 v6, v4
	s_cmp_neq_f32 s23, 1.0
	s_mov_b32 s2, 0x3e76c4e1
	s_cselect_b32 vcc_lo, -1, 0
	s_delay_alu instid0(VALU_DEP_1) | instskip(NEXT) | instid1(VALU_DEP_1)
	v_mul_f32_e32 v6, 0.5, v6
	v_cndmask_b32_e32 v7, 1.0, v6, vcc_lo
	s_delay_alu instid0(VALU_DEP_1) | instskip(SKIP_1) | instid1(VALU_DEP_1)
	v_cmp_neq_f32_e32 vcc_lo, 0, v7
	v_cndmask_b32_e64 v6, 1.0, s23, vcc_lo
	v_frexp_mant_f32_e64 v8, |v6|
	v_cmp_lt_f32_e64 s20, |v6|, 1.0
	v_cmp_eq_f32_e64 s4, 0, v6
	s_delay_alu instid0(VALU_DEP_3) | instskip(SKIP_1) | instid1(VALU_DEP_1)
	v_cmp_gt_f32_e32 vcc_lo, 0x3f2aaaab, v8
	v_cndmask_b32_e64 v9, 1.0, 2.0, vcc_lo
	v_mul_f32_e32 v8, v8, v9
	s_delay_alu instid0(VALU_DEP_1) | instskip(SKIP_1) | instid1(VALU_DEP_2)
	v_dual_add_f32 v11, 1.0, v8 :: v_dual_add_f32 v9, -1.0, v8
	v_cmp_neq_f32_e64 s19, v7, |v7|
	v_rcp_f32_e32 v14, v11
	v_add_f32_e32 v12, -1.0, v11
	s_xor_b32 s19, s19, s20
	s_delay_alu instid0(TRANS32_DEP_1) | instid1(VALU_DEP_1)
	v_dual_sub_f32 v8, v8, v12 :: v_dual_mul_f32 v15, v9, v14
	s_delay_alu instid0(VALU_DEP_1) | instskip(NEXT) | instid1(VALU_DEP_1)
	v_mul_f32_e32 v10, v11, v15
	v_fma_f32 v12, v15, v11, -v10
	s_delay_alu instid0(VALU_DEP_1) | instskip(NEXT) | instid1(VALU_DEP_1)
	v_fmac_f32_e32 v12, v15, v8
	v_add_f32_e32 v8, v10, v12
	s_delay_alu instid0(VALU_DEP_1) | instskip(NEXT) | instid1(VALU_DEP_1)
	v_dual_sub_f32 v11, v9, v8 :: v_dual_mov_b32 v13, v8
	v_pk_add_f32 v[8:9], v[8:9], v[10:11] neg_lo:[0,1] neg_hi:[0,1]
	s_delay_alu instid0(VALU_DEP_1) | instskip(NEXT) | instid1(VALU_DEP_1)
	v_pk_add_f32 v[8:9], v[8:9], v[12:13] neg_lo:[0,1] neg_hi:[0,1]
	v_add_f32_e32 v8, v8, v9
	s_delay_alu instid0(VALU_DEP_1) | instskip(NEXT) | instid1(VALU_DEP_1)
	v_add_f32_e32 v8, v11, v8
	v_mul_f32_e32 v9, v14, v8
	s_delay_alu instid0(VALU_DEP_1) | instskip(NEXT) | instid1(VALU_DEP_1)
	v_add_f32_e32 v8, v15, v9
	v_sub_f32_e32 v10, v8, v15
	s_delay_alu instid0(VALU_DEP_1) | instskip(NEXT) | instid1(VALU_DEP_1)
	v_sub_f32_e32 v20, v9, v10
	v_add_f32_e32 v10, v20, v20
	v_mul_f32_e32 v11, v8, v8
	s_delay_alu instid0(VALU_DEP_1) | instskip(NEXT) | instid1(VALU_DEP_1)
	v_fma_f32 v9, v8, v8, -v11
	v_fmac_f32_e32 v9, v8, v10
	s_delay_alu instid0(VALU_DEP_1) | instskip(NEXT) | instid1(VALU_DEP_1)
	v_add_f32_e32 v10, v11, v9
	v_dual_fmaak_f32 v12, s2, v10, 0x3e91f4c4 :: v_dual_sub_f32 v11, v10, v11
	s_delay_alu instid0(VALU_DEP_1) | instskip(NEXT) | instid1(VALU_DEP_2)
	v_fmaak_f32 v14, v10, v12, 0x3ecccdef
	v_sub_f32_e32 v18, v9, v11
	v_add_nc_u32_e32 v11, s6, v3
	v_cvt_f64_f32_e64 v[12:13], |v6|
	s_delay_alu instid0(VALU_DEP_4) | instskip(SKIP_2) | instid1(VALU_DEP_1)
	v_mul_f32_e32 v15, v10, v14
	global_load_b32 v24, v11, s[24:25] scale_offset
	v_fma_f32 v9, v10, v14, -v15
	v_fmac_f32_e32 v9, v18, v14
	s_wait_xcnt 0x0
	s_delay_alu instid0(VALU_DEP_1) | instskip(NEXT) | instid1(VALU_DEP_1)
	v_add_f32_e32 v11, v15, v9
	v_sub_f32_e32 v14, v11, v15
	v_add_f32_e32 v15, 0x3f2aaaaa, v11
	s_delay_alu instid0(VALU_DEP_1) | instskip(SKIP_1) | instid1(VALU_DEP_2)
	v_dual_sub_f32 v9, v9, v14 :: v_dual_add_f32 v14, 0xbf2aaaaa, v15
	v_frexp_exp_i32_f64_e32 v19, v[12:13]
	v_add_f32_e32 v9, 0x31739010, v9
	s_delay_alu instid0(VALU_DEP_3) | instskip(NEXT) | instid1(VALU_DEP_1)
	v_sub_f32_e32 v11, v11, v14
	v_pk_mul_f32 v[12:13], v[8:9], v[10:11]
	s_delay_alu instid0(VALU_DEP_1) | instskip(NEXT) | instid1(VALU_DEP_1)
	v_fma_f32 v14, v10, v8, -v12
	v_fmac_f32_e32 v14, v10, v20
	s_delay_alu instid0(VALU_DEP_1) | instskip(SKIP_1) | instid1(VALU_DEP_1)
	v_fmac_f32_e32 v14, v18, v8
	v_pk_add_f32 v[16:17], v[8:9], v[10:11]
	v_mov_b32_e32 v13, v17
	v_subrev_co_ci_u32_e64 v9, null, 0, v19, vcc_lo
	s_delay_alu instid0(VALU_DEP_2) | instskip(NEXT) | instid1(VALU_DEP_2)
	v_pk_add_f32 v[10:11], v[12:13], v[14:15]
	v_cvt_f32_i32_e32 v9, v9
	s_delay_alu instid0(VALU_DEP_2) | instskip(NEXT) | instid1(VALU_DEP_3)
	v_mov_b32_e32 v16, v11
	v_dual_sub_f32 v13, v15, v11 :: v_dual_sub_f32 v15, v10, v12
	s_delay_alu instid0(VALU_DEP_2) | instskip(NEXT) | instid1(VALU_DEP_2)
	v_pk_mul_f32 v[18:19], v[10:11], v[16:17]
	v_sub_f32_e32 v14, v14, v15
	s_delay_alu instid0(VALU_DEP_2) | instskip(NEXT) | instid1(VALU_DEP_1)
	v_dual_fma_f32 v12, v10, v11, -v18 :: v_dual_add_f32 v13, v17, v13
	v_fmac_f32_e32 v12, v10, v13
	s_delay_alu instid0(VALU_DEP_1) | instskip(SKIP_2) | instid1(VALU_DEP_3)
	v_fmac_f32_e32 v12, v14, v11
	v_mul_f32_e32 v16, 0x3f317218, v9
	v_ldexp_f32 v11, v8, 1
	v_add_f32_e32 v17, v18, v12
	s_delay_alu instid0(VALU_DEP_3) | instskip(NEXT) | instid1(VALU_DEP_2)
	v_fma_f32 v10, 0x3f317218, v9, -v16
	v_dual_mov_b32 v19, v11 :: v_dual_mov_b32 v14, v17
	s_delay_alu instid0(VALU_DEP_2) | instskip(NEXT) | instid1(VALU_DEP_1)
	v_fmamk_f32 v10, v9, 0xb102e308, v10
	v_pk_add_f32 v[8:9], v[16:17], v[10:11]
	v_ldexp_f32 v11, v20, 1
	s_delay_alu instid0(VALU_DEP_2) | instskip(NEXT) | instid1(VALU_DEP_1)
	v_dual_mov_b32 v13, v17 :: v_dual_mov_b32 v15, v9
	v_pk_add_f32 v[14:15], v[14:15], v[18:19] neg_lo:[0,1] neg_hi:[0,1]
	s_delay_alu instid0(VALU_DEP_1) | instskip(NEXT) | instid1(VALU_DEP_1)
	v_pk_add_f32 v[12:13], v[12:13], v[14:15] neg_lo:[0,1] neg_hi:[0,1]
	v_add_f32_e32 v11, v11, v12
	s_delay_alu instid0(VALU_DEP_1) | instskip(NEXT) | instid1(VALU_DEP_1)
	v_dual_add_f32 v17, v11, v13 :: v_dual_mov_b32 v11, v8
	v_pk_add_f32 v[12:13], v[8:9], v[16:17]
	v_pk_add_f32 v[14:15], v[8:9], v[16:17] neg_lo:[0,1] neg_hi:[0,1]
	s_delay_alu instid0(VALU_DEP_2) | instskip(NEXT) | instid1(VALU_DEP_1)
	v_dual_mov_b32 v22, v9 :: v_dual_mov_b32 v15, v13
	v_pk_add_f32 v[18:19], v[10:11], v[14:15]
	s_delay_alu instid0(VALU_DEP_1) | instskip(SKIP_1) | instid1(VALU_DEP_2)
	v_dual_mov_b32 v18, v13 :: v_dual_mov_b32 v16, v19
	v_pk_add_f32 v[10:11], v[10:11], v[14:15] neg_lo:[0,1] neg_hi:[0,1]
	v_pk_add_f32 v[20:21], v[16:17], v[8:9] neg_lo:[0,1] neg_hi:[0,1]
	v_dual_mov_b32 v9, v8 :: v_dual_mov_b32 v8, v17
	s_delay_alu instid0(VALU_DEP_2) | instskip(NEXT) | instid1(VALU_DEP_1)
	v_dual_mov_b32 v17, v20 :: v_dual_mov_b32 v23, v20
	v_pk_add_f32 v[12:13], v[12:13], v[16:17] neg_lo:[0,1] neg_hi:[0,1]
	s_delay_alu instid0(VALU_DEP_2) | instskip(SKIP_1) | instid1(VALU_DEP_2)
	v_pk_add_f32 v[14:15], v[18:19], v[22:23] neg_lo:[0,1] neg_hi:[0,1]
	v_mov_b32_e32 v12, v10
	v_pk_add_f32 v[8:9], v[8:9], v[14:15] neg_lo:[0,1] neg_hi:[0,1]
	s_delay_alu instid0(VALU_DEP_1) | instskip(NEXT) | instid1(VALU_DEP_1)
	v_pk_add_f32 v[12:13], v[12:13], v[8:9]
	v_mov_b32_e32 v14, v13
	s_delay_alu instid0(VALU_DEP_1) | instskip(NEXT) | instid1(VALU_DEP_1)
	v_pk_add_f32 v[14:15], v[12:13], v[14:15]
	v_pk_add_f32 v[16:17], v[16:17], v[14:15]
	s_delay_alu instid0(VALU_DEP_1) | instskip(NEXT) | instid1(VALU_DEP_1)
	v_dual_mov_b32 v11, v19 :: v_dual_mov_b32 v13, v16
	v_pk_add_f32 v[18:19], v[12:13], v[10:11] neg_lo:[0,1] neg_hi:[0,1]
	s_delay_alu instid0(VALU_DEP_1) | instskip(NEXT) | instid1(VALU_DEP_1)
	v_dual_mov_b32 v9, v14 :: v_dual_sub_f32 v11, v12, v18
	v_pk_add_f32 v[8:9], v[8:9], v[18:19] neg_lo:[0,1] neg_hi:[0,1]
	s_delay_alu instid0(VALU_DEP_2) | instskip(NEXT) | instid1(VALU_DEP_1)
	v_sub_f32_e32 v10, v10, v11
	v_add_f32_e32 v8, v8, v10
	s_delay_alu instid0(VALU_DEP_1) | instskip(NEXT) | instid1(VALU_DEP_1)
	v_add_f32_e32 v8, v8, v9
	v_add_f32_e32 v9, v16, v8
	s_delay_alu instid0(VALU_DEP_1) | instskip(NEXT) | instid1(VALU_DEP_1)
	v_dual_sub_f32 v10, v9, v16 :: v_dual_mul_f32 v11, v7, v9
	v_sub_f32_e32 v8, v8, v10
	s_delay_alu instid0(VALU_DEP_2) | instskip(SKIP_1) | instid1(VALU_DEP_1)
	v_cmp_class_f32_e64 vcc_lo, v11, 0x204
	v_fma_f32 v9, v7, v9, -v11
	v_fmac_f32_e32 v9, v7, v8
	s_delay_alu instid0(VALU_DEP_1) | instskip(NEXT) | instid1(VALU_DEP_1)
	v_add_f32_e32 v8, v11, v9
	v_cndmask_b32_e32 v10, v8, v11, vcc_lo
	s_delay_alu instid0(VALU_DEP_1) | instskip(SKIP_2) | instid1(VALU_DEP_2)
	v_cmp_eq_f32_e32 vcc_lo, 0x42b17218, v10
	v_cndmask_b32_e64 v12, 0, 0x37000000, vcc_lo
	v_cmp_neq_f32_e64 vcc_lo, 0x7f800000, |v10|
	v_dual_sub_f32 v13, v10, v12 :: v_dual_sub_f32 v8, v8, v11
	v_trunc_f32_e32 v10, v7
	s_delay_alu instid0(VALU_DEP_2) | instskip(NEXT) | instid1(VALU_DEP_1)
	v_mul_f32_e32 v14, 0x3fb8aa3b, v13
	v_fma_f32 v15, 0x3fb8aa3b, v13, -v14
	v_rndne_f32_e32 v16, v14
	s_delay_alu instid0(VALU_DEP_1) | instskip(NEXT) | instid1(VALU_DEP_1)
	v_dual_fmamk_f32 v15, v13, 0x32a5705f, v15 :: v_dual_sub_f32 v14, v14, v16
	v_dual_add_f32 v14, v14, v15 :: v_dual_sub_f32 v8, v9, v8
	s_delay_alu instid0(VALU_DEP_1)
	v_exp_f32_e32 v11, v14
	v_nop
	v_cvt_i32_f32_e32 v14, v16
	s_delay_alu instid0(TRANS32_DEP_1) | instid1(VALU_DEP_1)
	v_ldexp_f32 v9, v11, v14
	v_dual_mul_f32 v11, 0.5, v7 :: v_dual_cndmask_b32 v8, 0, v8
	v_cmp_ngt_f32_e32 vcc_lo, 0xc2ce8ed0, v13
	s_delay_alu instid0(VALU_DEP_2) | instskip(NEXT) | instid1(VALU_DEP_4)
	v_trunc_f32_e32 v14, v11
	v_cndmask_b32_e32 v9, 0, v9, vcc_lo
	v_cmp_nlt_f32_e32 vcc_lo, 0x42b17218, v13
	s_delay_alu instid0(VALU_DEP_3) | instskip(NEXT) | instid1(VALU_DEP_3)
	v_cmp_neq_f32_e64 s2, v14, v11
	v_cndmask_b32_e32 v9, 0x7f800000, v9, vcc_lo
	v_cmp_eq_f32_e32 vcc_lo, v10, v7
	s_delay_alu instid0(VALU_DEP_2) | instskip(SKIP_1) | instid1(SALU_CYCLE_1)
	v_cmp_class_f32_e64 s3, v9, 0x204
	s_and_b32 s2, vcc_lo, s2
	v_dual_cndmask_b32 v10, 1.0, v6, s2 :: v_dual_add_f32 v8, v12, v8
	s_delay_alu instid0(VALU_DEP_1) | instskip(NEXT) | instid1(VALU_DEP_1)
	v_fma_f32 v8, v9, v8, v9
	v_cndmask_b32_e64 v8, v8, v9, s3
	v_cndmask_b32_e64 v9, 0x7f800000, 0, s19
	v_cmp_gt_f32_e64 s3, 0, v7
	s_delay_alu instid0(VALU_DEP_3) | instskip(SKIP_1) | instid1(SALU_CYCLE_1)
	v_bfi_b32 v8, 0x7fffffff, v8, v10
	s_xor_b32 s3, s3, s4
	v_cndmask_b32_e64 v11, 0x7f800000, 0, s3
	s_delay_alu instid0(VALU_DEP_2) | instskip(SKIP_3) | instid1(VALU_DEP_4)
	v_cndmask_b32_e32 v10, 0x7fc00000, v8, vcc_lo
	v_cmp_neq_f32_e64 vcc_lo, |v6|, 1.0
	v_cndmask_b32_e32 v9, 1.0, v9, vcc_lo
	v_cmp_gt_f32_e32 vcc_lo, 0, v6
	v_cndmask_b32_e32 v8, v8, v10, vcc_lo
	v_cndmask_b32_e64 v10, 0, v6, s2
	v_cmp_class_f32_e64 vcc_lo, v7, 0x204
	v_cmp_class_f32_e64 s2, v6, 0x204
	s_delay_alu instid0(VALU_DEP_4) | instskip(NEXT) | instid1(VALU_DEP_4)
	v_cndmask_b32_e32 v7, v8, v9, vcc_lo
	v_bfi_b32 v8, 0x7fffffff, v11, v10
	s_or_b32 vcc_lo, s4, s2
	s_delay_alu instid0(VALU_DEP_1) | instskip(SKIP_3) | instid1(VALU_DEP_3)
	v_cndmask_b32_e32 v7, v7, v8, vcc_lo
	v_cmp_o_f32_e32 vcc_lo, v6, v6
	s_wait_loadcnt 0x0
	v_cvt_f32_i32_e32 v8, v24
	v_cndmask_b32_e32 v6, 0x7fc00000, v7, vcc_lo
	s_delay_alu instid0(VALU_DEP_1)
	v_mul_f32_e32 v6, v6, v8
.LBB29_14:
	s_or_b32 exec_lo, exec_lo, s7
.LBB29_15:
	s_and_not1_saveexec_b32 s5, s5
	s_cbranch_execz .LBB29_17
; %bb.16:
	v_cvt_f32_i32_e32 v6, v4
	s_cmp_neq_f32 s23, 1.0
	s_mov_b32 s2, 0x3e76c4e1
	global_load_b32 v24, v3, s[24:25] scale_offset
	s_cselect_b32 vcc_lo, -1, 0
	v_mul_f32_e32 v6, 0.5, v6
	s_delay_alu instid0(VALU_DEP_1) | instskip(NEXT) | instid1(VALU_DEP_1)
	v_cndmask_b32_e32 v7, 1.0, v6, vcc_lo
	v_cmp_neq_f32_e32 vcc_lo, 0, v7
	v_cndmask_b32_e64 v6, 1.0, s23, vcc_lo
	s_delay_alu instid0(VALU_DEP_1) | instskip(SKIP_2) | instid1(VALU_DEP_3)
	v_frexp_mant_f32_e64 v8, |v6|
	v_cmp_lt_f32_e64 s19, |v6|, 1.0
	v_cmp_eq_f32_e64 s4, 0, v6
	v_cmp_gt_f32_e32 vcc_lo, 0x3f2aaaab, v8
	v_cndmask_b32_e64 v9, 1.0, 2.0, vcc_lo
	s_delay_alu instid0(VALU_DEP_1) | instskip(NEXT) | instid1(VALU_DEP_1)
	v_mul_f32_e32 v8, v8, v9
	v_dual_add_f32 v11, 1.0, v8 :: v_dual_add_f32 v9, -1.0, v8
	v_cmp_neq_f32_e64 s7, v7, |v7|
	s_delay_alu instid0(VALU_DEP_2)
	v_rcp_f32_e32 v14, v11
	v_add_f32_e32 v12, -1.0, v11
	s_xor_b32 s7, s7, s19
	s_delay_alu instid0(TRANS32_DEP_1) | instid1(VALU_DEP_1)
	v_dual_sub_f32 v8, v8, v12 :: v_dual_mul_f32 v15, v9, v14
	s_delay_alu instid0(VALU_DEP_1) | instskip(NEXT) | instid1(VALU_DEP_1)
	v_mul_f32_e32 v10, v11, v15
	v_fma_f32 v12, v15, v11, -v10
	s_delay_alu instid0(VALU_DEP_1) | instskip(NEXT) | instid1(VALU_DEP_1)
	v_fmac_f32_e32 v12, v15, v8
	v_add_f32_e32 v8, v10, v12
	s_delay_alu instid0(VALU_DEP_1) | instskip(NEXT) | instid1(VALU_DEP_1)
	v_dual_sub_f32 v11, v9, v8 :: v_dual_mov_b32 v13, v8
	v_pk_add_f32 v[8:9], v[8:9], v[10:11] neg_lo:[0,1] neg_hi:[0,1]
	s_delay_alu instid0(VALU_DEP_1) | instskip(NEXT) | instid1(VALU_DEP_1)
	v_pk_add_f32 v[8:9], v[8:9], v[12:13] neg_lo:[0,1] neg_hi:[0,1]
	v_add_f32_e32 v8, v8, v9
	s_delay_alu instid0(VALU_DEP_1) | instskip(NEXT) | instid1(VALU_DEP_1)
	v_add_f32_e32 v8, v11, v8
	v_mul_f32_e32 v9, v14, v8
	s_delay_alu instid0(VALU_DEP_1) | instskip(NEXT) | instid1(VALU_DEP_1)
	v_add_f32_e32 v8, v15, v9
	v_sub_f32_e32 v10, v8, v15
	s_delay_alu instid0(VALU_DEP_1) | instskip(NEXT) | instid1(VALU_DEP_1)
	v_sub_f32_e32 v20, v9, v10
	v_add_f32_e32 v10, v20, v20
	v_mul_f32_e32 v11, v8, v8
	s_delay_alu instid0(VALU_DEP_1) | instskip(NEXT) | instid1(VALU_DEP_1)
	v_fma_f32 v9, v8, v8, -v11
	v_fmac_f32_e32 v9, v8, v10
	s_delay_alu instid0(VALU_DEP_1) | instskip(NEXT) | instid1(VALU_DEP_1)
	v_add_f32_e32 v10, v11, v9
	v_dual_fmaak_f32 v12, s2, v10, 0x3e91f4c4 :: v_dual_sub_f32 v11, v10, v11
	s_delay_alu instid0(VALU_DEP_1) | instskip(SKIP_1) | instid1(VALU_DEP_2)
	v_fmaak_f32 v14, v10, v12, 0x3ecccdef
	v_cvt_f64_f32_e64 v[12:13], |v6|
	v_dual_sub_f32 v18, v9, v11 :: v_dual_mul_f32 v15, v10, v14
	s_delay_alu instid0(VALU_DEP_1) | instskip(NEXT) | instid1(VALU_DEP_1)
	v_fma_f32 v9, v10, v14, -v15
	v_fmac_f32_e32 v9, v18, v14
	s_delay_alu instid0(VALU_DEP_1) | instskip(NEXT) | instid1(VALU_DEP_1)
	v_add_f32_e32 v11, v15, v9
	v_sub_f32_e32 v14, v11, v15
	v_add_f32_e32 v15, 0x3f2aaaaa, v11
	s_delay_alu instid0(VALU_DEP_1) | instskip(SKIP_1) | instid1(VALU_DEP_2)
	v_dual_sub_f32 v9, v9, v14 :: v_dual_add_f32 v14, 0xbf2aaaaa, v15
	v_frexp_exp_i32_f64_e32 v19, v[12:13]
	v_sub_f32_e32 v11, v11, v14
	s_delay_alu instid0(VALU_DEP_3) | instskip(NEXT) | instid1(VALU_DEP_1)
	v_add_f32_e32 v9, 0x31739010, v9
	v_pk_mul_f32 v[12:13], v[8:9], v[10:11]
	s_delay_alu instid0(VALU_DEP_1) | instskip(NEXT) | instid1(VALU_DEP_1)
	v_fma_f32 v14, v10, v8, -v12
	v_fmac_f32_e32 v14, v10, v20
	s_delay_alu instid0(VALU_DEP_1) | instskip(SKIP_1) | instid1(VALU_DEP_1)
	v_fmac_f32_e32 v14, v18, v8
	v_pk_add_f32 v[16:17], v[8:9], v[10:11]
	v_mov_b32_e32 v13, v17
	v_subrev_co_ci_u32_e64 v9, null, 0, v19, vcc_lo
	s_delay_alu instid0(VALU_DEP_2) | instskip(NEXT) | instid1(VALU_DEP_2)
	v_pk_add_f32 v[10:11], v[12:13], v[14:15]
	v_cvt_f32_i32_e32 v9, v9
	s_delay_alu instid0(VALU_DEP_2) | instskip(NEXT) | instid1(VALU_DEP_3)
	v_mov_b32_e32 v16, v11
	v_dual_sub_f32 v13, v15, v11 :: v_dual_sub_f32 v15, v10, v12
	s_delay_alu instid0(VALU_DEP_2) | instskip(NEXT) | instid1(VALU_DEP_2)
	v_pk_mul_f32 v[18:19], v[10:11], v[16:17]
	v_dual_add_f32 v13, v17, v13 :: v_dual_sub_f32 v14, v14, v15
	s_delay_alu instid0(VALU_DEP_2) | instskip(NEXT) | instid1(VALU_DEP_1)
	v_fma_f32 v12, v10, v11, -v18
	v_fmac_f32_e32 v12, v10, v13
	s_delay_alu instid0(VALU_DEP_1) | instskip(SKIP_2) | instid1(VALU_DEP_3)
	v_fmac_f32_e32 v12, v14, v11
	v_mul_f32_e32 v16, 0x3f317218, v9
	v_ldexp_f32 v11, v8, 1
	v_add_f32_e32 v17, v18, v12
	s_delay_alu instid0(VALU_DEP_3) | instskip(NEXT) | instid1(VALU_DEP_2)
	v_fma_f32 v10, 0x3f317218, v9, -v16
	v_dual_mov_b32 v19, v11 :: v_dual_mov_b32 v14, v17
	s_delay_alu instid0(VALU_DEP_2) | instskip(NEXT) | instid1(VALU_DEP_1)
	v_fmamk_f32 v10, v9, 0xb102e308, v10
	v_pk_add_f32 v[8:9], v[16:17], v[10:11]
	v_mov_b32_e32 v13, v17
	v_ldexp_f32 v11, v20, 1
	s_delay_alu instid0(VALU_DEP_3) | instskip(NEXT) | instid1(VALU_DEP_1)
	v_dual_mov_b32 v15, v9 :: v_dual_mov_b32 v22, v9
	v_pk_add_f32 v[14:15], v[14:15], v[18:19] neg_lo:[0,1] neg_hi:[0,1]
	s_delay_alu instid0(VALU_DEP_1) | instskip(NEXT) | instid1(VALU_DEP_1)
	v_pk_add_f32 v[12:13], v[12:13], v[14:15] neg_lo:[0,1] neg_hi:[0,1]
	v_add_f32_e32 v11, v11, v12
	s_delay_alu instid0(VALU_DEP_1) | instskip(NEXT) | instid1(VALU_DEP_1)
	v_dual_add_f32 v17, v11, v13 :: v_dual_mov_b32 v11, v8
	v_pk_add_f32 v[12:13], v[8:9], v[16:17]
	v_pk_add_f32 v[14:15], v[8:9], v[16:17] neg_lo:[0,1] neg_hi:[0,1]
	s_delay_alu instid0(VALU_DEP_2) | instskip(NEXT) | instid1(VALU_DEP_1)
	v_mov_b32_e32 v15, v13
	v_pk_add_f32 v[18:19], v[10:11], v[14:15]
	v_pk_add_f32 v[10:11], v[10:11], v[14:15] neg_lo:[0,1] neg_hi:[0,1]
	s_delay_alu instid0(VALU_DEP_2) | instskip(NEXT) | instid1(VALU_DEP_1)
	v_dual_mov_b32 v16, v19 :: v_dual_mov_b32 v11, v19
	v_pk_add_f32 v[20:21], v[16:17], v[8:9] neg_lo:[0,1] neg_hi:[0,1]
	v_dual_mov_b32 v18, v13 :: v_dual_mov_b32 v9, v8
	s_delay_alu instid0(VALU_DEP_2) | instskip(SKIP_1) | instid1(VALU_DEP_2)
	v_dual_mov_b32 v8, v17 :: v_dual_mov_b32 v23, v20
	v_mov_b32_e32 v17, v20
	v_pk_add_f32 v[14:15], v[18:19], v[22:23] neg_lo:[0,1] neg_hi:[0,1]
	s_delay_alu instid0(VALU_DEP_2) | instskip(SKIP_1) | instid1(VALU_DEP_3)
	v_pk_add_f32 v[12:13], v[12:13], v[16:17] neg_lo:[0,1] neg_hi:[0,1]
	v_mov_b32_e32 v12, v10
	v_pk_add_f32 v[8:9], v[8:9], v[14:15] neg_lo:[0,1] neg_hi:[0,1]
	s_delay_alu instid0(VALU_DEP_1) | instskip(NEXT) | instid1(VALU_DEP_1)
	v_pk_add_f32 v[12:13], v[12:13], v[8:9]
	v_mov_b32_e32 v14, v13
	s_delay_alu instid0(VALU_DEP_1) | instskip(NEXT) | instid1(VALU_DEP_1)
	v_pk_add_f32 v[14:15], v[12:13], v[14:15]
	v_pk_add_f32 v[16:17], v[16:17], v[14:15]
	s_delay_alu instid0(VALU_DEP_1) | instskip(NEXT) | instid1(VALU_DEP_1)
	v_dual_mov_b32 v9, v14 :: v_dual_mov_b32 v13, v16
	v_pk_add_f32 v[18:19], v[12:13], v[10:11] neg_lo:[0,1] neg_hi:[0,1]
	s_delay_alu instid0(VALU_DEP_1) | instskip(NEXT) | instid1(VALU_DEP_2)
	v_sub_f32_e32 v11, v12, v18
	v_pk_add_f32 v[8:9], v[8:9], v[18:19] neg_lo:[0,1] neg_hi:[0,1]
	s_delay_alu instid0(VALU_DEP_2) | instskip(NEXT) | instid1(VALU_DEP_1)
	v_sub_f32_e32 v10, v10, v11
	v_add_f32_e32 v8, v8, v10
	s_delay_alu instid0(VALU_DEP_1) | instskip(NEXT) | instid1(VALU_DEP_1)
	v_add_f32_e32 v8, v8, v9
	v_add_f32_e32 v9, v16, v8
	s_delay_alu instid0(VALU_DEP_1) | instskip(NEXT) | instid1(VALU_DEP_1)
	v_dual_sub_f32 v10, v9, v16 :: v_dual_mul_f32 v11, v7, v9
	v_dual_sub_f32 v8, v8, v10 :: v_dual_fma_f32 v9, v7, v9, -v11
	v_cmp_class_f32_e64 vcc_lo, v11, 0x204
	s_delay_alu instid0(VALU_DEP_2) | instskip(NEXT) | instid1(VALU_DEP_1)
	v_fmac_f32_e32 v9, v7, v8
	v_add_f32_e32 v8, v11, v9
	s_delay_alu instid0(VALU_DEP_1) | instskip(NEXT) | instid1(VALU_DEP_1)
	v_cndmask_b32_e32 v10, v8, v11, vcc_lo
	v_cmp_eq_f32_e32 vcc_lo, 0x42b17218, v10
	v_cndmask_b32_e64 v12, 0, 0x37000000, vcc_lo
	v_cmp_neq_f32_e64 vcc_lo, 0x7f800000, |v10|
	s_delay_alu instid0(VALU_DEP_2) | instskip(SKIP_1) | instid1(VALU_DEP_2)
	v_dual_sub_f32 v13, v10, v12 :: v_dual_sub_f32 v8, v8, v11
	v_trunc_f32_e32 v10, v7
	v_mul_f32_e32 v14, 0x3fb8aa3b, v13
	s_delay_alu instid0(VALU_DEP_3) | instskip(NEXT) | instid1(VALU_DEP_2)
	v_sub_f32_e32 v8, v9, v8
	v_fma_f32 v15, 0x3fb8aa3b, v13, -v14
	v_rndne_f32_e32 v16, v14
	s_delay_alu instid0(VALU_DEP_3) | instskip(SKIP_1) | instid1(VALU_DEP_3)
	v_cndmask_b32_e32 v8, 0, v8, vcc_lo
	v_cmp_ngt_f32_e32 vcc_lo, 0xc2ce8ed0, v13
	v_dual_fmamk_f32 v15, v13, 0x32a5705f, v15 :: v_dual_sub_f32 v14, v14, v16
	s_delay_alu instid0(VALU_DEP_1) | instskip(NEXT) | instid1(VALU_DEP_1)
	v_add_f32_e32 v14, v14, v15
	v_exp_f32_e32 v11, v14
	v_nop
	v_cvt_i32_f32_e32 v14, v16
	s_delay_alu instid0(TRANS32_DEP_1) | instid1(VALU_DEP_1)
	v_ldexp_f32 v9, v11, v14
	s_delay_alu instid0(VALU_DEP_1) | instskip(NEXT) | instid1(VALU_DEP_1)
	v_dual_mul_f32 v11, 0.5, v7 :: v_dual_cndmask_b32 v9, 0, v9, vcc_lo
	v_trunc_f32_e32 v14, v11
	v_cmp_nlt_f32_e32 vcc_lo, 0x42b17218, v13
	v_add_f32_e32 v8, v12, v8
	s_delay_alu instid0(VALU_DEP_3) | instskip(SKIP_2) | instid1(VALU_DEP_2)
	v_cmp_neq_f32_e64 s2, v14, v11
	v_cndmask_b32_e32 v9, 0x7f800000, v9, vcc_lo
	v_cmp_eq_f32_e32 vcc_lo, v10, v7
	v_cmp_class_f32_e64 s3, v9, 0x204
	s_and_b32 s2, vcc_lo, s2
	s_delay_alu instid0(SALU_CYCLE_1) | instskip(NEXT) | instid1(VALU_DEP_1)
	v_dual_fma_f32 v8, v9, v8, v9 :: v_dual_cndmask_b32 v10, 1.0, v6, s2
	v_cndmask_b32_e64 v8, v8, v9, s3
	v_cndmask_b32_e64 v9, 0x7f800000, 0, s7
	v_cmp_gt_f32_e64 s3, 0, v7
	s_delay_alu instid0(VALU_DEP_3) | instskip(SKIP_1) | instid1(SALU_CYCLE_1)
	v_bfi_b32 v8, 0x7fffffff, v8, v10
	s_xor_b32 s3, s3, s4
	v_cndmask_b32_e64 v11, 0x7f800000, 0, s3
	s_delay_alu instid0(VALU_DEP_2) | instskip(SKIP_3) | instid1(VALU_DEP_4)
	v_cndmask_b32_e32 v10, 0x7fc00000, v8, vcc_lo
	v_cmp_neq_f32_e64 vcc_lo, |v6|, 1.0
	v_cndmask_b32_e32 v9, 1.0, v9, vcc_lo
	v_cmp_gt_f32_e32 vcc_lo, 0, v6
	v_cndmask_b32_e32 v8, v8, v10, vcc_lo
	v_cmp_class_f32_e64 vcc_lo, v7, 0x204
	v_cndmask_b32_e64 v10, 0, v6, s2
	v_cmp_class_f32_e64 s2, v6, 0x204
	s_delay_alu instid0(VALU_DEP_4) | instskip(NEXT) | instid1(VALU_DEP_3)
	v_cndmask_b32_e32 v7, v8, v9, vcc_lo
	v_bfi_b32 v8, 0x7fffffff, v11, v10
	s_or_b32 vcc_lo, s4, s2
	s_delay_alu instid0(VALU_DEP_1) | instskip(SKIP_3) | instid1(VALU_DEP_3)
	v_cndmask_b32_e32 v7, v7, v8, vcc_lo
	v_cmp_o_f32_e32 vcc_lo, v6, v6
	s_wait_loadcnt 0x0
	v_cvt_f32_i32_e32 v8, v24
	v_cndmask_b32_e32 v6, 0x7fc00000, v7, vcc_lo
	s_delay_alu instid0(VALU_DEP_1)
	v_mul_f32_e32 v6, v6, v8
.LBB29_17:
	s_wait_xcnt 0x0
	s_or_b32 exec_lo, exec_lo, s5
	s_cbranch_execz .LBB29_19
	s_branch .LBB29_32
.LBB29_18:
                                        ; implicit-def: $vgpr6
.LBB29_19:
	s_delay_alu instid0(VALU_DEP_1) | instskip(SKIP_1) | instid1(SALU_CYCLE_1)
	v_mul_hi_i32 v6, 0x55555556, v5
	s_mul_i32 s2, s17, 3
	v_cmp_le_i32_e64 s2, s2, v5
	s_delay_alu instid0(VALU_DEP_2) | instskip(NEXT) | instid1(VALU_DEP_1)
	v_lshrrev_b32_e32 v7, 31, v6
	v_add_nc_u32_e32 v6, v6, v7
	s_delay_alu instid0(VALU_DEP_1) | instskip(NEXT) | instid1(VALU_DEP_1)
	v_lshl_add_u32 v6, v6, 1, v6
	v_sub_nc_u32_e32 v7, v5, v6
                                        ; implicit-def: $vgpr6
	s_delay_alu instid0(VALU_DEP_1) | instskip(SKIP_1) | instid1(SALU_CYCLE_1)
	v_cmp_ne_u32_e32 vcc_lo, 1, v7
	s_or_b32 s2, vcc_lo, s2
	s_and_saveexec_b32 s3, s2
	s_delay_alu instid0(SALU_CYCLE_1)
	s_xor_b32 s5, exec_lo, s3
	s_cbranch_execz .LBB29_29
; %bb.20:
	s_mul_i32 s2, s18, 3
	v_cmp_ne_u32_e32 vcc_lo, 2, v7
	v_cmp_le_i32_e64 s2, s2, v5
                                        ; implicit-def: $vgpr6
	s_or_b32 s2, vcc_lo, s2
	s_delay_alu instid0(SALU_CYCLE_1) | instskip(NEXT) | instid1(SALU_CYCLE_1)
	s_and_saveexec_b32 s3, s2
	s_xor_b32 s7, exec_lo, s3
	s_cbranch_execz .LBB29_26
; %bb.21:
	s_mul_i32 s2, s16, 3
	v_cmp_ne_u32_e32 vcc_lo, 0, v7
	v_cmp_le_i32_e64 s2, s2, v5
                                        ; implicit-def: $vgpr6
	s_or_b32 s2, vcc_lo, s2
	s_delay_alu instid0(SALU_CYCLE_1) | instskip(NEXT) | instid1(SALU_CYCLE_1)
	s_and_saveexec_b32 s3, s2
	s_xor_b32 s16, exec_lo, s3
	s_cbranch_execz .LBB29_23
; %bb.22:
	v_cvt_f32_i32_e32 v4, v4
	s_cmp_neq_f32 s23, 1.0
	s_mov_b32 s2, 0x3e76c4e1
	v_mad_u32 v3, s6, 3, v3
	s_cselect_b32 vcc_lo, -1, 0
	v_mul_f32_e32 v4, 0.5, v4
	s_delay_alu instid0(VALU_DEP_1) | instskip(SKIP_3) | instid1(VALU_DEP_1)
	v_cndmask_b32_e32 v5, 1.0, v4, vcc_lo
	global_load_b32 v22, v3, s[24:25] scale_offset
	v_cmp_neq_f32_e32 vcc_lo, 0, v5
	v_cndmask_b32_e64 v4, 1.0, s23, vcc_lo
	v_frexp_mant_f32_e64 v6, |v4|
	v_cmp_lt_f32_e64 s18, |v4|, 1.0
	v_cmp_eq_f32_e64 s4, 0, v4
	s_delay_alu instid0(VALU_DEP_3) | instskip(SKIP_1) | instid1(VALU_DEP_1)
	v_cmp_gt_f32_e32 vcc_lo, 0x3f2aaaab, v6
	v_cndmask_b32_e64 v7, 1.0, 2.0, vcc_lo
	v_mul_f32_e32 v6, v6, v7
	s_delay_alu instid0(VALU_DEP_1) | instskip(SKIP_1) | instid1(VALU_DEP_2)
	v_dual_add_f32 v9, 1.0, v6 :: v_dual_add_f32 v7, -1.0, v6
	v_cmp_neq_f32_e64 s17, v5, |v5|
	v_rcp_f32_e32 v12, v9
	v_add_f32_e32 v10, -1.0, v9
	s_xor_b32 s17, s17, s18
	s_delay_alu instid0(TRANS32_DEP_1) | instid1(VALU_DEP_1)
	v_dual_sub_f32 v6, v6, v10 :: v_dual_mul_f32 v13, v7, v12
	s_delay_alu instid0(VALU_DEP_1) | instskip(NEXT) | instid1(VALU_DEP_1)
	v_mul_f32_e32 v8, v9, v13
	v_fma_f32 v10, v13, v9, -v8
	s_delay_alu instid0(VALU_DEP_1) | instskip(NEXT) | instid1(VALU_DEP_1)
	v_fmac_f32_e32 v10, v13, v6
	v_add_f32_e32 v6, v8, v10
	s_delay_alu instid0(VALU_DEP_1) | instskip(NEXT) | instid1(VALU_DEP_1)
	v_dual_sub_f32 v9, v7, v6 :: v_dual_mov_b32 v11, v6
	v_pk_add_f32 v[6:7], v[6:7], v[8:9] neg_lo:[0,1] neg_hi:[0,1]
	s_delay_alu instid0(VALU_DEP_1) | instskip(NEXT) | instid1(VALU_DEP_1)
	v_pk_add_f32 v[6:7], v[6:7], v[10:11] neg_lo:[0,1] neg_hi:[0,1]
	v_add_f32_e32 v6, v6, v7
	s_delay_alu instid0(VALU_DEP_1) | instskip(NEXT) | instid1(VALU_DEP_1)
	v_add_f32_e32 v6, v9, v6
	v_mul_f32_e32 v7, v12, v6
	s_delay_alu instid0(VALU_DEP_1) | instskip(NEXT) | instid1(VALU_DEP_1)
	v_add_f32_e32 v6, v13, v7
	v_sub_f32_e32 v8, v6, v13
	s_delay_alu instid0(VALU_DEP_1) | instskip(NEXT) | instid1(VALU_DEP_1)
	v_sub_f32_e32 v18, v7, v8
	v_add_f32_e32 v8, v18, v18
	v_mul_f32_e32 v9, v6, v6
	s_delay_alu instid0(VALU_DEP_1) | instskip(NEXT) | instid1(VALU_DEP_1)
	v_fma_f32 v7, v6, v6, -v9
	v_fmac_f32_e32 v7, v6, v8
	s_delay_alu instid0(VALU_DEP_1) | instskip(NEXT) | instid1(VALU_DEP_1)
	v_add_f32_e32 v8, v9, v7
	v_dual_fmaak_f32 v10, s2, v8, 0x3e91f4c4 :: v_dual_sub_f32 v9, v8, v9
	s_delay_alu instid0(VALU_DEP_1) | instskip(SKIP_1) | instid1(VALU_DEP_2)
	v_fmaak_f32 v12, v8, v10, 0x3ecccdef
	v_cvt_f64_f32_e64 v[10:11], |v4|
	v_dual_sub_f32 v16, v7, v9 :: v_dual_mul_f32 v13, v8, v12
	s_delay_alu instid0(VALU_DEP_1) | instskip(NEXT) | instid1(VALU_DEP_1)
	v_fma_f32 v7, v8, v12, -v13
	v_fmac_f32_e32 v7, v16, v12
	s_wait_xcnt 0x0
	s_delay_alu instid0(VALU_DEP_1) | instskip(NEXT) | instid1(VALU_DEP_1)
	v_add_f32_e32 v3, v13, v7
	v_sub_f32_e32 v9, v3, v13
	v_add_f32_e32 v13, 0x3f2aaaaa, v3
	s_delay_alu instid0(VALU_DEP_2) | instskip(NEXT) | instid1(VALU_DEP_2)
	v_sub_f32_e32 v7, v7, v9
	v_add_f32_e32 v9, 0xbf2aaaaa, v13
	v_frexp_exp_i32_f64_e32 v17, v[10:11]
	s_delay_alu instid0(VALU_DEP_3) | instskip(NEXT) | instid1(VALU_DEP_3)
	v_add_f32_e32 v7, 0x31739010, v7
	v_sub_f32_e32 v9, v3, v9
	s_delay_alu instid0(VALU_DEP_1) | instskip(SKIP_1) | instid1(VALU_DEP_1)
	v_pk_mul_f32 v[10:11], v[6:7], v[8:9]
	v_pk_add_f32 v[14:15], v[6:7], v[8:9]
	v_dual_fma_f32 v12, v8, v6, -v10 :: v_dual_mov_b32 v11, v15
	s_delay_alu instid0(VALU_DEP_1) | instskip(NEXT) | instid1(VALU_DEP_1)
	v_fmac_f32_e32 v12, v8, v18
	v_fmac_f32_e32 v12, v16, v6
	s_delay_alu instid0(VALU_DEP_1) | instskip(SKIP_1) | instid1(VALU_DEP_2)
	v_pk_add_f32 v[8:9], v[10:11], v[12:13]
	v_subrev_co_ci_u32_e64 v3, null, 0, v17, vcc_lo
	v_mov_b32_e32 v14, v9
	s_delay_alu instid0(VALU_DEP_3) | instskip(NEXT) | instid1(VALU_DEP_3)
	v_dual_sub_f32 v7, v13, v9 :: v_dual_sub_f32 v11, v8, v10
	v_cvt_f32_i32_e32 v3, v3
	s_delay_alu instid0(VALU_DEP_3) | instskip(NEXT) | instid1(VALU_DEP_3)
	v_pk_mul_f32 v[16:17], v[8:9], v[14:15]
	v_add_f32_e32 v7, v15, v7
	s_delay_alu instid0(VALU_DEP_4) | instskip(NEXT) | instid1(VALU_DEP_3)
	v_sub_f32_e32 v11, v12, v11
	v_fma_f32 v10, v8, v9, -v16
	s_delay_alu instid0(VALU_DEP_1) | instskip(NEXT) | instid1(VALU_DEP_1)
	v_fmac_f32_e32 v10, v8, v7
	v_fmac_f32_e32 v10, v11, v9
	v_mul_f32_e32 v14, 0x3f317218, v3
	v_ldexp_f32 v9, v6, 1
	s_delay_alu instid0(VALU_DEP_3) | instskip(NEXT) | instid1(VALU_DEP_3)
	v_add_f32_e32 v15, v16, v10
	v_fma_f32 v7, 0x3f317218, v3, -v14
	s_delay_alu instid0(VALU_DEP_2) | instskip(NEXT) | instid1(VALU_DEP_2)
	v_dual_mov_b32 v17, v9 :: v_dual_mov_b32 v11, v15
	v_fmamk_f32 v8, v3, 0xb102e308, v7
	v_ldexp_f32 v3, v18, 1
	s_delay_alu instid0(VALU_DEP_2) | instskip(NEXT) | instid1(VALU_DEP_1)
	v_pk_add_f32 v[6:7], v[14:15], v[8:9]
	v_dual_mov_b32 v12, v15 :: v_dual_mov_b32 v13, v7
	s_delay_alu instid0(VALU_DEP_2) | instskip(NEXT) | instid1(VALU_DEP_2)
	v_dual_mov_b32 v9, v6 :: v_dual_mov_b32 v20, v7
	v_pk_add_f32 v[12:13], v[12:13], v[16:17] neg_lo:[0,1] neg_hi:[0,1]
	s_delay_alu instid0(VALU_DEP_1) | instskip(NEXT) | instid1(VALU_DEP_1)
	v_pk_add_f32 v[10:11], v[10:11], v[12:13] neg_lo:[0,1] neg_hi:[0,1]
	v_add_f32_e32 v3, v3, v10
	s_delay_alu instid0(VALU_DEP_1) | instskip(NEXT) | instid1(VALU_DEP_1)
	v_add_f32_e32 v15, v3, v11
	v_pk_add_f32 v[10:11], v[6:7], v[14:15]
	v_pk_add_f32 v[12:13], v[6:7], v[14:15] neg_lo:[0,1] neg_hi:[0,1]
	s_delay_alu instid0(VALU_DEP_2) | instskip(NEXT) | instid1(VALU_DEP_1)
	v_mov_b32_e32 v13, v11
	v_pk_add_f32 v[16:17], v[8:9], v[12:13]
	v_mov_b32_e32 v16, v11
	v_pk_add_f32 v[8:9], v[8:9], v[12:13] neg_lo:[0,1] neg_hi:[0,1]
	s_delay_alu instid0(VALU_DEP_3) | instskip(NEXT) | instid1(VALU_DEP_1)
	v_dual_mov_b32 v14, v17 :: v_dual_mov_b32 v9, v17
	v_pk_add_f32 v[18:19], v[14:15], v[6:7] neg_lo:[0,1] neg_hi:[0,1]
	v_dual_mov_b32 v7, v6 :: v_dual_mov_b32 v6, v15
	s_delay_alu instid0(VALU_DEP_2) | instskip(NEXT) | instid1(VALU_DEP_1)
	v_dual_mov_b32 v21, v18 :: v_dual_mov_b32 v3, v18
	v_pk_add_f32 v[12:13], v[16:17], v[20:21] neg_lo:[0,1] neg_hi:[0,1]
	s_delay_alu instid0(VALU_DEP_2) | instskip(SKIP_1) | instid1(VALU_DEP_3)
	v_pk_add_f32 v[10:11], v[10:11], v[2:3] neg_lo:[0,1] neg_hi:[0,1]
	v_mov_b32_e32 v10, v8
	v_pk_add_f32 v[6:7], v[6:7], v[12:13] neg_lo:[0,1] neg_hi:[0,1]
	s_delay_alu instid0(VALU_DEP_1) | instskip(NEXT) | instid1(VALU_DEP_1)
	v_pk_add_f32 v[10:11], v[10:11], v[6:7]
	v_mov_b32_e32 v12, v11
	s_delay_alu instid0(VALU_DEP_1) | instskip(NEXT) | instid1(VALU_DEP_1)
	v_pk_add_f32 v[12:13], v[10:11], v[12:13]
	v_pk_add_f32 v[14:15], v[14:15], v[12:13]
	s_delay_alu instid0(VALU_DEP_1) | instskip(NEXT) | instid1(VALU_DEP_1)
	v_dual_mov_b32 v7, v12 :: v_dual_mov_b32 v11, v14
	v_pk_add_f32 v[16:17], v[10:11], v[8:9] neg_lo:[0,1] neg_hi:[0,1]
	s_delay_alu instid0(VALU_DEP_1) | instskip(NEXT) | instid1(VALU_DEP_2)
	v_sub_f32_e32 v3, v10, v16
	v_pk_add_f32 v[6:7], v[6:7], v[16:17] neg_lo:[0,1] neg_hi:[0,1]
	s_delay_alu instid0(VALU_DEP_2) | instskip(NEXT) | instid1(VALU_DEP_1)
	v_sub_f32_e32 v3, v8, v3
	v_add_f32_e32 v3, v6, v3
	s_delay_alu instid0(VALU_DEP_1) | instskip(NEXT) | instid1(VALU_DEP_1)
	v_add_f32_e32 v3, v3, v7
	v_add_f32_e32 v6, v14, v3
	s_delay_alu instid0(VALU_DEP_1) | instskip(NEXT) | instid1(VALU_DEP_1)
	v_sub_f32_e32 v7, v6, v14
	v_dual_mul_f32 v8, v5, v6 :: v_dual_sub_f32 v3, v3, v7
	s_delay_alu instid0(VALU_DEP_1) | instskip(SKIP_1) | instid1(VALU_DEP_2)
	v_fma_f32 v6, v5, v6, -v8
	v_cmp_class_f32_e64 vcc_lo, v8, 0x204
	v_fmac_f32_e32 v6, v5, v3
	s_delay_alu instid0(VALU_DEP_1) | instskip(NEXT) | instid1(VALU_DEP_1)
	v_add_f32_e32 v3, v8, v6
	v_cndmask_b32_e32 v7, v3, v8, vcc_lo
	s_delay_alu instid0(VALU_DEP_1) | instskip(SKIP_2) | instid1(VALU_DEP_2)
	v_cmp_eq_f32_e32 vcc_lo, 0x42b17218, v7
	v_cndmask_b32_e64 v9, 0, 0x37000000, vcc_lo
	v_cmp_neq_f32_e64 vcc_lo, 0x7f800000, |v7|
	v_sub_f32_e32 v10, v7, v9
	v_trunc_f32_e32 v7, v5
	s_delay_alu instid0(VALU_DEP_2) | instskip(NEXT) | instid1(VALU_DEP_1)
	v_mul_f32_e32 v11, 0x3fb8aa3b, v10
	v_fma_f32 v12, 0x3fb8aa3b, v10, -v11
	v_rndne_f32_e32 v13, v11
	s_delay_alu instid0(VALU_DEP_1) | instskip(SKIP_1) | instid1(VALU_DEP_1)
	v_dual_fmamk_f32 v12, v10, 0x32a5705f, v12 :: v_dual_sub_f32 v11, v11, v13
	v_sub_f32_e32 v3, v3, v8
	v_dual_add_f32 v11, v11, v12 :: v_dual_sub_f32 v3, v6, v3
	s_delay_alu instid0(VALU_DEP_1) | instskip(SKIP_2) | instid1(VALU_DEP_3)
	v_exp_f32_e32 v8, v11
	v_nop
	v_cvt_i32_f32_e32 v11, v13
	v_cndmask_b32_e32 v3, 0, v3, vcc_lo
	v_cmp_ngt_f32_e32 vcc_lo, 0xc2ce8ed0, v10
	s_delay_alu instid0(TRANS32_DEP_1) | instid1(VALU_DEP_3)
	v_ldexp_f32 v6, v8, v11
	s_delay_alu instid0(VALU_DEP_1) | instskip(NEXT) | instid1(VALU_DEP_1)
	v_dual_mul_f32 v8, 0.5, v5 :: v_dual_cndmask_b32 v6, 0, v6, vcc_lo
	v_trunc_f32_e32 v11, v8
	v_cmp_nlt_f32_e32 vcc_lo, 0x42b17218, v10
	s_delay_alu instid0(VALU_DEP_2) | instskip(NEXT) | instid1(VALU_DEP_4)
	v_cmp_neq_f32_e64 s2, v11, v8
	v_cndmask_b32_e32 v6, 0x7f800000, v6, vcc_lo
	v_cmp_eq_f32_e32 vcc_lo, v7, v5
	s_delay_alu instid0(VALU_DEP_2) | instskip(SKIP_1) | instid1(SALU_CYCLE_1)
	v_cmp_class_f32_e64 s3, v6, 0x204
	s_and_b32 s2, vcc_lo, s2
	v_dual_cndmask_b32 v7, 1.0, v4, s2 :: v_dual_add_f32 v3, v9, v3
	s_delay_alu instid0(VALU_DEP_1) | instskip(NEXT) | instid1(VALU_DEP_1)
	v_fma_f32 v3, v6, v3, v6
	v_cndmask_b32_e64 v3, v3, v6, s3
	v_cndmask_b32_e64 v6, 0x7f800000, 0, s17
	v_cmp_gt_f32_e64 s3, 0, v5
	s_delay_alu instid0(VALU_DEP_3) | instskip(SKIP_1) | instid1(SALU_CYCLE_1)
	v_bfi_b32 v3, 0x7fffffff, v3, v7
	s_xor_b32 s3, s3, s4
	v_cndmask_b32_e64 v8, 0x7f800000, 0, s3
	s_delay_alu instid0(VALU_DEP_2) | instskip(SKIP_3) | instid1(VALU_DEP_3)
	v_cndmask_b32_e32 v7, 0x7fc00000, v3, vcc_lo
	v_cmp_neq_f32_e64 vcc_lo, |v4|, 1.0
	v_cndmask_b32_e32 v6, 1.0, v6, vcc_lo
	v_cmp_gt_f32_e32 vcc_lo, 0, v4
	v_dual_cndmask_b32 v3, v3, v7, vcc_lo :: v_dual_cndmask_b32 v7, 0, v4, s2
	v_cmp_class_f32_e64 vcc_lo, v5, 0x204
	v_cmp_class_f32_e64 s2, v4, 0x204
	s_delay_alu instid0(VALU_DEP_3) | instskip(NEXT) | instid1(VALU_DEP_4)
	v_bfi_b32 v5, 0x7fffffff, v8, v7
	v_cndmask_b32_e32 v3, v3, v6, vcc_lo
	s_or_b32 vcc_lo, s4, s2
	s_delay_alu instid0(VALU_DEP_1) | instskip(SKIP_3) | instid1(VALU_DEP_3)
	v_cndmask_b32_e32 v3, v3, v5, vcc_lo
	v_cmp_o_f32_e32 vcc_lo, v4, v4
	s_wait_loadcnt 0x0
	v_cvt_f32_i32_e32 v5, v22
                                        ; implicit-def: $vgpr4
	v_cndmask_b32_e32 v3, 0x7fc00000, v3, vcc_lo
	s_delay_alu instid0(VALU_DEP_1)
	v_mul_f32_e32 v6, v3, v5
                                        ; implicit-def: $vgpr3
.LBB29_23:
	s_and_not1_saveexec_b32 s16, s16
	s_cbranch_execz .LBB29_25
; %bb.24:
	v_cvt_f32_i32_e32 v4, v4
	s_cmp_neq_f32 s23, 1.0
	s_mov_b32 s2, 0x3e76c4e1
	global_load_b32 v22, v3, s[24:25] scale_offset
	s_cselect_b32 vcc_lo, -1, 0
	v_mul_f32_e32 v4, 0.5, v4
	s_delay_alu instid0(VALU_DEP_1) | instskip(NEXT) | instid1(VALU_DEP_1)
	v_cndmask_b32_e32 v5, 1.0, v4, vcc_lo
	v_cmp_neq_f32_e32 vcc_lo, 0, v5
	v_cndmask_b32_e64 v4, 1.0, s23, vcc_lo
	s_delay_alu instid0(VALU_DEP_1) | instskip(SKIP_2) | instid1(VALU_DEP_3)
	v_frexp_mant_f32_e64 v6, |v4|
	v_cmp_lt_f32_e64 s18, |v4|, 1.0
	v_cmp_eq_f32_e64 s4, 0, v4
	v_cmp_gt_f32_e32 vcc_lo, 0x3f2aaaab, v6
	v_cndmask_b32_e64 v7, 1.0, 2.0, vcc_lo
	s_delay_alu instid0(VALU_DEP_1) | instskip(NEXT) | instid1(VALU_DEP_1)
	v_mul_f32_e32 v6, v6, v7
	v_dual_add_f32 v9, 1.0, v6 :: v_dual_add_f32 v7, -1.0, v6
	v_cmp_neq_f32_e64 s17, v5, |v5|
	s_delay_alu instid0(VALU_DEP_2)
	v_rcp_f32_e32 v12, v9
	v_add_f32_e32 v10, -1.0, v9
	s_xor_b32 s17, s17, s18
	s_delay_alu instid0(TRANS32_DEP_1) | instid1(VALU_DEP_1)
	v_dual_sub_f32 v6, v6, v10 :: v_dual_mul_f32 v13, v7, v12
	s_delay_alu instid0(VALU_DEP_1) | instskip(NEXT) | instid1(VALU_DEP_1)
	v_mul_f32_e32 v8, v9, v13
	v_fma_f32 v10, v13, v9, -v8
	s_delay_alu instid0(VALU_DEP_1) | instskip(NEXT) | instid1(VALU_DEP_1)
	v_fmac_f32_e32 v10, v13, v6
	v_add_f32_e32 v6, v8, v10
	s_delay_alu instid0(VALU_DEP_1) | instskip(NEXT) | instid1(VALU_DEP_1)
	v_dual_sub_f32 v9, v7, v6 :: v_dual_mov_b32 v11, v6
	v_pk_add_f32 v[6:7], v[6:7], v[8:9] neg_lo:[0,1] neg_hi:[0,1]
	s_delay_alu instid0(VALU_DEP_1) | instskip(NEXT) | instid1(VALU_DEP_1)
	v_pk_add_f32 v[6:7], v[6:7], v[10:11] neg_lo:[0,1] neg_hi:[0,1]
	v_add_f32_e32 v6, v6, v7
	s_delay_alu instid0(VALU_DEP_1) | instskip(NEXT) | instid1(VALU_DEP_1)
	v_add_f32_e32 v6, v9, v6
	v_mul_f32_e32 v7, v12, v6
	s_delay_alu instid0(VALU_DEP_1) | instskip(NEXT) | instid1(VALU_DEP_1)
	v_add_f32_e32 v6, v13, v7
	v_sub_f32_e32 v8, v6, v13
	s_delay_alu instid0(VALU_DEP_1) | instskip(NEXT) | instid1(VALU_DEP_1)
	v_sub_f32_e32 v18, v7, v8
	v_add_f32_e32 v8, v18, v18
	v_mul_f32_e32 v9, v6, v6
	s_delay_alu instid0(VALU_DEP_1) | instskip(NEXT) | instid1(VALU_DEP_1)
	v_fma_f32 v7, v6, v6, -v9
	v_fmac_f32_e32 v7, v6, v8
	s_delay_alu instid0(VALU_DEP_1) | instskip(NEXT) | instid1(VALU_DEP_1)
	v_add_f32_e32 v8, v9, v7
	v_dual_fmaak_f32 v10, s2, v8, 0x3e91f4c4 :: v_dual_sub_f32 v9, v8, v9
	s_delay_alu instid0(VALU_DEP_1) | instskip(SKIP_1) | instid1(VALU_DEP_2)
	v_fmaak_f32 v12, v8, v10, 0x3ecccdef
	v_cvt_f64_f32_e64 v[10:11], |v4|
	v_dual_sub_f32 v16, v7, v9 :: v_dual_mul_f32 v13, v8, v12
	s_delay_alu instid0(VALU_DEP_1) | instskip(NEXT) | instid1(VALU_DEP_1)
	v_fma_f32 v7, v8, v12, -v13
	v_fmac_f32_e32 v7, v16, v12
	s_wait_xcnt 0x0
	s_delay_alu instid0(VALU_DEP_1) | instskip(NEXT) | instid1(VALU_DEP_1)
	v_add_f32_e32 v3, v13, v7
	v_sub_f32_e32 v9, v3, v13
	v_add_f32_e32 v13, 0x3f2aaaaa, v3
	s_delay_alu instid0(VALU_DEP_2) | instskip(NEXT) | instid1(VALU_DEP_2)
	v_sub_f32_e32 v7, v7, v9
	v_add_f32_e32 v9, 0xbf2aaaaa, v13
	v_frexp_exp_i32_f64_e32 v17, v[10:11]
	s_delay_alu instid0(VALU_DEP_3) | instskip(NEXT) | instid1(VALU_DEP_3)
	v_add_f32_e32 v7, 0x31739010, v7
	v_sub_f32_e32 v9, v3, v9
	s_delay_alu instid0(VALU_DEP_1) | instskip(SKIP_1) | instid1(VALU_DEP_1)
	v_pk_mul_f32 v[10:11], v[6:7], v[8:9]
	v_pk_add_f32 v[14:15], v[6:7], v[8:9]
	v_dual_fma_f32 v12, v8, v6, -v10 :: v_dual_mov_b32 v11, v15
	s_delay_alu instid0(VALU_DEP_1) | instskip(NEXT) | instid1(VALU_DEP_1)
	v_fmac_f32_e32 v12, v8, v18
	v_fmac_f32_e32 v12, v16, v6
	s_delay_alu instid0(VALU_DEP_1) | instskip(SKIP_1) | instid1(VALU_DEP_2)
	v_pk_add_f32 v[8:9], v[10:11], v[12:13]
	v_subrev_co_ci_u32_e64 v3, null, 0, v17, vcc_lo
	v_mov_b32_e32 v14, v9
	s_delay_alu instid0(VALU_DEP_3) | instskip(NEXT) | instid1(VALU_DEP_3)
	v_dual_sub_f32 v7, v13, v9 :: v_dual_sub_f32 v11, v8, v10
	v_cvt_f32_i32_e32 v3, v3
	s_delay_alu instid0(VALU_DEP_3) | instskip(NEXT) | instid1(VALU_DEP_3)
	v_pk_mul_f32 v[16:17], v[8:9], v[14:15]
	v_add_f32_e32 v7, v15, v7
	s_delay_alu instid0(VALU_DEP_4) | instskip(NEXT) | instid1(VALU_DEP_3)
	v_sub_f32_e32 v11, v12, v11
	v_fma_f32 v10, v8, v9, -v16
	s_delay_alu instid0(VALU_DEP_1) | instskip(NEXT) | instid1(VALU_DEP_1)
	v_fmac_f32_e32 v10, v8, v7
	v_fmac_f32_e32 v10, v11, v9
	v_mul_f32_e32 v14, 0x3f317218, v3
	v_ldexp_f32 v9, v6, 1
	s_delay_alu instid0(VALU_DEP_3) | instskip(NEXT) | instid1(VALU_DEP_3)
	v_add_f32_e32 v15, v16, v10
	v_fma_f32 v7, 0x3f317218, v3, -v14
	s_delay_alu instid0(VALU_DEP_2) | instskip(NEXT) | instid1(VALU_DEP_2)
	v_dual_mov_b32 v17, v9 :: v_dual_mov_b32 v11, v15
	v_fmamk_f32 v8, v3, 0xb102e308, v7
	v_ldexp_f32 v3, v18, 1
	s_delay_alu instid0(VALU_DEP_2) | instskip(NEXT) | instid1(VALU_DEP_1)
	v_pk_add_f32 v[6:7], v[14:15], v[8:9]
	v_dual_mov_b32 v12, v15 :: v_dual_mov_b32 v13, v7
	s_delay_alu instid0(VALU_DEP_2) | instskip(NEXT) | instid1(VALU_DEP_2)
	v_dual_mov_b32 v9, v6 :: v_dual_mov_b32 v20, v7
	v_pk_add_f32 v[12:13], v[12:13], v[16:17] neg_lo:[0,1] neg_hi:[0,1]
	s_delay_alu instid0(VALU_DEP_1) | instskip(NEXT) | instid1(VALU_DEP_1)
	v_pk_add_f32 v[10:11], v[10:11], v[12:13] neg_lo:[0,1] neg_hi:[0,1]
	v_add_f32_e32 v3, v3, v10
	s_delay_alu instid0(VALU_DEP_1) | instskip(NEXT) | instid1(VALU_DEP_1)
	v_add_f32_e32 v15, v3, v11
	v_pk_add_f32 v[10:11], v[6:7], v[14:15]
	v_pk_add_f32 v[12:13], v[6:7], v[14:15] neg_lo:[0,1] neg_hi:[0,1]
	s_delay_alu instid0(VALU_DEP_2) | instskip(NEXT) | instid1(VALU_DEP_1)
	v_mov_b32_e32 v13, v11
	v_pk_add_f32 v[16:17], v[8:9], v[12:13]
	v_mov_b32_e32 v16, v11
	v_pk_add_f32 v[8:9], v[8:9], v[12:13] neg_lo:[0,1] neg_hi:[0,1]
	s_delay_alu instid0(VALU_DEP_3) | instskip(NEXT) | instid1(VALU_DEP_1)
	v_dual_mov_b32 v14, v17 :: v_dual_mov_b32 v9, v17
	v_pk_add_f32 v[18:19], v[14:15], v[6:7] neg_lo:[0,1] neg_hi:[0,1]
	v_dual_mov_b32 v7, v6 :: v_dual_mov_b32 v6, v15
	s_delay_alu instid0(VALU_DEP_2) | instskip(NEXT) | instid1(VALU_DEP_1)
	v_dual_mov_b32 v21, v18 :: v_dual_mov_b32 v3, v18
	v_pk_add_f32 v[12:13], v[16:17], v[20:21] neg_lo:[0,1] neg_hi:[0,1]
	s_delay_alu instid0(VALU_DEP_2) | instskip(SKIP_1) | instid1(VALU_DEP_3)
	v_pk_add_f32 v[10:11], v[10:11], v[2:3] neg_lo:[0,1] neg_hi:[0,1]
	v_mov_b32_e32 v10, v8
	v_pk_add_f32 v[6:7], v[6:7], v[12:13] neg_lo:[0,1] neg_hi:[0,1]
	s_delay_alu instid0(VALU_DEP_1) | instskip(NEXT) | instid1(VALU_DEP_1)
	v_pk_add_f32 v[10:11], v[10:11], v[6:7]
	v_mov_b32_e32 v12, v11
	s_delay_alu instid0(VALU_DEP_1) | instskip(NEXT) | instid1(VALU_DEP_1)
	v_pk_add_f32 v[12:13], v[10:11], v[12:13]
	v_pk_add_f32 v[14:15], v[14:15], v[12:13]
	s_delay_alu instid0(VALU_DEP_1) | instskip(NEXT) | instid1(VALU_DEP_1)
	v_dual_mov_b32 v7, v12 :: v_dual_mov_b32 v11, v14
	v_pk_add_f32 v[16:17], v[10:11], v[8:9] neg_lo:[0,1] neg_hi:[0,1]
	s_delay_alu instid0(VALU_DEP_1) | instskip(NEXT) | instid1(VALU_DEP_2)
	v_sub_f32_e32 v3, v10, v16
	v_pk_add_f32 v[6:7], v[6:7], v[16:17] neg_lo:[0,1] neg_hi:[0,1]
	s_delay_alu instid0(VALU_DEP_2) | instskip(NEXT) | instid1(VALU_DEP_1)
	v_sub_f32_e32 v3, v8, v3
	v_add_f32_e32 v3, v6, v3
	s_delay_alu instid0(VALU_DEP_1) | instskip(NEXT) | instid1(VALU_DEP_1)
	v_add_f32_e32 v3, v3, v7
	v_add_f32_e32 v6, v14, v3
	s_delay_alu instid0(VALU_DEP_1) | instskip(NEXT) | instid1(VALU_DEP_1)
	v_sub_f32_e32 v7, v6, v14
	v_dual_mul_f32 v8, v5, v6 :: v_dual_sub_f32 v3, v3, v7
	s_delay_alu instid0(VALU_DEP_1) | instskip(SKIP_1) | instid1(VALU_DEP_2)
	v_fma_f32 v6, v5, v6, -v8
	v_cmp_class_f32_e64 vcc_lo, v8, 0x204
	v_fmac_f32_e32 v6, v5, v3
	s_delay_alu instid0(VALU_DEP_1) | instskip(NEXT) | instid1(VALU_DEP_1)
	v_add_f32_e32 v3, v8, v6
	v_cndmask_b32_e32 v7, v3, v8, vcc_lo
	s_delay_alu instid0(VALU_DEP_1) | instskip(SKIP_2) | instid1(VALU_DEP_2)
	v_cmp_eq_f32_e32 vcc_lo, 0x42b17218, v7
	v_cndmask_b32_e64 v9, 0, 0x37000000, vcc_lo
	v_cmp_neq_f32_e64 vcc_lo, 0x7f800000, |v7|
	v_sub_f32_e32 v10, v7, v9
	v_trunc_f32_e32 v7, v5
	s_delay_alu instid0(VALU_DEP_2) | instskip(NEXT) | instid1(VALU_DEP_1)
	v_mul_f32_e32 v11, 0x3fb8aa3b, v10
	v_fma_f32 v12, 0x3fb8aa3b, v10, -v11
	v_rndne_f32_e32 v13, v11
	s_delay_alu instid0(VALU_DEP_1) | instskip(SKIP_1) | instid1(VALU_DEP_1)
	v_dual_fmamk_f32 v12, v10, 0x32a5705f, v12 :: v_dual_sub_f32 v11, v11, v13
	v_sub_f32_e32 v3, v3, v8
	v_dual_add_f32 v11, v11, v12 :: v_dual_sub_f32 v3, v6, v3
	s_delay_alu instid0(VALU_DEP_1) | instskip(SKIP_2) | instid1(VALU_DEP_3)
	v_exp_f32_e32 v8, v11
	v_nop
	v_cvt_i32_f32_e32 v11, v13
	v_cndmask_b32_e32 v3, 0, v3, vcc_lo
	v_cmp_ngt_f32_e32 vcc_lo, 0xc2ce8ed0, v10
	s_delay_alu instid0(TRANS32_DEP_1) | instid1(VALU_DEP_3)
	v_ldexp_f32 v6, v8, v11
	s_delay_alu instid0(VALU_DEP_1) | instskip(NEXT) | instid1(VALU_DEP_1)
	v_dual_mul_f32 v8, 0.5, v5 :: v_dual_cndmask_b32 v6, 0, v6, vcc_lo
	v_trunc_f32_e32 v11, v8
	v_cmp_nlt_f32_e32 vcc_lo, 0x42b17218, v10
	s_delay_alu instid0(VALU_DEP_2) | instskip(NEXT) | instid1(VALU_DEP_4)
	v_cmp_neq_f32_e64 s2, v11, v8
	v_cndmask_b32_e32 v6, 0x7f800000, v6, vcc_lo
	v_cmp_eq_f32_e32 vcc_lo, v7, v5
	s_delay_alu instid0(VALU_DEP_2) | instskip(SKIP_1) | instid1(SALU_CYCLE_1)
	v_cmp_class_f32_e64 s3, v6, 0x204
	s_and_b32 s2, vcc_lo, s2
	v_dual_cndmask_b32 v7, 1.0, v4, s2 :: v_dual_add_f32 v3, v9, v3
	s_delay_alu instid0(VALU_DEP_1) | instskip(NEXT) | instid1(VALU_DEP_1)
	v_fma_f32 v3, v6, v3, v6
	v_cndmask_b32_e64 v3, v3, v6, s3
	v_cndmask_b32_e64 v6, 0x7f800000, 0, s17
	v_cmp_gt_f32_e64 s3, 0, v5
	s_delay_alu instid0(VALU_DEP_3) | instskip(SKIP_1) | instid1(SALU_CYCLE_1)
	v_bfi_b32 v3, 0x7fffffff, v3, v7
	s_xor_b32 s3, s3, s4
	v_cndmask_b32_e64 v8, 0x7f800000, 0, s3
	s_delay_alu instid0(VALU_DEP_2) | instskip(SKIP_3) | instid1(VALU_DEP_3)
	v_cndmask_b32_e32 v7, 0x7fc00000, v3, vcc_lo
	v_cmp_neq_f32_e64 vcc_lo, |v4|, 1.0
	v_cndmask_b32_e32 v6, 1.0, v6, vcc_lo
	v_cmp_gt_f32_e32 vcc_lo, 0, v4
	v_dual_cndmask_b32 v3, v3, v7, vcc_lo :: v_dual_cndmask_b32 v7, 0, v4, s2
	v_cmp_class_f32_e64 vcc_lo, v5, 0x204
	v_cmp_class_f32_e64 s2, v4, 0x204
	s_delay_alu instid0(VALU_DEP_3) | instskip(NEXT) | instid1(VALU_DEP_4)
	v_bfi_b32 v5, 0x7fffffff, v8, v7
	v_cndmask_b32_e32 v3, v3, v6, vcc_lo
	s_or_b32 vcc_lo, s4, s2
	s_delay_alu instid0(VALU_DEP_1) | instskip(SKIP_3) | instid1(VALU_DEP_3)
	v_cndmask_b32_e32 v3, v3, v5, vcc_lo
	v_cmp_o_f32_e32 vcc_lo, v4, v4
	s_wait_loadcnt 0x0
	v_cvt_f32_i32_e32 v5, v22
	v_cndmask_b32_e32 v3, 0x7fc00000, v3, vcc_lo
	s_delay_alu instid0(VALU_DEP_1)
	v_mul_f32_e32 v6, v3, v5
.LBB29_25:
	s_or_b32 exec_lo, exec_lo, s16
                                        ; implicit-def: $vgpr3
                                        ; implicit-def: $vgpr4
.LBB29_26:
	s_and_not1_saveexec_b32 s7, s7
	s_cbranch_execz .LBB29_28
; %bb.27:
	v_cvt_f32_i32_e32 v4, v4
	s_cmp_neq_f32 s23, 1.0
	s_mov_b32 s2, 0x3e76c4e1
	v_lshl_add_u32 v3, s6, 1, v3
	s_cselect_b32 vcc_lo, -1, 0
	v_mul_f32_e32 v4, 0.5, v4
	global_load_b32 v22, v3, s[24:25] scale_offset
	v_cndmask_b32_e32 v5, 1.0, v4, vcc_lo
	s_delay_alu instid0(VALU_DEP_1) | instskip(SKIP_1) | instid1(VALU_DEP_1)
	v_cmp_neq_f32_e32 vcc_lo, 0, v5
	v_cndmask_b32_e64 v4, 1.0, s23, vcc_lo
	v_frexp_mant_f32_e64 v6, |v4|
	v_cmp_lt_f32_e64 s17, |v4|, 1.0
	v_cmp_eq_f32_e64 s4, 0, v4
	s_delay_alu instid0(VALU_DEP_3) | instskip(SKIP_1) | instid1(VALU_DEP_1)
	v_cmp_gt_f32_e32 vcc_lo, 0x3f2aaaab, v6
	v_cndmask_b32_e64 v7, 1.0, 2.0, vcc_lo
	v_mul_f32_e32 v6, v6, v7
	s_delay_alu instid0(VALU_DEP_1) | instskip(SKIP_1) | instid1(VALU_DEP_2)
	v_dual_add_f32 v9, 1.0, v6 :: v_dual_add_f32 v7, -1.0, v6
	v_cmp_neq_f32_e64 s16, v5, |v5|
	v_rcp_f32_e32 v12, v9
	v_add_f32_e32 v10, -1.0, v9
	s_xor_b32 s16, s16, s17
	s_delay_alu instid0(TRANS32_DEP_1) | instid1(VALU_DEP_1)
	v_dual_sub_f32 v6, v6, v10 :: v_dual_mul_f32 v13, v7, v12
	s_delay_alu instid0(VALU_DEP_1) | instskip(NEXT) | instid1(VALU_DEP_1)
	v_mul_f32_e32 v8, v9, v13
	v_fma_f32 v10, v13, v9, -v8
	s_delay_alu instid0(VALU_DEP_1) | instskip(NEXT) | instid1(VALU_DEP_1)
	v_fmac_f32_e32 v10, v13, v6
	v_add_f32_e32 v6, v8, v10
	s_delay_alu instid0(VALU_DEP_1) | instskip(NEXT) | instid1(VALU_DEP_1)
	v_dual_sub_f32 v9, v7, v6 :: v_dual_mov_b32 v11, v6
	v_pk_add_f32 v[6:7], v[6:7], v[8:9] neg_lo:[0,1] neg_hi:[0,1]
	s_delay_alu instid0(VALU_DEP_1) | instskip(NEXT) | instid1(VALU_DEP_1)
	v_pk_add_f32 v[6:7], v[6:7], v[10:11] neg_lo:[0,1] neg_hi:[0,1]
	v_add_f32_e32 v6, v6, v7
	s_delay_alu instid0(VALU_DEP_1) | instskip(NEXT) | instid1(VALU_DEP_1)
	v_add_f32_e32 v6, v9, v6
	v_mul_f32_e32 v7, v12, v6
	s_delay_alu instid0(VALU_DEP_1) | instskip(NEXT) | instid1(VALU_DEP_1)
	v_add_f32_e32 v6, v13, v7
	v_sub_f32_e32 v8, v6, v13
	s_delay_alu instid0(VALU_DEP_1) | instskip(NEXT) | instid1(VALU_DEP_1)
	v_sub_f32_e32 v18, v7, v8
	v_add_f32_e32 v8, v18, v18
	v_mul_f32_e32 v9, v6, v6
	s_delay_alu instid0(VALU_DEP_1) | instskip(NEXT) | instid1(VALU_DEP_1)
	v_fma_f32 v7, v6, v6, -v9
	v_fmac_f32_e32 v7, v6, v8
	s_delay_alu instid0(VALU_DEP_1) | instskip(NEXT) | instid1(VALU_DEP_1)
	v_add_f32_e32 v8, v9, v7
	v_dual_fmaak_f32 v10, s2, v8, 0x3e91f4c4 :: v_dual_sub_f32 v9, v8, v9
	s_delay_alu instid0(VALU_DEP_1) | instskip(SKIP_1) | instid1(VALU_DEP_2)
	v_fmaak_f32 v12, v8, v10, 0x3ecccdef
	v_cvt_f64_f32_e64 v[10:11], |v4|
	v_dual_sub_f32 v16, v7, v9 :: v_dual_mul_f32 v13, v8, v12
	s_delay_alu instid0(VALU_DEP_1) | instskip(NEXT) | instid1(VALU_DEP_1)
	v_fma_f32 v7, v8, v12, -v13
	v_fmac_f32_e32 v7, v16, v12
	s_wait_xcnt 0x0
	s_delay_alu instid0(VALU_DEP_1) | instskip(NEXT) | instid1(VALU_DEP_1)
	v_add_f32_e32 v3, v13, v7
	v_sub_f32_e32 v9, v3, v13
	v_add_f32_e32 v13, 0x3f2aaaaa, v3
	s_delay_alu instid0(VALU_DEP_2) | instskip(NEXT) | instid1(VALU_DEP_2)
	v_sub_f32_e32 v7, v7, v9
	v_add_f32_e32 v9, 0xbf2aaaaa, v13
	v_frexp_exp_i32_f64_e32 v17, v[10:11]
	s_delay_alu instid0(VALU_DEP_3) | instskip(NEXT) | instid1(VALU_DEP_3)
	v_add_f32_e32 v7, 0x31739010, v7
	v_sub_f32_e32 v9, v3, v9
	s_delay_alu instid0(VALU_DEP_1) | instskip(SKIP_1) | instid1(VALU_DEP_1)
	v_pk_mul_f32 v[10:11], v[6:7], v[8:9]
	v_pk_add_f32 v[14:15], v[6:7], v[8:9]
	v_dual_fma_f32 v12, v8, v6, -v10 :: v_dual_mov_b32 v11, v15
	s_delay_alu instid0(VALU_DEP_1) | instskip(NEXT) | instid1(VALU_DEP_1)
	v_fmac_f32_e32 v12, v8, v18
	v_fmac_f32_e32 v12, v16, v6
	s_delay_alu instid0(VALU_DEP_1) | instskip(SKIP_1) | instid1(VALU_DEP_2)
	v_pk_add_f32 v[8:9], v[10:11], v[12:13]
	v_subrev_co_ci_u32_e64 v3, null, 0, v17, vcc_lo
	v_mov_b32_e32 v14, v9
	s_delay_alu instid0(VALU_DEP_3) | instskip(NEXT) | instid1(VALU_DEP_3)
	v_dual_sub_f32 v7, v13, v9 :: v_dual_sub_f32 v11, v8, v10
	v_cvt_f32_i32_e32 v3, v3
	s_delay_alu instid0(VALU_DEP_3) | instskip(NEXT) | instid1(VALU_DEP_3)
	v_pk_mul_f32 v[16:17], v[8:9], v[14:15]
	v_add_f32_e32 v7, v15, v7
	s_delay_alu instid0(VALU_DEP_4) | instskip(NEXT) | instid1(VALU_DEP_3)
	v_sub_f32_e32 v11, v12, v11
	v_fma_f32 v10, v8, v9, -v16
	s_delay_alu instid0(VALU_DEP_1) | instskip(NEXT) | instid1(VALU_DEP_1)
	v_fmac_f32_e32 v10, v8, v7
	v_fmac_f32_e32 v10, v11, v9
	v_mul_f32_e32 v14, 0x3f317218, v3
	v_ldexp_f32 v9, v6, 1
	s_delay_alu instid0(VALU_DEP_3) | instskip(NEXT) | instid1(VALU_DEP_3)
	v_add_f32_e32 v15, v16, v10
	v_fma_f32 v7, 0x3f317218, v3, -v14
	s_delay_alu instid0(VALU_DEP_2) | instskip(NEXT) | instid1(VALU_DEP_2)
	v_dual_mov_b32 v17, v9 :: v_dual_mov_b32 v11, v15
	v_fmamk_f32 v8, v3, 0xb102e308, v7
	v_ldexp_f32 v3, v18, 1
	s_delay_alu instid0(VALU_DEP_2) | instskip(NEXT) | instid1(VALU_DEP_1)
	v_pk_add_f32 v[6:7], v[14:15], v[8:9]
	v_dual_mov_b32 v12, v15 :: v_dual_mov_b32 v13, v7
	s_delay_alu instid0(VALU_DEP_2) | instskip(NEXT) | instid1(VALU_DEP_2)
	v_dual_mov_b32 v9, v6 :: v_dual_mov_b32 v20, v7
	v_pk_add_f32 v[12:13], v[12:13], v[16:17] neg_lo:[0,1] neg_hi:[0,1]
	s_delay_alu instid0(VALU_DEP_1) | instskip(NEXT) | instid1(VALU_DEP_1)
	v_pk_add_f32 v[10:11], v[10:11], v[12:13] neg_lo:[0,1] neg_hi:[0,1]
	v_add_f32_e32 v3, v3, v10
	s_delay_alu instid0(VALU_DEP_1) | instskip(NEXT) | instid1(VALU_DEP_1)
	v_add_f32_e32 v15, v3, v11
	v_pk_add_f32 v[10:11], v[6:7], v[14:15]
	v_pk_add_f32 v[12:13], v[6:7], v[14:15] neg_lo:[0,1] neg_hi:[0,1]
	s_delay_alu instid0(VALU_DEP_2) | instskip(NEXT) | instid1(VALU_DEP_1)
	v_mov_b32_e32 v13, v11
	v_pk_add_f32 v[16:17], v[8:9], v[12:13]
	v_mov_b32_e32 v16, v11
	v_pk_add_f32 v[8:9], v[8:9], v[12:13] neg_lo:[0,1] neg_hi:[0,1]
	s_delay_alu instid0(VALU_DEP_3) | instskip(NEXT) | instid1(VALU_DEP_1)
	v_dual_mov_b32 v14, v17 :: v_dual_mov_b32 v9, v17
	v_pk_add_f32 v[18:19], v[14:15], v[6:7] neg_lo:[0,1] neg_hi:[0,1]
	v_dual_mov_b32 v7, v6 :: v_dual_mov_b32 v6, v15
	s_delay_alu instid0(VALU_DEP_2) | instskip(NEXT) | instid1(VALU_DEP_1)
	v_dual_mov_b32 v21, v18 :: v_dual_mov_b32 v3, v18
	v_pk_add_f32 v[12:13], v[16:17], v[20:21] neg_lo:[0,1] neg_hi:[0,1]
	s_delay_alu instid0(VALU_DEP_2) | instskip(SKIP_1) | instid1(VALU_DEP_3)
	v_pk_add_f32 v[10:11], v[10:11], v[2:3] neg_lo:[0,1] neg_hi:[0,1]
	v_mov_b32_e32 v10, v8
	v_pk_add_f32 v[6:7], v[6:7], v[12:13] neg_lo:[0,1] neg_hi:[0,1]
	s_delay_alu instid0(VALU_DEP_1) | instskip(NEXT) | instid1(VALU_DEP_1)
	v_pk_add_f32 v[10:11], v[10:11], v[6:7]
	v_mov_b32_e32 v12, v11
	s_delay_alu instid0(VALU_DEP_1) | instskip(NEXT) | instid1(VALU_DEP_1)
	v_pk_add_f32 v[12:13], v[10:11], v[12:13]
	v_pk_add_f32 v[14:15], v[14:15], v[12:13]
	s_delay_alu instid0(VALU_DEP_1) | instskip(NEXT) | instid1(VALU_DEP_1)
	v_dual_mov_b32 v7, v12 :: v_dual_mov_b32 v11, v14
	v_pk_add_f32 v[16:17], v[10:11], v[8:9] neg_lo:[0,1] neg_hi:[0,1]
	s_delay_alu instid0(VALU_DEP_1) | instskip(NEXT) | instid1(VALU_DEP_2)
	v_sub_f32_e32 v3, v10, v16
	v_pk_add_f32 v[6:7], v[6:7], v[16:17] neg_lo:[0,1] neg_hi:[0,1]
	s_delay_alu instid0(VALU_DEP_2) | instskip(NEXT) | instid1(VALU_DEP_1)
	v_sub_f32_e32 v3, v8, v3
	v_add_f32_e32 v3, v6, v3
	s_delay_alu instid0(VALU_DEP_1) | instskip(NEXT) | instid1(VALU_DEP_1)
	v_add_f32_e32 v3, v3, v7
	v_add_f32_e32 v6, v14, v3
	s_delay_alu instid0(VALU_DEP_1) | instskip(NEXT) | instid1(VALU_DEP_1)
	v_sub_f32_e32 v7, v6, v14
	v_dual_mul_f32 v8, v5, v6 :: v_dual_sub_f32 v3, v3, v7
	s_delay_alu instid0(VALU_DEP_1) | instskip(SKIP_1) | instid1(VALU_DEP_2)
	v_fma_f32 v6, v5, v6, -v8
	v_cmp_class_f32_e64 vcc_lo, v8, 0x204
	v_fmac_f32_e32 v6, v5, v3
	s_delay_alu instid0(VALU_DEP_1) | instskip(NEXT) | instid1(VALU_DEP_1)
	v_add_f32_e32 v3, v8, v6
	v_cndmask_b32_e32 v7, v3, v8, vcc_lo
	s_delay_alu instid0(VALU_DEP_1) | instskip(SKIP_2) | instid1(VALU_DEP_2)
	v_cmp_eq_f32_e32 vcc_lo, 0x42b17218, v7
	v_cndmask_b32_e64 v9, 0, 0x37000000, vcc_lo
	v_cmp_neq_f32_e64 vcc_lo, 0x7f800000, |v7|
	v_sub_f32_e32 v10, v7, v9
	v_trunc_f32_e32 v7, v5
	s_delay_alu instid0(VALU_DEP_2) | instskip(NEXT) | instid1(VALU_DEP_1)
	v_mul_f32_e32 v11, 0x3fb8aa3b, v10
	v_fma_f32 v12, 0x3fb8aa3b, v10, -v11
	v_rndne_f32_e32 v13, v11
	s_delay_alu instid0(VALU_DEP_1) | instskip(SKIP_1) | instid1(VALU_DEP_1)
	v_dual_fmamk_f32 v12, v10, 0x32a5705f, v12 :: v_dual_sub_f32 v11, v11, v13
	v_sub_f32_e32 v3, v3, v8
	v_dual_add_f32 v11, v11, v12 :: v_dual_sub_f32 v3, v6, v3
	s_delay_alu instid0(VALU_DEP_1) | instskip(SKIP_2) | instid1(VALU_DEP_3)
	v_exp_f32_e32 v8, v11
	v_nop
	v_cvt_i32_f32_e32 v11, v13
	v_cndmask_b32_e32 v3, 0, v3, vcc_lo
	v_cmp_ngt_f32_e32 vcc_lo, 0xc2ce8ed0, v10
	s_delay_alu instid0(TRANS32_DEP_1) | instid1(VALU_DEP_3)
	v_ldexp_f32 v6, v8, v11
	s_delay_alu instid0(VALU_DEP_1) | instskip(NEXT) | instid1(VALU_DEP_1)
	v_dual_mul_f32 v8, 0.5, v5 :: v_dual_cndmask_b32 v6, 0, v6, vcc_lo
	v_trunc_f32_e32 v11, v8
	v_cmp_nlt_f32_e32 vcc_lo, 0x42b17218, v10
	s_delay_alu instid0(VALU_DEP_2) | instskip(NEXT) | instid1(VALU_DEP_4)
	v_cmp_neq_f32_e64 s2, v11, v8
	v_cndmask_b32_e32 v6, 0x7f800000, v6, vcc_lo
	v_cmp_eq_f32_e32 vcc_lo, v7, v5
	s_delay_alu instid0(VALU_DEP_2) | instskip(SKIP_1) | instid1(SALU_CYCLE_1)
	v_cmp_class_f32_e64 s3, v6, 0x204
	s_and_b32 s2, vcc_lo, s2
	v_dual_cndmask_b32 v7, 1.0, v4, s2 :: v_dual_add_f32 v3, v9, v3
	s_delay_alu instid0(VALU_DEP_1) | instskip(NEXT) | instid1(VALU_DEP_1)
	v_fma_f32 v3, v6, v3, v6
	v_cndmask_b32_e64 v3, v3, v6, s3
	v_cndmask_b32_e64 v6, 0x7f800000, 0, s16
	v_cmp_gt_f32_e64 s3, 0, v5
	s_delay_alu instid0(VALU_DEP_3) | instskip(SKIP_1) | instid1(SALU_CYCLE_1)
	v_bfi_b32 v3, 0x7fffffff, v3, v7
	s_xor_b32 s3, s3, s4
	v_cndmask_b32_e64 v8, 0x7f800000, 0, s3
	s_delay_alu instid0(VALU_DEP_2) | instskip(SKIP_3) | instid1(VALU_DEP_3)
	v_cndmask_b32_e32 v7, 0x7fc00000, v3, vcc_lo
	v_cmp_neq_f32_e64 vcc_lo, |v4|, 1.0
	v_cndmask_b32_e32 v6, 1.0, v6, vcc_lo
	v_cmp_gt_f32_e32 vcc_lo, 0, v4
	v_dual_cndmask_b32 v3, v3, v7, vcc_lo :: v_dual_cndmask_b32 v7, 0, v4, s2
	v_cmp_class_f32_e64 vcc_lo, v5, 0x204
	v_cmp_class_f32_e64 s2, v4, 0x204
	s_delay_alu instid0(VALU_DEP_3) | instskip(NEXT) | instid1(VALU_DEP_4)
	v_bfi_b32 v5, 0x7fffffff, v8, v7
	v_cndmask_b32_e32 v3, v3, v6, vcc_lo
	s_or_b32 vcc_lo, s4, s2
	s_delay_alu instid0(VALU_DEP_1) | instskip(SKIP_3) | instid1(VALU_DEP_3)
	v_cndmask_b32_e32 v3, v3, v5, vcc_lo
	v_cmp_o_f32_e32 vcc_lo, v4, v4
	s_wait_loadcnt 0x0
	v_cvt_f32_i32_e32 v5, v22
	v_cndmask_b32_e32 v3, 0x7fc00000, v3, vcc_lo
	s_delay_alu instid0(VALU_DEP_1)
	v_mul_f32_e32 v6, v3, v5
.LBB29_28:
	s_or_b32 exec_lo, exec_lo, s7
                                        ; implicit-def: $vgpr3
                                        ; implicit-def: $vgpr4
.LBB29_29:
	s_and_not1_saveexec_b32 s5, s5
	s_cbranch_execz .LBB29_31
; %bb.30:
	v_cvt_f32_i32_e32 v4, v4
	s_cmp_neq_f32 s23, 1.0
	s_mov_b32 s2, 0x3e76c4e1
	s_delay_alu instid0(VALU_DEP_1) | instskip(SKIP_3) | instid1(VALU_DEP_1)
	v_dual_mul_f32 v4, 0.5, v4 :: v_dual_add_nc_u32 v3, s6, v3
	s_cselect_b32 vcc_lo, -1, 0
	global_load_b32 v22, v3, s[24:25] scale_offset
	v_cndmask_b32_e32 v5, 1.0, v4, vcc_lo
	v_cmp_neq_f32_e32 vcc_lo, 0, v5
	v_cndmask_b32_e64 v4, 1.0, s23, vcc_lo
	s_delay_alu instid0(VALU_DEP_1) | instskip(SKIP_2) | instid1(VALU_DEP_3)
	v_frexp_mant_f32_e64 v6, |v4|
	v_cmp_lt_f32_e64 s7, |v4|, 1.0
	v_cmp_eq_f32_e64 s4, 0, v4
	v_cmp_gt_f32_e32 vcc_lo, 0x3f2aaaab, v6
	v_cndmask_b32_e64 v7, 1.0, 2.0, vcc_lo
	s_delay_alu instid0(VALU_DEP_1) | instskip(NEXT) | instid1(VALU_DEP_1)
	v_mul_f32_e32 v6, v6, v7
	v_dual_add_f32 v9, 1.0, v6 :: v_dual_add_f32 v7, -1.0, v6
	v_cmp_neq_f32_e64 s6, v5, |v5|
	s_delay_alu instid0(VALU_DEP_2)
	v_rcp_f32_e32 v12, v9
	v_add_f32_e32 v10, -1.0, v9
	s_xor_b32 s6, s6, s7
	s_delay_alu instid0(TRANS32_DEP_1) | instid1(VALU_DEP_1)
	v_dual_sub_f32 v6, v6, v10 :: v_dual_mul_f32 v13, v7, v12
	s_delay_alu instid0(VALU_DEP_1) | instskip(NEXT) | instid1(VALU_DEP_1)
	v_mul_f32_e32 v8, v9, v13
	v_fma_f32 v10, v13, v9, -v8
	s_delay_alu instid0(VALU_DEP_1) | instskip(NEXT) | instid1(VALU_DEP_1)
	v_fmac_f32_e32 v10, v13, v6
	v_add_f32_e32 v6, v8, v10
	s_delay_alu instid0(VALU_DEP_1) | instskip(NEXT) | instid1(VALU_DEP_1)
	v_dual_sub_f32 v9, v7, v6 :: v_dual_mov_b32 v11, v6
	v_pk_add_f32 v[6:7], v[6:7], v[8:9] neg_lo:[0,1] neg_hi:[0,1]
	s_delay_alu instid0(VALU_DEP_1) | instskip(NEXT) | instid1(VALU_DEP_1)
	v_pk_add_f32 v[6:7], v[6:7], v[10:11] neg_lo:[0,1] neg_hi:[0,1]
	v_add_f32_e32 v6, v6, v7
	s_delay_alu instid0(VALU_DEP_1) | instskip(NEXT) | instid1(VALU_DEP_1)
	v_add_f32_e32 v6, v9, v6
	v_mul_f32_e32 v7, v12, v6
	s_delay_alu instid0(VALU_DEP_1) | instskip(NEXT) | instid1(VALU_DEP_1)
	v_add_f32_e32 v6, v13, v7
	v_sub_f32_e32 v8, v6, v13
	s_delay_alu instid0(VALU_DEP_1) | instskip(NEXT) | instid1(VALU_DEP_1)
	v_sub_f32_e32 v18, v7, v8
	v_add_f32_e32 v8, v18, v18
	v_mul_f32_e32 v9, v6, v6
	s_delay_alu instid0(VALU_DEP_1) | instskip(NEXT) | instid1(VALU_DEP_1)
	v_fma_f32 v7, v6, v6, -v9
	v_fmac_f32_e32 v7, v6, v8
	s_delay_alu instid0(VALU_DEP_1) | instskip(NEXT) | instid1(VALU_DEP_1)
	v_add_f32_e32 v8, v9, v7
	v_dual_fmaak_f32 v10, s2, v8, 0x3e91f4c4 :: v_dual_sub_f32 v9, v8, v9
	s_delay_alu instid0(VALU_DEP_1) | instskip(SKIP_1) | instid1(VALU_DEP_2)
	v_fmaak_f32 v12, v8, v10, 0x3ecccdef
	v_cvt_f64_f32_e64 v[10:11], |v4|
	v_dual_sub_f32 v16, v7, v9 :: v_dual_mul_f32 v13, v8, v12
	s_delay_alu instid0(VALU_DEP_1) | instskip(NEXT) | instid1(VALU_DEP_1)
	v_fma_f32 v7, v8, v12, -v13
	v_fmac_f32_e32 v7, v16, v12
	s_wait_xcnt 0x0
	s_delay_alu instid0(VALU_DEP_1) | instskip(NEXT) | instid1(VALU_DEP_1)
	v_add_f32_e32 v3, v13, v7
	v_sub_f32_e32 v9, v3, v13
	v_add_f32_e32 v13, 0x3f2aaaaa, v3
	s_delay_alu instid0(VALU_DEP_2) | instskip(NEXT) | instid1(VALU_DEP_2)
	v_sub_f32_e32 v7, v7, v9
	v_add_f32_e32 v9, 0xbf2aaaaa, v13
	v_frexp_exp_i32_f64_e32 v17, v[10:11]
	s_delay_alu instid0(VALU_DEP_3) | instskip(NEXT) | instid1(VALU_DEP_3)
	v_add_f32_e32 v7, 0x31739010, v7
	v_sub_f32_e32 v9, v3, v9
	s_delay_alu instid0(VALU_DEP_1) | instskip(SKIP_1) | instid1(VALU_DEP_2)
	v_pk_mul_f32 v[10:11], v[6:7], v[8:9]
	v_pk_add_f32 v[14:15], v[6:7], v[8:9]
	v_fma_f32 v12, v8, v6, -v10
	s_delay_alu instid0(VALU_DEP_1) | instskip(NEXT) | instid1(VALU_DEP_1)
	v_dual_fmac_f32 v12, v8, v18 :: v_dual_mov_b32 v11, v15
	v_fmac_f32_e32 v12, v16, v6
	s_delay_alu instid0(VALU_DEP_1) | instskip(SKIP_1) | instid1(VALU_DEP_2)
	v_pk_add_f32 v[8:9], v[10:11], v[12:13]
	v_subrev_co_ci_u32_e64 v3, null, 0, v17, vcc_lo
	v_mov_b32_e32 v14, v9
	s_delay_alu instid0(VALU_DEP_3) | instskip(NEXT) | instid1(VALU_DEP_3)
	v_dual_sub_f32 v7, v13, v9 :: v_dual_sub_f32 v11, v8, v10
	v_cvt_f32_i32_e32 v3, v3
	s_delay_alu instid0(VALU_DEP_3) | instskip(NEXT) | instid1(VALU_DEP_3)
	v_pk_mul_f32 v[16:17], v[8:9], v[14:15]
	v_add_f32_e32 v7, v15, v7
	s_delay_alu instid0(VALU_DEP_4) | instskip(NEXT) | instid1(VALU_DEP_3)
	v_sub_f32_e32 v11, v12, v11
	v_fma_f32 v10, v8, v9, -v16
	s_delay_alu instid0(VALU_DEP_1) | instskip(NEXT) | instid1(VALU_DEP_1)
	v_fmac_f32_e32 v10, v8, v7
	v_fmac_f32_e32 v10, v11, v9
	v_mul_f32_e32 v14, 0x3f317218, v3
	v_ldexp_f32 v9, v6, 1
	s_delay_alu instid0(VALU_DEP_3) | instskip(NEXT) | instid1(VALU_DEP_3)
	v_add_f32_e32 v15, v16, v10
	v_fma_f32 v7, 0x3f317218, v3, -v14
	s_delay_alu instid0(VALU_DEP_2) | instskip(NEXT) | instid1(VALU_DEP_2)
	v_dual_mov_b32 v17, v9 :: v_dual_mov_b32 v12, v15
	v_fmamk_f32 v8, v3, 0xb102e308, v7
	v_ldexp_f32 v3, v18, 1
	v_mov_b32_e32 v11, v15
	s_delay_alu instid0(VALU_DEP_3) | instskip(NEXT) | instid1(VALU_DEP_1)
	v_pk_add_f32 v[6:7], v[14:15], v[8:9]
	v_dual_mov_b32 v13, v7 :: v_dual_mov_b32 v9, v6
	v_mov_b32_e32 v20, v7
	s_delay_alu instid0(VALU_DEP_2) | instskip(NEXT) | instid1(VALU_DEP_1)
	v_pk_add_f32 v[12:13], v[12:13], v[16:17] neg_lo:[0,1] neg_hi:[0,1]
	v_pk_add_f32 v[10:11], v[10:11], v[12:13] neg_lo:[0,1] neg_hi:[0,1]
	s_delay_alu instid0(VALU_DEP_1) | instskip(NEXT) | instid1(VALU_DEP_1)
	v_add_f32_e32 v3, v3, v10
	v_add_f32_e32 v15, v3, v11
	s_delay_alu instid0(VALU_DEP_1) | instskip(SKIP_1) | instid1(VALU_DEP_2)
	v_pk_add_f32 v[10:11], v[6:7], v[14:15]
	v_pk_add_f32 v[12:13], v[6:7], v[14:15] neg_lo:[0,1] neg_hi:[0,1]
	v_mov_b32_e32 v13, v11
	s_delay_alu instid0(VALU_DEP_1) | instskip(SKIP_2) | instid1(VALU_DEP_3)
	v_pk_add_f32 v[16:17], v[8:9], v[12:13]
	v_mov_b32_e32 v16, v11
	v_pk_add_f32 v[8:9], v[8:9], v[12:13] neg_lo:[0,1] neg_hi:[0,1]
	v_mov_b32_e32 v14, v17
	s_delay_alu instid0(VALU_DEP_1) | instskip(NEXT) | instid1(VALU_DEP_1)
	v_pk_add_f32 v[18:19], v[14:15], v[6:7] neg_lo:[0,1] neg_hi:[0,1]
	v_dual_mov_b32 v7, v6 :: v_dual_mov_b32 v21, v18
	v_dual_mov_b32 v6, v15 :: v_dual_mov_b32 v3, v18
	s_delay_alu instid0(VALU_DEP_2) | instskip(NEXT) | instid1(VALU_DEP_2)
	v_pk_add_f32 v[12:13], v[16:17], v[20:21] neg_lo:[0,1] neg_hi:[0,1]
	v_pk_add_f32 v[10:11], v[10:11], v[2:3] neg_lo:[0,1] neg_hi:[0,1]
	v_mov_b32_e32 v10, v8
	s_delay_alu instid0(VALU_DEP_3) | instskip(NEXT) | instid1(VALU_DEP_1)
	v_pk_add_f32 v[6:7], v[6:7], v[12:13] neg_lo:[0,1] neg_hi:[0,1]
	v_pk_add_f32 v[10:11], v[10:11], v[6:7]
	s_delay_alu instid0(VALU_DEP_1) | instskip(NEXT) | instid1(VALU_DEP_1)
	v_mov_b32_e32 v12, v11
	v_pk_add_f32 v[12:13], v[10:11], v[12:13]
	s_delay_alu instid0(VALU_DEP_1) | instskip(NEXT) | instid1(VALU_DEP_1)
	v_pk_add_f32 v[14:15], v[14:15], v[12:13]
	v_dual_mov_b32 v9, v17 :: v_dual_mov_b32 v11, v14
	s_delay_alu instid0(VALU_DEP_1) | instskip(NEXT) | instid1(VALU_DEP_1)
	v_pk_add_f32 v[16:17], v[10:11], v[8:9] neg_lo:[0,1] neg_hi:[0,1]
	v_dual_mov_b32 v7, v12 :: v_dual_sub_f32 v3, v10, v16
	s_delay_alu instid0(VALU_DEP_1) | instskip(NEXT) | instid1(VALU_DEP_2)
	v_pk_add_f32 v[6:7], v[6:7], v[16:17] neg_lo:[0,1] neg_hi:[0,1]
	v_sub_f32_e32 v3, v8, v3
	s_delay_alu instid0(VALU_DEP_1) | instskip(NEXT) | instid1(VALU_DEP_1)
	v_add_f32_e32 v3, v6, v3
	v_add_f32_e32 v3, v3, v7
	s_delay_alu instid0(VALU_DEP_1) | instskip(NEXT) | instid1(VALU_DEP_1)
	v_add_f32_e32 v6, v14, v3
	v_sub_f32_e32 v7, v6, v14
	v_mul_f32_e32 v8, v5, v6
	s_delay_alu instid0(VALU_DEP_1) | instskip(SKIP_1) | instid1(VALU_DEP_2)
	v_dual_fma_f32 v6, v5, v6, -v8 :: v_dual_sub_f32 v3, v3, v7
	v_cmp_class_f32_e64 vcc_lo, v8, 0x204
	v_fmac_f32_e32 v6, v5, v3
	s_delay_alu instid0(VALU_DEP_1) | instskip(NEXT) | instid1(VALU_DEP_1)
	v_add_f32_e32 v3, v8, v6
	v_cndmask_b32_e32 v7, v3, v8, vcc_lo
	s_delay_alu instid0(VALU_DEP_1) | instskip(SKIP_2) | instid1(VALU_DEP_2)
	v_cmp_eq_f32_e32 vcc_lo, 0x42b17218, v7
	v_cndmask_b32_e64 v9, 0, 0x37000000, vcc_lo
	v_cmp_neq_f32_e64 vcc_lo, 0x7f800000, |v7|
	v_sub_f32_e32 v10, v7, v9
	v_trunc_f32_e32 v7, v5
	s_delay_alu instid0(VALU_DEP_2) | instskip(NEXT) | instid1(VALU_DEP_1)
	v_mul_f32_e32 v11, 0x3fb8aa3b, v10
	v_fma_f32 v12, 0x3fb8aa3b, v10, -v11
	v_rndne_f32_e32 v13, v11
	s_delay_alu instid0(VALU_DEP_1) | instskip(SKIP_1) | instid1(VALU_DEP_1)
	v_dual_fmamk_f32 v12, v10, 0x32a5705f, v12 :: v_dual_sub_f32 v11, v11, v13
	v_sub_f32_e32 v3, v3, v8
	v_dual_add_f32 v11, v11, v12 :: v_dual_sub_f32 v3, v6, v3
	s_delay_alu instid0(VALU_DEP_1) | instskip(SKIP_2) | instid1(VALU_DEP_3)
	v_exp_f32_e32 v8, v11
	v_nop
	v_cvt_i32_f32_e32 v11, v13
	v_cndmask_b32_e32 v3, 0, v3, vcc_lo
	v_cmp_ngt_f32_e32 vcc_lo, 0xc2ce8ed0, v10
	s_delay_alu instid0(TRANS32_DEP_1) | instid1(VALU_DEP_3)
	v_ldexp_f32 v6, v8, v11
	s_delay_alu instid0(VALU_DEP_1) | instskip(NEXT) | instid1(VALU_DEP_1)
	v_dual_mul_f32 v8, 0.5, v5 :: v_dual_cndmask_b32 v6, 0, v6, vcc_lo
	v_trunc_f32_e32 v11, v8
	v_cmp_nlt_f32_e32 vcc_lo, 0x42b17218, v10
	s_delay_alu instid0(VALU_DEP_2) | instskip(NEXT) | instid1(VALU_DEP_4)
	v_cmp_neq_f32_e64 s2, v11, v8
	v_cndmask_b32_e32 v6, 0x7f800000, v6, vcc_lo
	v_cmp_eq_f32_e32 vcc_lo, v7, v5
	s_delay_alu instid0(VALU_DEP_2) | instskip(SKIP_1) | instid1(SALU_CYCLE_1)
	v_cmp_class_f32_e64 s3, v6, 0x204
	s_and_b32 s2, vcc_lo, s2
	v_dual_cndmask_b32 v7, 1.0, v4, s2 :: v_dual_add_f32 v3, v9, v3
	s_delay_alu instid0(VALU_DEP_1) | instskip(NEXT) | instid1(VALU_DEP_1)
	v_fma_f32 v3, v6, v3, v6
	v_cndmask_b32_e64 v3, v3, v6, s3
	v_cndmask_b32_e64 v6, 0x7f800000, 0, s6
	v_cmp_gt_f32_e64 s3, 0, v5
	s_delay_alu instid0(VALU_DEP_3) | instskip(SKIP_1) | instid1(SALU_CYCLE_1)
	v_bfi_b32 v3, 0x7fffffff, v3, v7
	s_xor_b32 s3, s3, s4
	v_cndmask_b32_e64 v8, 0x7f800000, 0, s3
	s_delay_alu instid0(VALU_DEP_2) | instskip(SKIP_3) | instid1(VALU_DEP_3)
	v_cndmask_b32_e32 v7, 0x7fc00000, v3, vcc_lo
	v_cmp_neq_f32_e64 vcc_lo, |v4|, 1.0
	v_cndmask_b32_e32 v6, 1.0, v6, vcc_lo
	v_cmp_gt_f32_e32 vcc_lo, 0, v4
	v_dual_cndmask_b32 v3, v3, v7, vcc_lo :: v_dual_cndmask_b32 v7, 0, v4, s2
	v_cmp_class_f32_e64 vcc_lo, v5, 0x204
	v_cmp_class_f32_e64 s2, v4, 0x204
	s_delay_alu instid0(VALU_DEP_3) | instskip(NEXT) | instid1(VALU_DEP_4)
	v_bfi_b32 v5, 0x7fffffff, v8, v7
	v_cndmask_b32_e32 v3, v3, v6, vcc_lo
	s_or_b32 vcc_lo, s4, s2
	s_delay_alu instid0(VALU_DEP_1) | instskip(SKIP_3) | instid1(VALU_DEP_3)
	v_cndmask_b32_e32 v3, v3, v5, vcc_lo
	v_cmp_o_f32_e32 vcc_lo, v4, v4
	s_wait_loadcnt 0x0
	v_cvt_f32_i32_e32 v5, v22
	v_cndmask_b32_e32 v3, 0x7fc00000, v3, vcc_lo
	s_delay_alu instid0(VALU_DEP_1)
	v_mul_f32_e32 v6, v3, v5
.LBB29_31:
	s_or_b32 exec_lo, exec_lo, s5
.LBB29_32:
	s_load_b64 s[0:1], s[0:1], 0x58
	s_cmp_eq_f32 s9, 0
	s_wait_kmcnt 0x0
	global_load_b32 v3, v1, s[0:1] scale_offset
	s_wait_loadcnt 0x0
	v_div_scale_f32 v4, null, v3, v3, v6
	v_div_scale_f32 v8, vcc_lo, v6, v3, v6
	s_delay_alu instid0(VALU_DEP_2) | instskip(SKIP_1) | instid1(TRANS32_DEP_1)
	v_rcp_f32_e32 v5, v4
	v_nop
	v_fma_f32 v7, -v4, v5, 1.0
	s_delay_alu instid0(VALU_DEP_1) | instskip(NEXT) | instid1(VALU_DEP_1)
	v_fmac_f32_e32 v5, v7, v5
	v_mul_f32_e32 v7, v8, v5
	s_delay_alu instid0(VALU_DEP_1) | instskip(NEXT) | instid1(VALU_DEP_1)
	v_fma_f32 v9, -v4, v7, v8
	v_fmac_f32_e32 v7, v9, v5
	s_delay_alu instid0(VALU_DEP_1) | instskip(NEXT) | instid1(VALU_DEP_1)
	v_fma_f32 v4, -v4, v7, v8
	v_div_fmas_f32 v4, v4, v5, v7
	s_delay_alu instid0(VALU_DEP_1) | instskip(NEXT) | instid1(VALU_DEP_1)
	v_div_fixup_f32 v4, v4, v3, v6
	v_mul_f32_e32 v5, s8, v4
	s_cbranch_scc1 .LBB29_34
; %bb.33:
	s_wait_xcnt 0x0
	v_cvt_f32_i32_e32 v1, v1
	s_sub_f32 s0, s22, s11
	v_div_scale_f32 v6, null, s8, s8, 1.0
	s_delay_alu instid0(SALU_CYCLE_2) | instskip(SKIP_4) | instid1(VALU_DEP_3)
	s_max_num_f32 s1, s0, 0x3a83126f
	v_subrev_f32_e32 v1, s11, v1
	v_rcp_f32_e32 v8, v6
	v_nop
	v_xor_b32_e32 v6, 0x80000000, v6
	v_div_scale_f32 v3, null, s1, s1, v1
	s_delay_alu instid0(TRANS32_DEP_1) | instid1(VALU_DEP_2)
	v_fma_f32 v10, v6, v8, 1.0
	s_delay_alu instid0(VALU_DEP_2) | instskip(SKIP_1) | instid1(TRANS32_DEP_1)
	v_rcp_f32_e32 v7, v3
	v_nop
	v_fma_f32 v9, -v3, v7, 1.0
	s_delay_alu instid0(VALU_DEP_1) | instskip(SKIP_2) | instid1(VALU_DEP_2)
	v_fmac_f32_e32 v7, v9, v7
	v_div_scale_f32 v11, vcc_lo, v1, s1, v1
	v_div_scale_f32 v9, s0, 1.0, s8, 1.0
	v_dual_fmac_f32 v8, v10, v8 :: v_dual_mul_f32 v10, v11, v7
	s_delay_alu instid0(VALU_DEP_1) | instskip(NEXT) | instid1(VALU_DEP_1)
	v_dual_mul_f32 v12, v9, v8 :: v_dual_fma_f32 v13, -v3, v10, v11
	v_dual_fma_f32 v14, v6, v12, v9 :: v_dual_fmac_f32 v10, v13, v7
	s_delay_alu instid0(VALU_DEP_1) | instskip(NEXT) | instid1(VALU_DEP_1)
	v_dual_fmac_f32 v12, v14, v8 :: v_dual_fma_f32 v3, -v3, v10, v11
	v_fmac_f32_e32 v9, v6, v12
	s_delay_alu instid0(VALU_DEP_2) | instskip(SKIP_1) | instid1(VALU_DEP_2)
	v_div_fmas_f32 v3, v3, v7, v10
	s_mov_b32 vcc_lo, s0
	v_div_fmas_f32 v6, v9, v8, v12
	s_delay_alu instid0(VALU_DEP_2) | instskip(NEXT) | instid1(VALU_DEP_2)
	v_div_fixup_f32 v1, v3, s1, v1 clamp
	v_div_fixup_f32 v6, v6, s8, 1.0
	s_delay_alu instid0(VALU_DEP_1) | instskip(SKIP_2) | instid1(SALU_CYCLE_1)
	v_readfirstlane_b32 s0, v6
	s_cmp_lt_f32 s0, 0x800000
	s_cselect_b32 s0, 0x4f800000, 1.0
	v_mul_f32_e32 v6, s0, v6
	s_cselect_b32 s0, 0x41b17218, 0
	s_delay_alu instid0(VALU_DEP_1) | instskip(SKIP_1) | instid1(TRANS32_DEP_1)
	v_log_f32_e32 v6, v6
	v_nop
	v_and_b32_e32 v3, 0x7fffffff, v6
	s_delay_alu instid0(VALU_DEP_1) | instskip(SKIP_2) | instid1(VALU_DEP_1)
	v_cmp_gt_f32_e32 vcc_lo, 0x7f800000, v3
	v_sub_f32_e32 v1, 1.0, v1
	v_mul_f32_e32 v7, 0x3f317217, v6
	v_xor_b32_e32 v7, 0x80000000, v7
	s_delay_alu instid0(VALU_DEP_1) | instskip(NEXT) | instid1(VALU_DEP_1)
	v_fmac_f32_e32 v7, 0x3f317217, v6
	v_fmamk_f32 v7, v6, 0x3377d1cf, v7
	s_delay_alu instid0(VALU_DEP_1) | instskip(NEXT) | instid1(VALU_DEP_1)
	v_fmac_f32_e32 v7, 0x3f317217, v6
	v_dual_cndmask_b32 v3, v6, v7 :: v_dual_mul_f32 v6, s9, v1
	v_fma_f32 v7, -s9, v1, 1.0
	s_delay_alu instid0(VALU_DEP_2) | instskip(NEXT) | instid1(VALU_DEP_2)
	v_dual_mov_b32 v1, 1.0 :: v_dual_subrev_f32 v3, s0, v3
	v_pk_mul_f32 v[4:5], v[6:7], v[4:5]
	s_delay_alu instid0(VALU_DEP_2) | instskip(NEXT) | instid1(VALU_DEP_2)
	v_fmamk_f32 v1, v3, 0x3dcccccd, v1
	v_add_f32_e32 v5, v4, v5
	s_delay_alu instid0(VALU_DEP_2)
	v_mul_f32_e32 v6, s10, v1
	s_branch .LBB29_35
.LBB29_34:
	v_mov_b32_e32 v6, s10
.LBB29_35:
	s_wait_xcnt 0x0
	s_delay_alu instid0(VALU_DEP_2) | instskip(SKIP_1) | instid1(VALU_DEP_2)
	v_and_b32_e32 v1, 0x7fffffff, v5
	v_cmp_ngt_f32_e64 s2, 0x48000000, |v5|
                                        ; implicit-def: $vgpr7
                                        ; implicit-def: $vgpr4
	v_lshrrev_b32_e32 v3, 23, v1
	s_and_saveexec_b32 s0, s2
	s_delay_alu instid0(SALU_CYCLE_1)
	s_xor_b32 s3, exec_lo, s0
	s_cbranch_execz .LBB29_37
; %bb.36:
	s_mov_b32 s0, 0x7fffff
	v_mov_b32_e32 v9, 0
	v_and_or_b32 v8, v1, s0, 0x800000
	s_mov_b64 s[0:1], 0xfe5163ab
	s_delay_alu instid0(VALU_DEP_1) | instid1(SALU_CYCLE_1)
	v_mul_u64_e32 v[10:11], s[0:1], v[8:9]
	s_delay_alu instid0(VALU_DEP_1) | instskip(SKIP_2) | instid1(VALU_DEP_3)
	v_dual_mov_b32 v12, v11 :: v_dual_mov_b32 v13, v9
	v_dual_mov_b32 v15, v9 :: v_dual_mov_b32 v17, v9
	;; [unrolled: 1-line block ×3, first 2 shown]
	v_mad_nc_u64_u32 v[12:13], 0x3c439041, v8, v[12:13]
	s_delay_alu instid0(VALU_DEP_1) | instskip(NEXT) | instid1(VALU_DEP_1)
	v_dual_mov_b32 v23, v9 :: v_dual_mov_b32 v14, v13
	v_mad_nc_u64_u32 v[14:15], 0xdb629599, v8, v[14:15]
	s_delay_alu instid0(VALU_DEP_1) | instskip(NEXT) | instid1(VALU_DEP_1)
	v_mov_b32_e32 v16, v15
	v_mad_nc_u64_u32 v[16:17], 0xf534ddc0, v8, v[16:17]
	s_delay_alu instid0(VALU_DEP_1) | instskip(NEXT) | instid1(VALU_DEP_1)
	v_mov_b32_e32 v18, v17
	;; [unrolled: 3-line block ×3, first 2 shown]
	v_mad_nc_u64_u32 v[20:21], 0x4e441529, v8, v[20:21]
	v_add_nc_u32_e32 v4, 0xffffff88, v3
	s_delay_alu instid0(VALU_DEP_1) | instskip(SKIP_1) | instid1(VALU_DEP_4)
	v_cmp_lt_u32_e32 vcc_lo, 63, v4
	v_cndmask_b32_e64 v7, 0, 0xffffffc0, vcc_lo
	v_dual_cndmask_b32 v11, v20, v16 :: v_dual_mov_b32 v22, v21
	s_delay_alu instid0(VALU_DEP_2) | instskip(NEXT) | instid1(VALU_DEP_2)
	v_dual_cndmask_b32 v13, v18, v14 :: v_dual_add_nc_u32 v4, v7, v4
	v_mad_nc_u64_u32 v[8:9], 0xa2f9836e, v8, v[22:23]
	s_delay_alu instid0(VALU_DEP_2) | instskip(NEXT) | instid1(VALU_DEP_1)
	v_cmp_lt_u32_e64 s0, 31, v4
	v_cndmask_b32_e64 v7, 0, 0xffffffe0, s0
	s_delay_alu instid0(VALU_DEP_3) | instskip(NEXT) | instid1(VALU_DEP_2)
	v_dual_cndmask_b32 v8, v8, v18 :: v_dual_cndmask_b32 v9, v9, v20
	v_add_nc_u32_e32 v4, v7, v4
	s_delay_alu instid0(VALU_DEP_1) | instskip(NEXT) | instid1(VALU_DEP_1)
	v_cmp_lt_u32_e64 s1, 31, v4
	v_cndmask_b32_e64 v7, 0, 0xffffffe0, s1
	s_delay_alu instid0(VALU_DEP_1) | instskip(SKIP_2) | instid1(VALU_DEP_3)
	v_add_nc_u32_e32 v4, v7, v4
	v_cndmask_b32_e32 v7, v16, v12, vcc_lo
	v_dual_cndmask_b32 v12, v8, v11, s0 :: v_dual_cndmask_b32 v8, v9, v8, s0
	v_dual_cndmask_b32 v9, v11, v13, s0 :: v_dual_sub_nc_u32 v11, 32, v4
	s_delay_alu instid0(VALU_DEP_2) | instskip(NEXT) | instid1(VALU_DEP_2)
	v_dual_cndmask_b32 v13, v13, v7, s0 :: v_dual_cndmask_b32 v8, v8, v12, s1
	v_cndmask_b32_e64 v12, v12, v9, s1
	s_delay_alu instid0(VALU_DEP_2) | instskip(NEXT) | instid1(VALU_DEP_2)
	v_cndmask_b32_e64 v9, v9, v13, s1
	v_alignbit_b32 v15, v8, v12, v11
	v_cndmask_b32_e32 v10, v14, v10, vcc_lo
	v_cmp_eq_u32_e32 vcc_lo, 0, v4
	s_delay_alu instid0(VALU_DEP_4) | instskip(NEXT) | instid1(VALU_DEP_4)
	v_alignbit_b32 v14, v12, v9, v11
	v_cndmask_b32_e32 v4, v15, v8, vcc_lo
	s_delay_alu instid0(VALU_DEP_2) | instskip(NEXT) | instid1(VALU_DEP_2)
	v_dual_cndmask_b32 v7, v7, v10, s0 :: v_dual_cndmask_b32 v8, v14, v12, vcc_lo
	v_bfe_u32 v10, v4, 29, 1
	s_delay_alu instid0(VALU_DEP_2) | instskip(NEXT) | instid1(VALU_DEP_3)
	v_cndmask_b32_e64 v7, v13, v7, s1
	v_alignbit_b32 v12, v4, v8, 30
	s_delay_alu instid0(VALU_DEP_3) | instskip(NEXT) | instid1(VALU_DEP_3)
	v_sub_nc_u32_e32 v13, 0, v10
	v_alignbit_b32 v11, v9, v7, v11
	s_delay_alu instid0(VALU_DEP_2) | instskip(NEXT) | instid1(VALU_DEP_2)
	v_xor_b32_e32 v12, v12, v13
	v_cndmask_b32_e32 v9, v11, v9, vcc_lo
	s_delay_alu instid0(VALU_DEP_2) | instskip(NEXT) | instid1(VALU_DEP_2)
	v_clz_i32_u32_e32 v11, v12
	v_alignbit_b32 v8, v8, v9, 30
	v_alignbit_b32 v7, v9, v7, 30
	s_delay_alu instid0(VALU_DEP_3) | instskip(NEXT) | instid1(VALU_DEP_3)
	v_min_u32_e32 v11, 32, v11
	v_xor_b32_e32 v8, v8, v13
	s_delay_alu instid0(VALU_DEP_3) | instskip(NEXT) | instid1(VALU_DEP_3)
	v_dual_lshrrev_b32 v13, 29, v4 :: v_dual_bitop2_b32 v7, v7, v13 bitop3:0x14
	v_dual_sub_nc_u32 v9, 31, v11 :: v_dual_lshlrev_b32 v14, 23, v11
	s_delay_alu instid0(VALU_DEP_1) | instskip(NEXT) | instid1(VALU_DEP_3)
	v_alignbit_b32 v12, v12, v8, v9
	v_alignbit_b32 v7, v8, v7, v9
	s_delay_alu instid0(VALU_DEP_4) | instskip(NEXT) | instid1(VALU_DEP_2)
	v_lshlrev_b32_e32 v8, 31, v13
	v_alignbit_b32 v9, v12, v7, 9
	s_delay_alu instid0(VALU_DEP_2) | instskip(SKIP_2) | instid1(VALU_DEP_4)
	v_or_b32_e32 v13, 0.5, v8
	v_lshrrev_b32_e32 v12, 9, v12
	v_or_b32_e32 v8, 0x33000000, v8
	v_clz_i32_u32_e32 v15, v9
	s_delay_alu instid0(VALU_DEP_4) | instskip(NEXT) | instid1(VALU_DEP_2)
	v_sub_nc_u32_e32 v13, v13, v14
	v_min_u32_e32 v14, 32, v15
	s_delay_alu instid0(VALU_DEP_2) | instskip(NEXT) | instid1(VALU_DEP_2)
	v_or_b32_e32 v12, v12, v13
	v_not_b32_e32 v13, v14
	v_add_lshl_u32 v11, v14, v11, 23
	s_delay_alu instid0(VALU_DEP_2) | instskip(NEXT) | instid1(VALU_DEP_2)
	v_alignbit_b32 v7, v9, v7, v13
	v_sub_nc_u32_e32 v8, v8, v11
	s_delay_alu instid0(VALU_DEP_2) | instskip(SKIP_1) | instid1(VALU_DEP_2)
	v_lshrrev_b32_e32 v7, 9, v7
	v_mul_f32_e32 v15, 0x3fc90fda, v12
	v_or_b32_e32 v7, v8, v7
	s_delay_alu instid0(VALU_DEP_2) | instskip(NEXT) | instid1(VALU_DEP_1)
	v_fma_f32 v9, 0x3fc90fda, v12, -v15
	v_fmamk_f32 v9, v12, 0x33a22168, v9
	s_delay_alu instid0(VALU_DEP_1) | instskip(NEXT) | instid1(VALU_DEP_1)
	v_fmac_f32_e32 v9, 0x3fc90fda, v7
	v_dual_add_f32 v4, v15, v9 :: v_dual_lshrrev_b32 v7, 30, v4
	s_delay_alu instid0(VALU_DEP_1)
	v_add_nc_u32_e32 v7, v10, v7
	s_or_saveexec_b32 s0, s3
	v_mul_f32_e64 v10, 0x3f22f983, |v5|
	s_xor_b32 exec_lo, exec_lo, s0
	s_branch .LBB29_38
.LBB29_37:
	s_or_saveexec_b32 s0, s3
	v_mul_f32_e64 v10, 0x3f22f983, |v5|
	s_xor_b32 exec_lo, exec_lo, s0
.LBB29_38:
	s_delay_alu instid0(VALU_DEP_1) | instskip(NEXT) | instid1(VALU_DEP_1)
	v_rndne_f32_e32 v7, v10
	v_fma_f32 v4, 0xbfc90fda, v7, |v5|
	s_delay_alu instid0(VALU_DEP_1) | instskip(NEXT) | instid1(VALU_DEP_1)
	v_fmamk_f32 v4, v7, 0xb3a22168, v4
	v_fmamk_f32 v4, v7, 0xa7c234c4, v4
	v_cvt_i32_f32_e32 v7, v7
; %bb.39:
	s_or_b32 exec_lo, exec_lo, s0
                                        ; implicit-def: $vgpr9
                                        ; implicit-def: $vgpr8
	s_and_saveexec_b32 s0, s2
	s_delay_alu instid0(SALU_CYCLE_1)
	s_xor_b32 s2, exec_lo, s0
	s_cbranch_execz .LBB29_41
; %bb.40:
	s_mov_b32 s0, 0x7fffff
	v_mov_b32_e32 v9, 0
	v_and_or_b32 v8, v1, s0, 0x800000
	s_mov_b64 s[0:1], 0xfe5163ab
	v_add_nc_u32_e32 v3, 0xffffff88, v3
	s_delay_alu instid0(VALU_DEP_2) | instskip(NEXT) | instid1(VALU_DEP_2)
	v_mul_u64_e32 v[10:11], s[0:1], v[8:9]
	v_cmp_lt_u32_e32 vcc_lo, 63, v3
	s_delay_alu instid0(VALU_DEP_2) | instskip(SKIP_2) | instid1(VALU_DEP_3)
	v_dual_mov_b32 v12, v11 :: v_dual_mov_b32 v13, v9
	v_dual_mov_b32 v15, v9 :: v_dual_mov_b32 v17, v9
	;; [unrolled: 1-line block ×3, first 2 shown]
	v_mad_nc_u64_u32 v[12:13], 0x3c439041, v8, v[12:13]
	v_cndmask_b32_e64 v11, 0, 0xffffffc0, vcc_lo
	s_delay_alu instid0(VALU_DEP_1) | instskip(NEXT) | instid1(VALU_DEP_3)
	v_dual_mov_b32 v23, v9 :: v_dual_add_nc_u32 v3, v11, v3
	v_mov_b32_e32 v14, v13
	s_delay_alu instid0(VALU_DEP_2) | instskip(NEXT) | instid1(VALU_DEP_2)
	v_cmp_lt_u32_e64 s0, 31, v3
	v_mad_nc_u64_u32 v[14:15], 0xdb629599, v8, v[14:15]
	s_delay_alu instid0(VALU_DEP_2) | instskip(NEXT) | instid1(VALU_DEP_1)
	v_cndmask_b32_e64 v11, 0, 0xffffffe0, s0
	v_add_nc_u32_e32 v3, v11, v3
	s_delay_alu instid0(VALU_DEP_3) | instskip(NEXT) | instid1(VALU_DEP_2)
	v_mov_b32_e32 v16, v15
	v_cmp_lt_u32_e64 s1, 31, v3
	v_cndmask_b32_e32 v10, v14, v10, vcc_lo
	s_delay_alu instid0(VALU_DEP_3) | instskip(NEXT) | instid1(VALU_DEP_3)
	v_mad_nc_u64_u32 v[16:17], 0xf534ddc0, v8, v[16:17]
	v_cndmask_b32_e64 v11, 0, 0xffffffe0, s1
	s_delay_alu instid0(VALU_DEP_1) | instskip(NEXT) | instid1(VALU_DEP_3)
	v_dual_add_nc_u32 v3, v11, v3 :: v_dual_cndmask_b32 v11, v16, v12, vcc_lo
	v_mov_b32_e32 v18, v17
	s_delay_alu instid0(VALU_DEP_1) | instskip(NEXT) | instid1(VALU_DEP_1)
	v_mad_nc_u64_u32 v[18:19], 0xfc2757d1, v8, v[18:19]
	v_dual_mov_b32 v20, v19 :: v_dual_cndmask_b32 v15, v18, v14
	s_delay_alu instid0(VALU_DEP_1) | instskip(NEXT) | instid1(VALU_DEP_1)
	v_mad_nc_u64_u32 v[20:21], 0x4e441529, v8, v[20:21]
	v_dual_mov_b32 v22, v21 :: v_dual_cndmask_b32 v13, v20, v16
	s_delay_alu instid0(VALU_DEP_1) | instskip(NEXT) | instid1(VALU_DEP_1)
	v_mad_nc_u64_u32 v[8:9], 0xa2f9836e, v8, v[22:23]
	v_dual_cndmask_b32 v8, v8, v18 :: v_dual_cndmask_b32 v9, v9, v20
	v_cmp_eq_u32_e32 vcc_lo, 0, v3
	s_delay_alu instid0(VALU_DEP_2) | instskip(SKIP_2) | instid1(VALU_DEP_3)
	v_dual_cndmask_b32 v12, v8, v13, s0 :: v_dual_cndmask_b32 v8, v9, v8, s0
	v_cndmask_b32_e64 v9, v13, v15, s0
	v_sub_nc_u32_e32 v13, 32, v3
	v_dual_cndmask_b32 v15, v15, v11, s0 :: v_dual_cndmask_b32 v8, v8, v12, s1
	s_delay_alu instid0(VALU_DEP_3) | instskip(NEXT) | instid1(VALU_DEP_1)
	v_cndmask_b32_e64 v12, v12, v9, s1
	v_alignbit_b32 v16, v8, v12, v13
	s_delay_alu instid0(VALU_DEP_1) | instskip(NEXT) | instid1(VALU_DEP_1)
	v_dual_cndmask_b32 v9, v9, v15, s1 :: v_dual_cndmask_b32 v3, v16, v8, vcc_lo
	v_alignbit_b32 v14, v12, v9, v13
	v_cndmask_b32_e64 v8, v11, v10, s0
	s_delay_alu instid0(VALU_DEP_3) | instskip(NEXT) | instid1(VALU_DEP_3)
	v_bfe_u32 v11, v3, 29, 1
	v_cndmask_b32_e32 v10, v14, v12, vcc_lo
	s_delay_alu instid0(VALU_DEP_2) | instskip(NEXT) | instid1(VALU_DEP_2)
	v_dual_cndmask_b32 v8, v15, v8, s1 :: v_dual_sub_nc_u32 v14, 0, v11
	v_alignbit_b32 v12, v3, v10, 30
	s_delay_alu instid0(VALU_DEP_2) | instskip(NEXT) | instid1(VALU_DEP_1)
	v_alignbit_b32 v13, v9, v8, v13
	v_dual_cndmask_b32 v9, v13, v9, vcc_lo :: v_dual_bitop2_b32 v12, v12, v14 bitop3:0x14
	s_delay_alu instid0(VALU_DEP_1) | instskip(NEXT) | instid1(VALU_DEP_2)
	v_clz_i32_u32_e32 v13, v12
	v_alignbit_b32 v10, v10, v9, 30
	v_alignbit_b32 v8, v9, v8, 30
	s_delay_alu instid0(VALU_DEP_3) | instskip(NEXT) | instid1(VALU_DEP_3)
	v_min_u32_e32 v13, 32, v13
	v_xor_b32_e32 v9, v10, v14
	s_delay_alu instid0(VALU_DEP_3) | instskip(NEXT) | instid1(VALU_DEP_3)
	v_dual_lshrrev_b32 v14, 29, v3 :: v_dual_bitop2_b32 v8, v8, v14 bitop3:0x14
	v_dual_lshrrev_b32 v3, 30, v3 :: v_dual_sub_nc_u32 v10, 31, v13
	v_lshlrev_b32_e32 v15, 23, v13
	s_delay_alu instid0(VALU_DEP_2) | instskip(NEXT) | instid1(VALU_DEP_4)
	v_alignbit_b32 v12, v12, v9, v10
	v_alignbit_b32 v8, v9, v8, v10
	v_lshlrev_b32_e32 v9, 31, v14
	s_delay_alu instid0(VALU_DEP_2) | instskip(NEXT) | instid1(VALU_DEP_2)
	v_alignbit_b32 v10, v12, v8, 9
	v_dual_lshrrev_b32 v12, 9, v12 :: v_dual_bitop2_b32 v14, 0.5, v9 bitop3:0x54
	v_or_b32_e32 v9, 0x33000000, v9
	s_delay_alu instid0(VALU_DEP_3) | instskip(NEXT) | instid1(VALU_DEP_3)
	v_clz_i32_u32_e32 v16, v10
	v_sub_nc_u32_e32 v14, v14, v15
	s_delay_alu instid0(VALU_DEP_2) | instskip(NEXT) | instid1(VALU_DEP_1)
	v_min_u32_e32 v15, 32, v16
	v_add_lshl_u32 v13, v15, v13, 23
	s_delay_alu instid0(VALU_DEP_1) | instskip(SKIP_1) | instid1(VALU_DEP_1)
	v_dual_sub_nc_u32 v9, v9, v13 :: v_dual_bitop2_b32 v12, v12, v14 bitop3:0x54
	v_not_b32_e32 v14, v15
	v_alignbit_b32 v8, v10, v8, v14
	s_delay_alu instid0(VALU_DEP_1) | instskip(NEXT) | instid1(VALU_DEP_4)
	v_lshrrev_b32_e32 v8, 9, v8
	v_mul_f32_e32 v16, 0x3fc90fda, v12
	s_delay_alu instid0(VALU_DEP_2) | instskip(NEXT) | instid1(VALU_DEP_2)
	v_or_b32_e32 v8, v9, v8
	v_fma_f32 v10, 0x3fc90fda, v12, -v16
	s_delay_alu instid0(VALU_DEP_1) | instskip(NEXT) | instid1(VALU_DEP_1)
	v_dual_fmamk_f32 v10, v12, 0x33a22168, v10 :: v_dual_add_nc_u32 v9, v11, v3
	v_fmac_f32_e32 v10, 0x3fc90fda, v8
	s_delay_alu instid0(VALU_DEP_1)
	v_add_f32_e32 v8, v16, v10
                                        ; implicit-def: $vgpr10
	s_and_not1_saveexec_b32 s0, s2
	s_cbranch_execnz .LBB29_42
	s_branch .LBB29_43
.LBB29_41:
	s_and_not1_saveexec_b32 s0, s2
.LBB29_42:
	v_rndne_f32_e32 v3, v10
	s_delay_alu instid0(VALU_DEP_1) | instskip(SKIP_1) | instid1(VALU_DEP_2)
	v_fma_f32 v8, 0xbfc90fda, v3, |v5|
	v_cvt_i32_f32_e32 v9, v3
	v_fmamk_f32 v8, v3, 0xb3a22168, v8
	s_delay_alu instid0(VALU_DEP_1)
	v_fmamk_f32 v8, v3, 0xa7c234c4, v8
.LBB29_43:
	s_or_b32 exec_lo, exec_lo, s0
	v_ashrrev_i32_e32 v3, 31, v2
	s_lshr_b32 s0, s21, 31
	s_mov_b32 s2, 0xb94c1982
	s_add_co_i32 s0, s21, s0
	s_mov_b32 s3, 0x37d75334
	s_ashr_i32 s0, s0, 1
	v_lshl_add_u64 v[10:11], v[2:3], 1, s[12:13]
	s_ashr_i32 s1, s0, 31
	v_mul_f32_e32 v3, v8, v8
	s_lshl_b64 s[0:1], s[0:1], 1
	s_delay_alu instid0(VALU_DEP_2) | instid1(SALU_CYCLE_1)
	v_add_nc_u64_e32 v[10:11], s[0:1], v[10:11]
	s_clause 0x1
	global_load_u16 v12, v[10:11], off
	global_load_u16 v13, v2, s[12:13] scale_offset
	s_wait_xcnt 0x0
	v_dual_mul_f32 v2, v4, v4 :: v_dual_bitop2_b32 v10, 1, v7 bitop3:0x40
	v_fmaak_f32 v15, s2, v3, 0x3c0881c4
	v_lshlrev_b32_e32 v7, 30, v7
	v_fmaak_f32 v16, s3, v3, 0xbab64f3b
	s_delay_alu instid0(VALU_DEP_4) | instskip(SKIP_2) | instid1(VALU_DEP_1)
	v_fmaak_f32 v14, s3, v2, 0xbab64f3b
	v_cmp_eq_u32_e32 vcc_lo, 0, v10
	v_fmaak_f32 v15, v3, v15, 0xbe2aaa9d
	v_dual_fmaak_f32 v14, v2, v14, 0x3d2aabf7 :: v_dual_mul_f32 v15, v3, v15
	s_delay_alu instid0(VALU_DEP_1) | instskip(NEXT) | instid1(VALU_DEP_1)
	v_dual_fmaak_f32 v11, s2, v2, 0x3c0881c4 :: v_dual_fmac_f32 v8, v8, v15
	v_fmaak_f32 v11, v2, v11, 0xbe2aaa9d
	v_dual_lshlrev_b32 v9, 30, v9 :: v_dual_bitop2_b32 v17, 1, v9 bitop3:0x40
	s_delay_alu instid0(VALU_DEP_2) | instskip(SKIP_1) | instid1(VALU_DEP_3)
	v_dual_fmaak_f32 v16, v3, v16, 0x3d2aabf7 :: v_dual_mul_f32 v11, v2, v11
	v_xor_b32_e32 v1, v1, v5
	v_and_b32_e32 v9, 0x80000000, v9
	s_delay_alu instid0(VALU_DEP_3) | instskip(NEXT) | instid1(VALU_DEP_4)
	v_fmaak_f32 v16, v3, v16, 0xbf000004
	v_fmac_f32_e32 v4, v4, v11
	s_delay_alu instid0(VALU_DEP_2) | instskip(SKIP_1) | instid1(VALU_DEP_1)
	v_fma_f32 v3, v3, v16, 1.0
	v_fmaak_f32 v14, v2, v14, 0xbf000004
	v_fma_f32 v2, v2, v14, 1.0
	s_delay_alu instid0(VALU_DEP_1) | instskip(SKIP_1) | instid1(VALU_DEP_2)
	v_cndmask_b32_e64 v2, -v4, v2, vcc_lo
	v_cmp_eq_u32_e32 vcc_lo, 0, v17
	v_bitop3_b32 v2, v7, v2, 0x80000000 bitop3:0x6c
	v_cndmask_b32_e32 v3, v3, v8, vcc_lo
	v_cmp_class_f32_e64 vcc_lo, v5, 0x1f8
	s_delay_alu instid0(VALU_DEP_2)
	v_xor3_b32 v1, v1, v9, v3
	s_wait_loadcnt 0x1
	v_cvt_f32_f16_e32 v7, v12
	s_wait_loadcnt 0x0
	v_cvt_f32_f16_e32 v8, v13
	v_cndmask_b32_e32 v4, 0x7fc00000, v2, vcc_lo
	v_dual_cndmask_b32 v2, 0x7fc00000, v1 :: v_dual_ashrrev_i32 v1, 31, v0
	s_delay_alu instid0(VALU_DEP_1) | instskip(NEXT) | instid1(VALU_DEP_2)
	v_mul_f32_e64 v5, v2, -v6
	v_lshl_add_u64 v[2:3], v[0:1], 1, s[14:15]
	s_delay_alu instid0(VALU_DEP_2) | instskip(SKIP_1) | instid1(VALU_DEP_3)
	v_dual_mul_f32 v1, v6, v4 :: v_dual_mul_f32 v4, v5, v7
	v_mul_f32_e32 v5, v5, v8
	v_add_nc_u64_e32 v[2:3], s[0:1], v[2:3]
	s_delay_alu instid0(VALU_DEP_3) | instskip(NEXT) | instid1(VALU_DEP_3)
	v_fma_mixlo_f16 v4, v1, v13, -v4 op_sel_hi:[0,1,0]
	v_fma_mixlo_f16 v1, v1, v12, v5 op_sel_hi:[0,1,0]
	s_clause 0x1
	global_store_b16 v0, v4, s[14:15] scale_offset
	global_store_b16 v[2:3], v1, off
.LBB29_44:
	s_endpgm
	.section	.rodata,"a",@progbits
	.p2align	6, 0x0
	.amdhsa_kernel _ZL10rope_multiILb0ELb1E6__halfEvPKT1_PS1_iiiiiiiiiiPKifff14rope_corr_dimsfPKf14mrope_sectionsb
		.amdhsa_group_segment_fixed_size 0
		.amdhsa_private_segment_fixed_size 0
		.amdhsa_kernarg_size 376
		.amdhsa_user_sgpr_count 2
		.amdhsa_user_sgpr_dispatch_ptr 0
		.amdhsa_user_sgpr_queue_ptr 0
		.amdhsa_user_sgpr_kernarg_segment_ptr 1
		.amdhsa_user_sgpr_dispatch_id 0
		.amdhsa_user_sgpr_kernarg_preload_length 0
		.amdhsa_user_sgpr_kernarg_preload_offset 0
		.amdhsa_user_sgpr_private_segment_size 0
		.amdhsa_wavefront_size32 1
		.amdhsa_uses_dynamic_stack 0
		.amdhsa_enable_private_segment 0
		.amdhsa_system_sgpr_workgroup_id_x 1
		.amdhsa_system_sgpr_workgroup_id_y 1
		.amdhsa_system_sgpr_workgroup_id_z 0
		.amdhsa_system_sgpr_workgroup_info 0
		.amdhsa_system_vgpr_workitem_id 1
		.amdhsa_next_free_vgpr 25
		.amdhsa_next_free_sgpr 27
		.amdhsa_named_barrier_count 0
		.amdhsa_reserve_vcc 1
		.amdhsa_float_round_mode_32 0
		.amdhsa_float_round_mode_16_64 0
		.amdhsa_float_denorm_mode_32 3
		.amdhsa_float_denorm_mode_16_64 3
		.amdhsa_fp16_overflow 0
		.amdhsa_memory_ordered 1
		.amdhsa_forward_progress 1
		.amdhsa_inst_pref_size 106
		.amdhsa_round_robin_scheduling 0
		.amdhsa_exception_fp_ieee_invalid_op 0
		.amdhsa_exception_fp_denorm_src 0
		.amdhsa_exception_fp_ieee_div_zero 0
		.amdhsa_exception_fp_ieee_overflow 0
		.amdhsa_exception_fp_ieee_underflow 0
		.amdhsa_exception_fp_ieee_inexact 0
		.amdhsa_exception_int_div_zero 0
	.end_amdhsa_kernel
	.section	.text._ZL10rope_multiILb0ELb1E6__halfEvPKT1_PS1_iiiiiiiiiiPKifff14rope_corr_dimsfPKf14mrope_sectionsb,"axG",@progbits,_ZL10rope_multiILb0ELb1E6__halfEvPKT1_PS1_iiiiiiiiiiPKifff14rope_corr_dimsfPKf14mrope_sectionsb,comdat
.Lfunc_end29:
	.size	_ZL10rope_multiILb0ELb1E6__halfEvPKT1_PS1_iiiiiiiiiiPKifff14rope_corr_dimsfPKf14mrope_sectionsb, .Lfunc_end29-_ZL10rope_multiILb0ELb1E6__halfEvPKT1_PS1_iiiiiiiiiiPKifff14rope_corr_dimsfPKf14mrope_sectionsb
                                        ; -- End function
	.set _ZL10rope_multiILb0ELb1E6__halfEvPKT1_PS1_iiiiiiiiiiPKifff14rope_corr_dimsfPKf14mrope_sectionsb.num_vgpr, 25
	.set _ZL10rope_multiILb0ELb1E6__halfEvPKT1_PS1_iiiiiiiiiiPKifff14rope_corr_dimsfPKf14mrope_sectionsb.num_agpr, 0
	.set _ZL10rope_multiILb0ELb1E6__halfEvPKT1_PS1_iiiiiiiiiiPKifff14rope_corr_dimsfPKf14mrope_sectionsb.numbered_sgpr, 27
	.set _ZL10rope_multiILb0ELb1E6__halfEvPKT1_PS1_iiiiiiiiiiPKifff14rope_corr_dimsfPKf14mrope_sectionsb.num_named_barrier, 0
	.set _ZL10rope_multiILb0ELb1E6__halfEvPKT1_PS1_iiiiiiiiiiPKifff14rope_corr_dimsfPKf14mrope_sectionsb.private_seg_size, 0
	.set _ZL10rope_multiILb0ELb1E6__halfEvPKT1_PS1_iiiiiiiiiiPKifff14rope_corr_dimsfPKf14mrope_sectionsb.uses_vcc, 1
	.set _ZL10rope_multiILb0ELb1E6__halfEvPKT1_PS1_iiiiiiiiiiPKifff14rope_corr_dimsfPKf14mrope_sectionsb.uses_flat_scratch, 0
	.set _ZL10rope_multiILb0ELb1E6__halfEvPKT1_PS1_iiiiiiiiiiPKifff14rope_corr_dimsfPKf14mrope_sectionsb.has_dyn_sized_stack, 0
	.set _ZL10rope_multiILb0ELb1E6__halfEvPKT1_PS1_iiiiiiiiiiPKifff14rope_corr_dimsfPKf14mrope_sectionsb.has_recursion, 0
	.set _ZL10rope_multiILb0ELb1E6__halfEvPKT1_PS1_iiiiiiiiiiPKifff14rope_corr_dimsfPKf14mrope_sectionsb.has_indirect_call, 0
	.section	.AMDGPU.csdata,"",@progbits
; Kernel info:
; codeLenInByte = 13500
; TotalNumSgprs: 29
; NumVgprs: 25
; ScratchSize: 0
; MemoryBound: 0
; FloatMode: 240
; IeeeMode: 1
; LDSByteSize: 0 bytes/workgroup (compile time only)
; SGPRBlocks: 0
; VGPRBlocks: 1
; NumSGPRsForWavesPerEU: 29
; NumVGPRsForWavesPerEU: 25
; NamedBarCnt: 0
; Occupancy: 16
; WaveLimiterHint : 0
; COMPUTE_PGM_RSRC2:SCRATCH_EN: 0
; COMPUTE_PGM_RSRC2:USER_SGPR: 2
; COMPUTE_PGM_RSRC2:TRAP_HANDLER: 0
; COMPUTE_PGM_RSRC2:TGID_X_EN: 1
; COMPUTE_PGM_RSRC2:TGID_Y_EN: 1
; COMPUTE_PGM_RSRC2:TGID_Z_EN: 0
; COMPUTE_PGM_RSRC2:TIDIG_COMP_CNT: 1
	.section	.text._ZL11rope_visionILb0ELb0EfEvPKT1_PS0_iiiiiiiiiiPKifff14rope_corr_dimsfPKf14mrope_sections,"axG",@progbits,_ZL11rope_visionILb0ELb0EfEvPKT1_PS0_iiiiiiiiiiPKifff14rope_corr_dimsfPKf14mrope_sections,comdat
	.globl	_ZL11rope_visionILb0ELb0EfEvPKT1_PS0_iiiiiiiiiiPKifff14rope_corr_dimsfPKf14mrope_sections ; -- Begin function _ZL11rope_visionILb0ELb0EfEvPKT1_PS0_iiiiiiiiiiPKifff14rope_corr_dimsfPKf14mrope_sections
	.p2align	8
	.type	_ZL11rope_visionILb0ELb0EfEvPKT1_PS0_iiiiiiiiiiPKifff14rope_corr_dimsfPKf14mrope_sections,@function
_ZL11rope_visionILb0ELb0EfEvPKT1_PS0_iiiiiiiiiiPKifff14rope_corr_dimsfPKf14mrope_sections: ; @_ZL11rope_visionILb0ELb0EfEvPKT1_PS0_iiiiiiiiiiPKifff14rope_corr_dimsfPKf14mrope_sections
; %bb.0:
	s_clause 0x1
	s_load_u16 s3, s[0:1], 0x7e
	s_load_b256 s[4:11], s[0:1], 0x10
	s_bfe_u32 s2, ttmp6, 0x40010
	s_bfe_u32 s13, ttmp6, 0x40004
	s_add_co_i32 s2, s2, 1
	v_bfe_u32 v1, v0, 10, 10
	s_mul_i32 s12, ttmp7, s2
	s_getreg_b32 s2, hwreg(HW_REG_IB_STS2, 6, 4)
	s_add_co_i32 s13, s13, s12
	s_cmp_eq_u32 s2, 0
	s_cselect_b32 s12, ttmp7, s13
	s_wait_kmcnt 0x0
	s_mul_i32 s12, s12, s3
	s_mov_b32 s3, exec_lo
	v_add_lshl_u32 v2, s12, v1, 1
	s_delay_alu instid0(VALU_DEP_1)
	v_cmpx_gt_i32_e64 s4, v2
	s_cbranch_execz .LBB30_20
; %bb.1:
	s_add_nc_u64 s[12:13], s[0:1], 0x70
	s_bfe_u32 s4, ttmp6, 0x4000c
	s_load_b32 s3, s[12:13], 0xc
	s_add_co_i32 s4, s4, 1
	s_wait_xcnt 0x0
	s_and_b32 s12, ttmp6, 15
	s_mul_i32 s4, ttmp9, s4
	v_and_b32_e32 v0, 0x3ff, v0
	s_add_co_i32 s12, s12, s4
	s_mul_i32 s4, s6, s5
	s_wait_kmcnt 0x0
	s_and_b32 s3, s3, 0xffff
	s_cmp_eq_u32 s2, 0
	s_cselect_b32 s2, ttmp9, s12
	s_abs_i32 s12, s4
	v_mad_u32 v3, s2, s3, v0
	s_cvt_f32_u32 s13, s12
	s_delay_alu instid0(SALU_CYCLE_3) | instskip(NEXT) | instid1(VALU_DEP_1)
	v_rcp_iflag_f32_e32 v1, s13
	v_sub_nc_u32_e32 v0, 0, v3
	s_delay_alu instid0(TRANS32_DEP_1) | instskip(NEXT) | instid1(VALU_DEP_2)
	v_readfirstlane_b32 s2, v1
	v_max_i32_e32 v0, v3, v0
	s_mul_f32 s2, s2, 0x4f7ffffe
	s_delay_alu instid0(SALU_CYCLE_3) | instskip(SKIP_1) | instid1(SALU_CYCLE_2)
	s_cvt_u32_f32 s13, s2
	s_sub_co_i32 s2, 0, s12
	s_mul_i32 s2, s2, s13
	s_delay_alu instid0(SALU_CYCLE_1) | instskip(SKIP_2) | instid1(SALU_CYCLE_1)
	s_mul_hi_u32 s14, s13, s2
	s_load_b64 s[2:3], s[0:1], 0x60
	s_add_co_i32 s13, s13, s14
	v_mul_hi_u32 v1, v0, s13
	s_delay_alu instid0(VALU_DEP_1) | instskip(SKIP_2) | instid1(SALU_CYCLE_1)
	v_mul_lo_u32 v4, v1, s12
	s_wait_kmcnt 0x0
	s_add_co_i32 s3, s3, s2
	s_abs_i32 s20, s3
	s_delay_alu instid0(SALU_CYCLE_1) | instskip(NEXT) | instid1(VALU_DEP_1)
	s_cvt_f32_u32 s13, s20
	v_dual_sub_nc_u32 v0, v0, v4 :: v_dual_add_nc_u32 v4, 1, v1
	s_delay_alu instid0(SALU_CYCLE_2) | instskip(SKIP_1) | instid1(VALU_DEP_1)
	v_rcp_iflag_f32_e32 v5, s13
	s_cvt_f32_u32 s13, s5
	v_cmp_le_u32_e32 vcc_lo, s12, v0
	s_delay_alu instid0(TRANS32_DEP_1) | instskip(SKIP_4) | instid1(VALU_DEP_2)
	v_readfirstlane_b32 s14, v5
	v_cndmask_b32_e32 v1, v1, v4, vcc_lo
	v_subrev_nc_u32_e32 v6, s12, v0
	v_xor_b32_e32 v4, s4, v3
	s_mul_f32 s14, s14, 0x4f7ffffe
	v_dual_cndmask_b32 v5, v0, v6 :: v_dual_add_nc_u32 v6, 1, v1
	s_delay_alu instid0(VALU_DEP_2) | instskip(NEXT) | instid1(VALU_DEP_2)
	v_dual_ashrrev_i32 v0, 1, v2 :: v_dual_ashrrev_i32 v4, 31, v4
	v_cmp_le_u32_e32 vcc_lo, s12, v5
	v_rcp_iflag_f32_e32 v5, s13
	s_cvt_u32_f32 s12, s14
	s_sub_co_i32 s13, 0, s20
	v_dual_cndmask_b32 v1, v1, v6 :: v_dual_sub_nc_u32 v6, 0, v0
	s_delay_alu instid0(SALU_CYCLE_1) | instskip(NEXT) | instid1(TRANS32_DEP_1)
	s_mul_i32 s13, s13, s12
	v_readfirstlane_b32 s14, v5
	s_mul_hi_u32 s13, s12, s13
	v_xor_b32_e32 v1, v1, v4
	v_max_i32_e32 v6, v0, v6
	s_add_co_i32 s12, s12, s13
	s_delay_alu instid0(VALU_DEP_2) | instskip(NEXT) | instid1(VALU_DEP_2)
	v_sub_nc_u32_e32 v1, v1, v4
	v_mul_hi_u32 v4, v6, s12
	s_sub_co_i32 s12, 0, s5
	s_delay_alu instid0(VALU_DEP_2) | instskip(SKIP_1) | instid1(SALU_CYCLE_3)
	v_mul_lo_u32 v5, s4, v1
	s_mul_f32 s4, s14, 0x4f7ffffe
	s_cvt_u32_f32 s4, s4
	s_delay_alu instid0(VALU_DEP_2) | instskip(NEXT) | instid1(SALU_CYCLE_2)
	v_mul_lo_u32 v4, v4, s20
	s_mul_i32 s12, s12, s4
	s_delay_alu instid0(VALU_DEP_2) | instskip(SKIP_1) | instid1(SALU_CYCLE_1)
	v_sub_nc_u32_e32 v3, v3, v5
	s_mul_hi_u32 s12, s4, s12
	s_add_co_i32 s4, s4, s12
	s_clause 0x2
	s_load_b64 s[18:19], s[0:1], 0x50
	s_load_b64 s[16:17], s[0:1], 0x30
	s_load_b128 s[12:15], s[0:1], 0x40
	v_mul_hi_u32 v5, v3, s4
	s_mov_b32 s4, exec_lo
	s_delay_alu instid0(VALU_DEP_1) | instskip(SKIP_1) | instid1(VALU_DEP_2)
	v_mul_lo_u32 v7, v5, s5
	v_dual_sub_nc_u32 v4, v6, v4 :: v_dual_add_nc_u32 v8, 1, v5
	v_sub_nc_u32_e32 v7, v3, v7
	s_delay_alu instid0(VALU_DEP_2) | instskip(SKIP_1) | instid1(VALU_DEP_2)
	v_subrev_nc_u32_e32 v6, s20, v4
	v_cmp_le_u32_e32 vcc_lo, s20, v4
	v_cndmask_b32_e32 v4, v4, v6, vcc_lo
	s_delay_alu instid0(VALU_DEP_1) | instskip(SKIP_2) | instid1(VALU_DEP_2)
	v_subrev_nc_u32_e32 v6, s20, v4
	v_cmp_le_u32_e32 vcc_lo, s20, v4
	s_mov_b32 s20, -1
	v_cndmask_b32_e32 v4, v4, v6, vcc_lo
	v_subrev_nc_u32_e32 v6, s5, v7
	v_cmp_le_u32_e32 vcc_lo, s5, v7
	v_dual_cndmask_b32 v5, v5, v8 :: v_dual_ashrrev_i32 v2, 31, v2
	s_delay_alu instid0(VALU_DEP_3) | instskip(NEXT) | instid1(VALU_DEP_2)
	v_cndmask_b32_e32 v6, v7, v6, vcc_lo
	v_dual_add_nc_u32 v7, 1, v5 :: v_dual_bitop2_b32 v4, v4, v2 bitop3:0x14
	s_delay_alu instid0(VALU_DEP_2) | instskip(NEXT) | instid1(VALU_DEP_2)
	v_cmp_le_u32_e32 vcc_lo, s5, v6
	v_dual_sub_nc_u32 v4, v4, v2 :: v_dual_cndmask_b32 v2, v5, v7, vcc_lo
	s_delay_alu instid0(VALU_DEP_1) | instskip(NEXT) | instid1(VALU_DEP_2)
	v_mov_b32_e32 v6, v2
	v_cmpx_le_i32_e64 s2, v4
	s_cbranch_execz .LBB30_4
; %bb.2:
	s_cmp_gt_i32 s3, -1
	s_mov_b32 s3, -1
	s_cbranch_scc0 .LBB30_7
; %bb.3:
	v_subrev_nc_u32_e32 v4, s2, v4
	v_add_nc_u32_e32 v6, s6, v2
	s_branch .LBB30_8
.LBB30_4:
	s_or_b32 exec_lo, exec_lo, s4
	v_mov_b32_e32 v7, 0
	s_and_saveexec_b32 s6, s20
	s_cbranch_execz .LBB30_9
.LBB30_5:
	s_wait_kmcnt 0x0
	s_cmp_neq_f32 s19, 1.0
	v_cvt_f32_i32_e32 v4, v4
	s_load_b64 s[2:3], s[0:1], 0x38
	s_mov_b32 s4, 0x3e76c4e1
	s_cselect_b32 vcc_lo, -1, 0
	s_delay_alu instid0(VALU_DEP_1) | instskip(NEXT) | instid1(VALU_DEP_1)
	v_cndmask_b32_e32 v5, 1.0, v4, vcc_lo
	v_cmp_neq_f32_e32 vcc_lo, 0, v5
	v_cndmask_b32_e64 v4, 1.0, s19, vcc_lo
	s_delay_alu instid0(VALU_DEP_1) | instskip(SKIP_4) | instid1(VALU_DEP_1)
	v_frexp_mant_f32_e64 v7, |v4|
	s_wait_kmcnt 0x0
	global_load_b32 v22, v6, s[2:3] scale_offset
	v_cmp_gt_f32_e32 vcc_lo, 0x3f2aaaab, v7
	v_cndmask_b32_e64 v8, 1.0, 2.0, vcc_lo
	v_mul_f32_e32 v7, v7, v8
	s_delay_alu instid0(VALU_DEP_1) | instskip(NEXT) | instid1(VALU_DEP_1)
	v_dual_add_f32 v8, 1.0, v7 :: v_dual_add_f32 v9, -1.0, v7
	v_add_f32_e32 v11, -1.0, v8
	v_rcp_f32_e32 v14, v8
	v_nop
	s_delay_alu instid0(TRANS32_DEP_1) | instskip(NEXT) | instid1(VALU_DEP_1)
	v_mul_f32_e32 v15, v9, v14
	v_mul_f32_e32 v10, v8, v15
	v_sub_f32_e32 v7, v7, v11
	s_delay_alu instid0(VALU_DEP_2) | instskip(NEXT) | instid1(VALU_DEP_1)
	v_fma_f32 v12, v15, v8, -v10
	v_fmac_f32_e32 v12, v15, v7
	s_delay_alu instid0(VALU_DEP_1) | instskip(NEXT) | instid1(VALU_DEP_1)
	v_add_f32_e32 v8, v10, v12
	v_dual_sub_f32 v11, v9, v8 :: v_dual_mov_b32 v13, v8
	s_delay_alu instid0(VALU_DEP_1) | instskip(NEXT) | instid1(VALU_DEP_1)
	v_pk_add_f32 v[8:9], v[8:9], v[10:11] neg_lo:[0,1] neg_hi:[0,1]
	v_pk_add_f32 v[8:9], v[8:9], v[12:13] neg_lo:[0,1] neg_hi:[0,1]
	v_cvt_f64_f32_e64 v[12:13], |v4|
	s_delay_alu instid0(VALU_DEP_2) | instskip(NEXT) | instid1(VALU_DEP_1)
	v_add_f32_e32 v7, v8, v9
	v_add_f32_e32 v7, v11, v7
	s_delay_alu instid0(VALU_DEP_1) | instskip(NEXT) | instid1(VALU_DEP_1)
	v_mul_f32_e32 v7, v14, v7
	v_add_f32_e32 v8, v15, v7
	s_delay_alu instid0(VALU_DEP_1) | instskip(NEXT) | instid1(VALU_DEP_1)
	v_sub_f32_e32 v9, v8, v15
	v_sub_f32_e32 v18, v7, v9
	v_frexp_exp_i32_f64_e32 v17, v[12:13]
	s_delay_alu instid0(VALU_DEP_2) | instskip(NEXT) | instid1(VALU_DEP_1)
	v_dual_add_f32 v9, v18, v18 :: v_dual_mul_f32 v11, v8, v8
	v_fma_f32 v7, v8, v8, -v11
	s_delay_alu instid0(VALU_DEP_1) | instskip(NEXT) | instid1(VALU_DEP_1)
	v_fmac_f32_e32 v7, v8, v9
	v_add_f32_e32 v10, v11, v7
	s_delay_alu instid0(VALU_DEP_1) | instskip(SKIP_2) | instid1(VALU_DEP_2)
	v_sub_f32_e32 v11, v10, v11
	v_fmaak_f32 v9, s4, v10, 0x3e91f4c4
	v_cmp_eq_f32_e64 s4, 0, v4
	v_dual_sub_f32 v16, v7, v11 :: v_dual_fmaak_f32 v9, v10, v9, 0x3ecccdef
	s_delay_alu instid0(VALU_DEP_1) | instskip(SKIP_1) | instid1(VALU_DEP_1)
	v_mul_f32_e32 v14, v10, v9
	s_wait_xcnt 0x0
	v_fma_f32 v6, v10, v9, -v14
	s_delay_alu instid0(VALU_DEP_1) | instskip(NEXT) | instid1(VALU_DEP_1)
	v_fmac_f32_e32 v6, v16, v9
	v_add_f32_e32 v11, v14, v6
	s_delay_alu instid0(VALU_DEP_1) | instskip(NEXT) | instid1(VALU_DEP_1)
	v_sub_f32_e32 v9, v11, v14
	v_dual_add_f32 v7, 0x3f2aaaaa, v11 :: v_dual_sub_f32 v6, v6, v9
	s_delay_alu instid0(VALU_DEP_1) | instskip(NEXT) | instid1(VALU_DEP_2)
	v_add_f32_e32 v14, 0xbf2aaaaa, v7
	v_add_f32_e32 v9, 0x31739010, v6
	s_delay_alu instid0(VALU_DEP_2) | instskip(NEXT) | instid1(VALU_DEP_1)
	v_sub_f32_e32 v11, v11, v14
	v_pk_mul_f32 v[12:13], v[8:9], v[10:11]
	s_delay_alu instid0(VALU_DEP_1) | instskip(NEXT) | instid1(VALU_DEP_1)
	v_fma_f32 v6, v10, v8, -v12
	v_fmac_f32_e32 v6, v10, v18
	s_delay_alu instid0(VALU_DEP_1) | instskip(SKIP_2) | instid1(VALU_DEP_2)
	v_fmac_f32_e32 v6, v16, v8
	v_pk_add_f32 v[14:15], v[8:9], v[10:11]
	v_subrev_co_ci_u32_e64 v9, null, 0, v17, vcc_lo
	v_mov_b32_e32 v13, v15
	s_delay_alu instid0(VALU_DEP_2) | instskip(NEXT) | instid1(VALU_DEP_2)
	v_cvt_f32_i32_e32 v9, v9
	v_pk_add_f32 v[10:11], v[12:13], v[6:7]
	s_delay_alu instid0(VALU_DEP_1) | instskip(NEXT) | instid1(VALU_DEP_1)
	v_dual_mov_b32 v14, v11 :: v_dual_sub_f32 v13, v10, v12
	v_pk_mul_f32 v[16:17], v[10:11], v[14:15]
	s_delay_alu instid0(VALU_DEP_4) | instskip(NEXT) | instid1(VALU_DEP_3)
	v_dual_sub_f32 v7, v7, v11 :: v_dual_mul_f32 v14, 0x3f317218, v9
	v_sub_f32_e32 v6, v6, v13
	s_delay_alu instid0(VALU_DEP_3) | instskip(NEXT) | instid1(VALU_DEP_3)
	v_fma_f32 v12, v10, v11, -v16
	v_add_f32_e32 v7, v15, v7
	s_delay_alu instid0(VALU_DEP_1) | instskip(SKIP_1) | instid1(VALU_DEP_2)
	v_fmac_f32_e32 v12, v10, v7
	v_fma_f32 v7, 0x3f317218, v9, -v14
	v_fmac_f32_e32 v12, v6, v11
	s_delay_alu instid0(VALU_DEP_2) | instskip(SKIP_1) | instid1(VALU_DEP_1)
	v_fmamk_f32 v6, v9, 0xb102e308, v7
	v_ldexp_f32 v7, v8, 1
	v_dual_add_f32 v15, v16, v12 :: v_dual_mov_b32 v17, v7
	s_delay_alu instid0(VALU_DEP_1) | instskip(SKIP_2) | instid1(VALU_DEP_3)
	v_pk_add_f32 v[8:9], v[14:15], v[6:7]
	v_dual_mov_b32 v10, v15 :: v_dual_mov_b32 v13, v15
	v_ldexp_f32 v7, v18, 1
	v_dual_mov_b32 v11, v9 :: v_dual_mov_b32 v20, v9
	s_delay_alu instid0(VALU_DEP_1) | instskip(NEXT) | instid1(VALU_DEP_1)
	v_pk_add_f32 v[10:11], v[10:11], v[16:17] neg_lo:[0,1] neg_hi:[0,1]
	v_pk_add_f32 v[10:11], v[12:13], v[10:11] neg_lo:[0,1] neg_hi:[0,1]
	s_delay_alu instid0(VALU_DEP_1) | instskip(NEXT) | instid1(VALU_DEP_1)
	v_add_f32_e32 v7, v7, v10
	v_dual_add_f32 v15, v7, v11 :: v_dual_mov_b32 v7, v8
	s_delay_alu instid0(VALU_DEP_1) | instskip(SKIP_1) | instid1(VALU_DEP_2)
	v_pk_add_f32 v[10:11], v[8:9], v[14:15]
	v_pk_add_f32 v[12:13], v[8:9], v[14:15] neg_lo:[0,1] neg_hi:[0,1]
	v_mov_b32_e32 v13, v11
	s_delay_alu instid0(VALU_DEP_1) | instskip(SKIP_2) | instid1(VALU_DEP_3)
	v_pk_add_f32 v[16:17], v[6:7], v[12:13]
	v_mov_b32_e32 v16, v11
	v_pk_add_f32 v[6:7], v[6:7], v[12:13] neg_lo:[0,1] neg_hi:[0,1]
	v_mov_b32_e32 v14, v17
	s_delay_alu instid0(VALU_DEP_1) | instskip(SKIP_1) | instid1(VALU_DEP_2)
	v_pk_add_f32 v[18:19], v[14:15], v[8:9] neg_lo:[0,1] neg_hi:[0,1]
	v_dual_mov_b32 v9, v8 :: v_dual_mov_b32 v8, v15
	v_dual_mov_b32 v15, v18 :: v_dual_mov_b32 v21, v18
	s_delay_alu instid0(VALU_DEP_1) | instskip(NEXT) | instid1(VALU_DEP_2)
	v_pk_add_f32 v[10:11], v[10:11], v[14:15] neg_lo:[0,1] neg_hi:[0,1]
	v_pk_add_f32 v[12:13], v[16:17], v[20:21] neg_lo:[0,1] neg_hi:[0,1]
	v_mov_b32_e32 v10, v6
	s_delay_alu instid0(VALU_DEP_2) | instskip(NEXT) | instid1(VALU_DEP_1)
	v_pk_add_f32 v[8:9], v[8:9], v[12:13] neg_lo:[0,1] neg_hi:[0,1]
	v_pk_add_f32 v[10:11], v[10:11], v[8:9]
	s_delay_alu instid0(VALU_DEP_1) | instskip(NEXT) | instid1(VALU_DEP_1)
	v_mov_b32_e32 v12, v11
	v_pk_add_f32 v[12:13], v[10:11], v[12:13]
	s_delay_alu instid0(VALU_DEP_1) | instskip(NEXT) | instid1(VALU_DEP_1)
	v_pk_add_f32 v[14:15], v[14:15], v[12:13]
	v_dual_mov_b32 v7, v17 :: v_dual_mov_b32 v11, v14
	s_delay_alu instid0(VALU_DEP_1) | instskip(NEXT) | instid1(VALU_DEP_1)
	v_pk_add_f32 v[16:17], v[10:11], v[6:7] neg_lo:[0,1] neg_hi:[0,1]
	v_dual_mov_b32 v9, v12 :: v_dual_sub_f32 v7, v10, v16
	s_delay_alu instid0(VALU_DEP_1) | instskip(NEXT) | instid1(VALU_DEP_2)
	v_pk_add_f32 v[8:9], v[8:9], v[16:17] neg_lo:[0,1] neg_hi:[0,1]
	v_sub_f32_e32 v6, v6, v7
	s_delay_alu instid0(VALU_DEP_1) | instskip(NEXT) | instid1(VALU_DEP_1)
	v_add_f32_e32 v6, v8, v6
	v_add_f32_e32 v6, v6, v9
	s_delay_alu instid0(VALU_DEP_1) | instskip(NEXT) | instid1(VALU_DEP_1)
	v_add_f32_e32 v7, v14, v6
	v_dual_sub_f32 v8, v7, v14 :: v_dual_mul_f32 v9, v5, v7
	s_delay_alu instid0(VALU_DEP_1) | instskip(SKIP_1) | instid1(VALU_DEP_2)
	v_dual_fma_f32 v7, v5, v7, -v9 :: v_dual_sub_f32 v6, v6, v8
	v_cmp_class_f32_e64 vcc_lo, v9, 0x204
	v_fmac_f32_e32 v7, v5, v6
	s_delay_alu instid0(VALU_DEP_1) | instskip(NEXT) | instid1(VALU_DEP_1)
	v_add_f32_e32 v6, v9, v7
	v_cndmask_b32_e32 v8, v6, v9, vcc_lo
	s_delay_alu instid0(VALU_DEP_1) | instskip(SKIP_2) | instid1(VALU_DEP_2)
	v_cmp_eq_f32_e32 vcc_lo, 0x42b17218, v8
	v_cndmask_b32_e64 v10, 0, 0x37000000, vcc_lo
	v_cmp_neq_f32_e64 vcc_lo, 0x7f800000, |v8|
	v_sub_f32_e32 v11, v8, v10
	v_trunc_f32_e32 v8, v5
	s_delay_alu instid0(VALU_DEP_2) | instskip(NEXT) | instid1(VALU_DEP_1)
	v_mul_f32_e32 v12, 0x3fb8aa3b, v11
	v_fma_f32 v13, 0x3fb8aa3b, v11, -v12
	v_rndne_f32_e32 v14, v12
	s_delay_alu instid0(VALU_DEP_1) | instskip(SKIP_1) | instid1(VALU_DEP_1)
	v_dual_fmamk_f32 v13, v11, 0x32a5705f, v13 :: v_dual_sub_f32 v12, v12, v14
	v_sub_f32_e32 v6, v6, v9
	v_dual_add_f32 v12, v12, v13 :: v_dual_sub_f32 v6, v7, v6
	s_delay_alu instid0(VALU_DEP_1) | instskip(SKIP_2) | instid1(VALU_DEP_3)
	v_exp_f32_e32 v9, v12
	v_nop
	v_cvt_i32_f32_e32 v12, v14
	v_cndmask_b32_e32 v6, 0, v6, vcc_lo
	v_cmp_ngt_f32_e32 vcc_lo, 0xc2ce8ed0, v11
	s_delay_alu instid0(TRANS32_DEP_1) | instid1(VALU_DEP_3)
	v_ldexp_f32 v7, v9, v12
	s_delay_alu instid0(VALU_DEP_3) | instskip(NEXT) | instid1(VALU_DEP_2)
	v_dual_mul_f32 v9, 0.5, v5 :: v_dual_add_f32 v6, v10, v6
	v_cndmask_b32_e32 v7, 0, v7, vcc_lo
	s_delay_alu instid0(VALU_DEP_2) | instskip(SKIP_1) | instid1(VALU_DEP_2)
	v_trunc_f32_e32 v12, v9
	v_cmp_nlt_f32_e32 vcc_lo, 0x42b17218, v11
	v_cmp_neq_f32_e64 s2, v12, v9
	s_delay_alu instid0(VALU_DEP_4) | instskip(SKIP_1) | instid1(VALU_DEP_2)
	v_cndmask_b32_e32 v7, 0x7f800000, v7, vcc_lo
	v_cmp_eq_f32_e32 vcc_lo, v8, v5
	v_cmp_class_f32_e64 s3, v7, 0x204
	s_and_b32 s2, vcc_lo, s2
	s_delay_alu instid0(SALU_CYCLE_1) | instskip(NEXT) | instid1(VALU_DEP_1)
	v_dual_fma_f32 v6, v7, v6, v7 :: v_dual_cndmask_b32 v8, 1.0, v4, s2
	v_cndmask_b32_e64 v6, v6, v7, s3
	v_cmp_gt_f32_e64 s3, 0, v5
	s_delay_alu instid0(VALU_DEP_2)
	v_bfi_b32 v5, 0x7fffffff, v6, v8
	s_xor_b32 s3, s3, s4
	v_cndmask_b32_e64 v8, 0, v4, s2
	v_cndmask_b32_e64 v6, 0x7f800000, 0, s3
	v_cmp_class_f32_e64 s2, v4, 0x204
	v_cndmask_b32_e32 v7, 0x7fc00000, v5, vcc_lo
	v_cmp_gt_f32_e32 vcc_lo, 0, v4
	s_delay_alu instid0(VALU_DEP_4) | instskip(NEXT) | instid1(VALU_DEP_3)
	v_bfi_b32 v6, 0x7fffffff, v6, v8
	v_cndmask_b32_e32 v5, v5, v7, vcc_lo
	s_or_b32 vcc_lo, s4, s2
	s_delay_alu instid0(VALU_DEP_1) | instskip(SKIP_3) | instid1(VALU_DEP_3)
	v_cndmask_b32_e32 v5, v5, v6, vcc_lo
	v_cmp_o_f32_e32 vcc_lo, v4, v4
	s_wait_loadcnt 0x0
	v_cvt_f32_i32_e32 v6, v22
	v_cndmask_b32_e32 v4, 0x7fc00000, v5, vcc_lo
	s_delay_alu instid0(VALU_DEP_1) | instskip(SKIP_1) | instid1(VALU_DEP_1)
	v_mul_f32_e32 v7, v4, v6
	s_or_b32 exec_lo, exec_lo, s6
	v_mul_f32_e32 v4, s12, v7
	s_cmp_eq_f32 s13, 0
	s_cbranch_scc0 .LBB30_10
.LBB30_6:
	v_mov_b32_e32 v5, s14
	s_branch .LBB30_11
.LBB30_7:
	s_mov_b32 s3, 0
                                        ; implicit-def: $vgpr4
                                        ; implicit-def: $vgpr6
.LBB30_8:
	s_delay_alu instid0(SALU_CYCLE_1)
	s_or_not1_b32 s20, s3, exec_lo
	s_or_b32 exec_lo, exec_lo, s4
	v_mov_b32_e32 v7, 0
	s_and_saveexec_b32 s6, s20
	s_cbranch_execnz .LBB30_5
.LBB30_9:
	s_or_b32 exec_lo, exec_lo, s6
	s_wait_kmcnt 0x0
	v_mul_f32_e32 v4, s12, v7
	s_cmp_eq_f32 s13, 0
	s_cbranch_scc1 .LBB30_6
.LBB30_10:
	v_div_scale_f32 v8, null, s12, s12, 1.0
	v_cvt_f32_i32_e32 v5, v0
	s_sub_f32 s2, s18, s15
	s_delay_alu instid0(VALU_DEP_2)
	v_rcp_f32_e32 v10, v8
	v_nop
	v_xor_b32_e32 v8, 0x80000000, v8
	s_max_num_f32 s3, s2, 0x3a83126f
	s_delay_alu instid0(TRANS32_DEP_1) | instid1(VALU_DEP_1)
	v_fma_f32 v12, v8, v10, 1.0
	s_delay_alu instid0(VALU_DEP_1)
	v_dual_subrev_f32 v5, s15, v5 :: v_dual_fmac_f32 v10, v12, v10
	s_delay_alu instid0(VALU_DEP_1) | instid1(SALU_CYCLE_1)
	v_div_scale_f32 v6, null, s3, s3, v5
	v_div_scale_f32 v13, vcc_lo, v5, s3, v5
	s_delay_alu instid0(VALU_DEP_2) | instskip(SKIP_1) | instid1(TRANS32_DEP_1)
	v_rcp_f32_e32 v9, v6
	v_nop
	v_fma_f32 v11, -v6, v9, 1.0
	s_delay_alu instid0(VALU_DEP_1) | instskip(SKIP_1) | instid1(VALU_DEP_1)
	v_fmac_f32_e32 v9, v11, v9
	v_div_scale_f32 v11, s2, 1.0, s12, 1.0
	v_dual_mul_f32 v14, v11, v10 :: v_dual_mul_f32 v12, v13, v9
	s_delay_alu instid0(VALU_DEP_1) | instskip(NEXT) | instid1(VALU_DEP_1)
	v_dual_fma_f32 v16, v8, v14, v11 :: v_dual_fma_f32 v15, -v6, v12, v13
	v_dual_fmac_f32 v14, v16, v10 :: v_dual_fmac_f32 v12, v15, v9
	s_delay_alu instid0(VALU_DEP_1) | instskip(NEXT) | instid1(VALU_DEP_1)
	v_dual_fmac_f32 v11, v8, v14 :: v_dual_fma_f32 v6, -v6, v12, v13
	v_div_fmas_f32 v6, v6, v9, v12
	s_mov_b32 vcc_lo, s2
	s_delay_alu instid0(VALU_DEP_2) | instskip(NEXT) | instid1(VALU_DEP_2)
	v_div_fmas_f32 v8, v11, v10, v14
	v_div_fixup_f32 v5, v6, s3, v5 clamp
	s_delay_alu instid0(VALU_DEP_2) | instskip(NEXT) | instid1(VALU_DEP_2)
	v_div_fixup_f32 v8, v8, s12, 1.0
	v_sub_f32_e32 v5, 1.0, v5
	s_delay_alu instid0(VALU_DEP_2) | instskip(SKIP_2) | instid1(SALU_CYCLE_1)
	v_readfirstlane_b32 s2, v8
	s_cmp_lt_f32 s2, 0x800000
	s_cselect_b32 s2, 0x4f800000, 1.0
	v_mul_f32_e32 v8, s2, v8
	s_cselect_b32 s2, 0x41b17218, 0
	s_delay_alu instid0(VALU_DEP_1) | instskip(SKIP_1) | instid1(TRANS32_DEP_1)
	v_log_f32_e32 v8, v8
	v_nop
	v_mul_f32_e32 v9, 0x3f317217, v8
	v_and_b32_e32 v6, 0x7fffffff, v8
	s_delay_alu instid0(VALU_DEP_2) | instskip(NEXT) | instid1(VALU_DEP_2)
	v_xor_b32_e32 v9, 0x80000000, v9
	v_cmp_gt_f32_e32 vcc_lo, 0x7f800000, v6
	s_delay_alu instid0(VALU_DEP_2) | instskip(NEXT) | instid1(VALU_DEP_1)
	v_fmac_f32_e32 v9, 0x3f317217, v8
	v_fmamk_f32 v9, v8, 0x3377d1cf, v9
	s_delay_alu instid0(VALU_DEP_1) | instskip(NEXT) | instid1(VALU_DEP_1)
	v_fmac_f32_e32 v9, 0x3f317217, v8
	v_dual_cndmask_b32 v6, v8, v9 :: v_dual_mov_b32 v9, 1.0
	v_fma_f32 v8, -s13, v5, 1.0
	s_delay_alu instid0(VALU_DEP_2) | instskip(NEXT) | instid1(VALU_DEP_2)
	v_dual_subrev_f32 v6, s2, v6 :: v_dual_mul_f32 v5, s13, v5
	v_mul_f32_e32 v4, v8, v4
	s_delay_alu instid0(VALU_DEP_2) | instskip(NEXT) | instid1(VALU_DEP_1)
	v_fmamk_f32 v6, v6, 0x3dcccccd, v9
	v_dual_fmac_f32 v4, v5, v7 :: v_dual_mul_f32 v5, s14, v6
.LBB30_11:
	s_delay_alu instid0(VALU_DEP_1) | instskip(SKIP_1) | instid1(VALU_DEP_2)
	v_and_b32_e32 v6, 0x7fffffff, v4
	v_cmp_ngt_f32_e64 s4, 0x48000000, |v4|
                                        ; implicit-def: $vgpr8
                                        ; implicit-def: $vgpr7
	v_lshrrev_b32_e32 v9, 23, v6
	s_and_saveexec_b32 s2, s4
	s_delay_alu instid0(SALU_CYCLE_1)
	s_xor_b32 s6, exec_lo, s2
	s_cbranch_execz .LBB30_13
; %bb.12:
	s_mov_b32 s2, 0x7fffff
	v_mov_b32_e32 v11, 0
	v_and_or_b32 v10, v6, s2, 0x800000
	s_mov_b64 s[2:3], 0xfe5163ab
	v_add_nc_u32_e32 v7, 0xffffff88, v9
	s_delay_alu instid0(VALU_DEP_2) | instskip(NEXT) | instid1(VALU_DEP_2)
	v_mul_u64_e32 v[12:13], s[2:3], v[10:11]
	v_cmp_lt_u32_e32 vcc_lo, 63, v7
	v_cndmask_b32_e64 v8, 0, 0xffffffc0, vcc_lo
	s_delay_alu instid0(VALU_DEP_3) | instskip(SKIP_2) | instid1(VALU_DEP_3)
	v_dual_mov_b32 v14, v13 :: v_dual_mov_b32 v15, v11
	v_dual_mov_b32 v17, v11 :: v_dual_mov_b32 v19, v11
	v_dual_mov_b32 v21, v11 :: v_dual_mov_b32 v23, v11
	v_mad_nc_u64_u32 v[14:15], 0x3c439041, v10, v[14:15]
	v_dual_add_nc_u32 v7, v8, v7 :: v_dual_mov_b32 v25, v11
	s_delay_alu instid0(VALU_DEP_1) | instskip(NEXT) | instid1(VALU_DEP_3)
	v_cmp_lt_u32_e64 s2, 31, v7
	v_mov_b32_e32 v16, v15
	s_delay_alu instid0(VALU_DEP_2) | instskip(NEXT) | instid1(VALU_DEP_2)
	v_cndmask_b32_e64 v8, 0, 0xffffffe0, s2
	v_mad_nc_u64_u32 v[16:17], 0xdb629599, v10, v[16:17]
	s_delay_alu instid0(VALU_DEP_2) | instskip(NEXT) | instid1(VALU_DEP_1)
	v_add_nc_u32_e32 v7, v8, v7
	v_cmp_lt_u32_e64 s3, 31, v7
	s_delay_alu instid0(VALU_DEP_3) | instskip(NEXT) | instid1(VALU_DEP_2)
	v_mov_b32_e32 v18, v17
	v_cndmask_b32_e64 v8, 0, 0xffffffe0, s3
	v_cndmask_b32_e32 v12, v16, v12, vcc_lo
	s_delay_alu instid0(VALU_DEP_3) | instskip(NEXT) | instid1(VALU_DEP_1)
	v_mad_nc_u64_u32 v[18:19], 0xf534ddc0, v10, v[18:19]
	v_dual_cndmask_b32 v8, v18, v14 :: v_dual_add_nc_u32 v7, v8, v7
	s_delay_alu instid0(VALU_DEP_2) | instskip(NEXT) | instid1(VALU_DEP_1)
	v_mov_b32_e32 v20, v19
	v_mad_nc_u64_u32 v[20:21], 0xfc2757d1, v10, v[20:21]
	s_delay_alu instid0(VALU_DEP_1) | instskip(NEXT) | instid1(VALU_DEP_1)
	v_dual_mov_b32 v22, v21 :: v_dual_cndmask_b32 v15, v20, v16
	v_mad_nc_u64_u32 v[22:23], 0x4e441529, v10, v[22:23]
	s_delay_alu instid0(VALU_DEP_1) | instskip(NEXT) | instid1(VALU_DEP_1)
	v_dual_mov_b32 v24, v23 :: v_dual_cndmask_b32 v13, v22, v18
	v_mad_nc_u64_u32 v[10:11], 0xa2f9836e, v10, v[24:25]
	s_delay_alu instid0(VALU_DEP_1) | instskip(SKIP_1) | instid1(VALU_DEP_2)
	v_dual_cndmask_b32 v10, v10, v20 :: v_dual_cndmask_b32 v11, v11, v22
	v_cmp_eq_u32_e32 vcc_lo, 0, v7
	v_dual_cndmask_b32 v14, v10, v13, s2 :: v_dual_cndmask_b32 v10, v11, v10, s2
	v_dual_cndmask_b32 v11, v13, v15, s2 :: v_dual_cndmask_b32 v15, v15, v8, s2
	v_dual_sub_nc_u32 v13, 32, v7 :: v_dual_cndmask_b32 v8, v8, v12, s2
	s_delay_alu instid0(VALU_DEP_3) | instskip(NEXT) | instid1(VALU_DEP_2)
	v_cndmask_b32_e64 v10, v10, v14, s3
	v_dual_cndmask_b32 v14, v14, v11, s3 :: v_dual_cndmask_b32 v8, v15, v8, s3
	s_delay_alu instid0(VALU_DEP_1) | instskip(NEXT) | instid1(VALU_DEP_1)
	v_alignbit_b32 v17, v10, v14, v13
	v_dual_cndmask_b32 v11, v11, v15, s3 :: v_dual_cndmask_b32 v7, v17, v10, vcc_lo
	s_delay_alu instid0(VALU_DEP_1) | instskip(NEXT) | instid1(VALU_DEP_4)
	v_alignbit_b32 v16, v14, v11, v13
	v_alignbit_b32 v13, v11, v8, v13
	s_delay_alu instid0(VALU_DEP_3) | instskip(NEXT) | instid1(VALU_DEP_2)
	v_bfe_u32 v12, v7, 29, 1
	v_dual_cndmask_b32 v10, v16, v14 :: v_dual_cndmask_b32 v11, v13, v11
	s_delay_alu instid0(VALU_DEP_2) | instskip(NEXT) | instid1(VALU_DEP_2)
	v_sub_nc_u32_e32 v15, 0, v12
	v_alignbit_b32 v14, v7, v10, 30
	s_delay_alu instid0(VALU_DEP_3) | instskip(SKIP_1) | instid1(VALU_DEP_3)
	v_alignbit_b32 v10, v10, v11, 30
	v_alignbit_b32 v8, v11, v8, 30
	v_xor_b32_e32 v14, v14, v15
	s_delay_alu instid0(VALU_DEP_2) | instskip(NEXT) | instid1(VALU_DEP_2)
	v_xor_b32_e32 v8, v8, v15
	v_clz_i32_u32_e32 v13, v14
	s_delay_alu instid0(VALU_DEP_1) | instskip(NEXT) | instid1(VALU_DEP_1)
	v_min_u32_e32 v13, 32, v13
	v_dual_lshlrev_b32 v16, 23, v13 :: v_dual_bitop2_b32 v10, v10, v15 bitop3:0x14
	v_sub_nc_u32_e32 v11, 31, v13
	s_delay_alu instid0(VALU_DEP_1) | instskip(SKIP_2) | instid1(VALU_DEP_1)
	v_alignbit_b32 v14, v14, v10, v11
	v_lshrrev_b32_e32 v15, 29, v7
	v_alignbit_b32 v8, v10, v8, v11
	v_alignbit_b32 v11, v14, v8, 9
	s_delay_alu instid0(VALU_DEP_3) | instskip(NEXT) | instid1(VALU_DEP_2)
	v_dual_lshrrev_b32 v14, 9, v14 :: v_dual_lshlrev_b32 v10, 31, v15
	v_clz_i32_u32_e32 v17, v11
	s_delay_alu instid0(VALU_DEP_2) | instskip(SKIP_1) | instid1(VALU_DEP_2)
	v_or_b32_e32 v15, 0.5, v10
	v_or_b32_e32 v10, 0x33000000, v10
	v_sub_nc_u32_e32 v15, v15, v16
	s_delay_alu instid0(VALU_DEP_4) | instskip(NEXT) | instid1(VALU_DEP_1)
	v_min_u32_e32 v16, 32, v17
	v_add_lshl_u32 v13, v16, v13, 23
	s_delay_alu instid0(VALU_DEP_1) | instskip(NEXT) | instid1(VALU_DEP_4)
	v_sub_nc_u32_e32 v10, v10, v13
	v_or_b32_e32 v14, v14, v15
	v_not_b32_e32 v15, v16
	s_delay_alu instid0(VALU_DEP_1) | instskip(NEXT) | instid1(VALU_DEP_1)
	v_alignbit_b32 v8, v11, v8, v15
	v_dual_mul_f32 v17, 0x3fc90fda, v14 :: v_dual_lshrrev_b32 v8, 9, v8
	s_delay_alu instid0(VALU_DEP_1) | instskip(NEXT) | instid1(VALU_DEP_2)
	v_or_b32_e32 v8, v10, v8
	v_fma_f32 v11, 0x3fc90fda, v14, -v17
	s_delay_alu instid0(VALU_DEP_1) | instskip(NEXT) | instid1(VALU_DEP_1)
	v_fmamk_f32 v11, v14, 0x33a22168, v11
	v_dual_fmac_f32 v11, 0x3fc90fda, v8 :: v_dual_lshrrev_b32 v8, 30, v7
	s_delay_alu instid0(VALU_DEP_1)
	v_dual_add_f32 v7, v17, v11 :: v_dual_add_nc_u32 v8, v12, v8
	s_or_saveexec_b32 s2, s6
	v_mul_f32_e64 v12, 0x3f22f983, |v4|
	s_xor_b32 exec_lo, exec_lo, s2
	s_branch .LBB30_14
.LBB30_13:
	s_or_saveexec_b32 s2, s6
	v_mul_f32_e64 v12, 0x3f22f983, |v4|
	s_xor_b32 exec_lo, exec_lo, s2
.LBB30_14:
	s_delay_alu instid0(VALU_DEP_1) | instskip(NEXT) | instid1(VALU_DEP_1)
	v_rndne_f32_e32 v8, v12
	v_fma_f32 v7, 0xbfc90fda, v8, |v4|
	s_delay_alu instid0(VALU_DEP_1) | instskip(NEXT) | instid1(VALU_DEP_1)
	v_fmamk_f32 v7, v8, 0xb3a22168, v7
	v_fmamk_f32 v7, v8, 0xa7c234c4, v7
	v_cvt_i32_f32_e32 v8, v8
; %bb.15:
	s_or_b32 exec_lo, exec_lo, s2
                                        ; implicit-def: $vgpr11
                                        ; implicit-def: $vgpr10
	s_and_saveexec_b32 s2, s4
	s_delay_alu instid0(SALU_CYCLE_1)
	s_xor_b32 s4, exec_lo, s2
	s_cbranch_execz .LBB30_17
; %bb.16:
	s_mov_b32 s2, 0x7fffff
	v_mov_b32_e32 v11, 0
	v_and_or_b32 v10, v6, s2, 0x800000
	s_mov_b64 s[2:3], 0xfe5163ab
	v_add_nc_u32_e32 v9, 0xffffff88, v9
	s_delay_alu instid0(VALU_DEP_2) | instskip(NEXT) | instid1(VALU_DEP_2)
	v_mul_u64_e32 v[12:13], s[2:3], v[10:11]
	v_cmp_lt_u32_e32 vcc_lo, 63, v9
	s_delay_alu instid0(VALU_DEP_2) | instskip(SKIP_2) | instid1(VALU_DEP_3)
	v_dual_mov_b32 v14, v13 :: v_dual_mov_b32 v15, v11
	v_dual_mov_b32 v17, v11 :: v_dual_mov_b32 v19, v11
	;; [unrolled: 1-line block ×3, first 2 shown]
	v_mad_nc_u64_u32 v[14:15], 0x3c439041, v10, v[14:15]
	v_cndmask_b32_e64 v13, 0, 0xffffffc0, vcc_lo
	s_delay_alu instid0(VALU_DEP_1) | instskip(NEXT) | instid1(VALU_DEP_3)
	v_dual_mov_b32 v25, v11 :: v_dual_add_nc_u32 v9, v13, v9
	v_mov_b32_e32 v16, v15
	s_delay_alu instid0(VALU_DEP_2) | instskip(NEXT) | instid1(VALU_DEP_2)
	v_cmp_lt_u32_e64 s2, 31, v9
	v_mad_nc_u64_u32 v[16:17], 0xdb629599, v10, v[16:17]
	s_delay_alu instid0(VALU_DEP_2) | instskip(NEXT) | instid1(VALU_DEP_1)
	v_cndmask_b32_e64 v13, 0, 0xffffffe0, s2
	v_add_nc_u32_e32 v9, v13, v9
	s_delay_alu instid0(VALU_DEP_3) | instskip(NEXT) | instid1(VALU_DEP_2)
	v_mov_b32_e32 v18, v17
	v_cmp_lt_u32_e64 s3, 31, v9
	v_cndmask_b32_e32 v12, v16, v12, vcc_lo
	s_delay_alu instid0(VALU_DEP_3) | instskip(NEXT) | instid1(VALU_DEP_3)
	v_mad_nc_u64_u32 v[18:19], 0xf534ddc0, v10, v[18:19]
	v_cndmask_b32_e64 v13, 0, 0xffffffe0, s3
	s_delay_alu instid0(VALU_DEP_1) | instskip(NEXT) | instid1(VALU_DEP_3)
	v_dual_add_nc_u32 v9, v13, v9 :: v_dual_cndmask_b32 v13, v18, v14, vcc_lo
	v_mov_b32_e32 v20, v19
	s_delay_alu instid0(VALU_DEP_1) | instskip(NEXT) | instid1(VALU_DEP_1)
	v_mad_nc_u64_u32 v[20:21], 0xfc2757d1, v10, v[20:21]
	v_dual_mov_b32 v22, v21 :: v_dual_cndmask_b32 v17, v20, v16
	s_delay_alu instid0(VALU_DEP_1) | instskip(NEXT) | instid1(VALU_DEP_1)
	v_mad_nc_u64_u32 v[22:23], 0x4e441529, v10, v[22:23]
	v_dual_mov_b32 v24, v23 :: v_dual_cndmask_b32 v15, v22, v18
	s_delay_alu instid0(VALU_DEP_1) | instskip(NEXT) | instid1(VALU_DEP_1)
	v_mad_nc_u64_u32 v[10:11], 0xa2f9836e, v10, v[24:25]
	v_dual_cndmask_b32 v10, v10, v20 :: v_dual_cndmask_b32 v11, v11, v22
	v_cmp_eq_u32_e32 vcc_lo, 0, v9
	s_delay_alu instid0(VALU_DEP_2) | instskip(SKIP_2) | instid1(VALU_DEP_3)
	v_dual_cndmask_b32 v14, v10, v15, s2 :: v_dual_cndmask_b32 v10, v11, v10, s2
	v_cndmask_b32_e64 v11, v15, v17, s2
	v_sub_nc_u32_e32 v15, 32, v9
	v_dual_cndmask_b32 v17, v17, v13, s2 :: v_dual_cndmask_b32 v10, v10, v14, s3
	s_delay_alu instid0(VALU_DEP_3) | instskip(NEXT) | instid1(VALU_DEP_1)
	v_cndmask_b32_e64 v14, v14, v11, s3
	v_alignbit_b32 v18, v10, v14, v15
	s_delay_alu instid0(VALU_DEP_1) | instskip(NEXT) | instid1(VALU_DEP_1)
	v_dual_cndmask_b32 v11, v11, v17, s3 :: v_dual_cndmask_b32 v9, v18, v10, vcc_lo
	v_alignbit_b32 v16, v14, v11, v15
	v_cndmask_b32_e64 v10, v13, v12, s2
	s_delay_alu instid0(VALU_DEP_3) | instskip(NEXT) | instid1(VALU_DEP_3)
	v_bfe_u32 v13, v9, 29, 1
	v_cndmask_b32_e32 v12, v16, v14, vcc_lo
	s_delay_alu instid0(VALU_DEP_2) | instskip(NEXT) | instid1(VALU_DEP_2)
	v_dual_cndmask_b32 v10, v17, v10, s3 :: v_dual_sub_nc_u32 v16, 0, v13
	v_alignbit_b32 v14, v9, v12, 30
	s_delay_alu instid0(VALU_DEP_2) | instskip(NEXT) | instid1(VALU_DEP_1)
	v_alignbit_b32 v15, v11, v10, v15
	v_dual_cndmask_b32 v11, v15, v11, vcc_lo :: v_dual_bitop2_b32 v14, v14, v16 bitop3:0x14
	s_delay_alu instid0(VALU_DEP_1) | instskip(NEXT) | instid1(VALU_DEP_2)
	v_clz_i32_u32_e32 v15, v14
	v_alignbit_b32 v12, v12, v11, 30
	v_alignbit_b32 v10, v11, v10, 30
	s_delay_alu instid0(VALU_DEP_3) | instskip(NEXT) | instid1(VALU_DEP_3)
	v_min_u32_e32 v15, 32, v15
	v_xor_b32_e32 v11, v12, v16
	s_delay_alu instid0(VALU_DEP_3) | instskip(NEXT) | instid1(VALU_DEP_3)
	v_dual_lshrrev_b32 v16, 29, v9 :: v_dual_bitop2_b32 v10, v10, v16 bitop3:0x14
	v_dual_lshrrev_b32 v9, 30, v9 :: v_dual_sub_nc_u32 v12, 31, v15
	v_lshlrev_b32_e32 v17, 23, v15
	s_delay_alu instid0(VALU_DEP_2) | instskip(NEXT) | instid1(VALU_DEP_4)
	v_alignbit_b32 v14, v14, v11, v12
	v_alignbit_b32 v10, v11, v10, v12
	v_lshlrev_b32_e32 v11, 31, v16
	s_delay_alu instid0(VALU_DEP_2) | instskip(NEXT) | instid1(VALU_DEP_2)
	v_alignbit_b32 v12, v14, v10, 9
	v_dual_lshrrev_b32 v14, 9, v14 :: v_dual_bitop2_b32 v16, 0.5, v11 bitop3:0x54
	v_or_b32_e32 v11, 0x33000000, v11
	s_delay_alu instid0(VALU_DEP_3) | instskip(NEXT) | instid1(VALU_DEP_3)
	v_clz_i32_u32_e32 v18, v12
	v_sub_nc_u32_e32 v16, v16, v17
	s_delay_alu instid0(VALU_DEP_2) | instskip(NEXT) | instid1(VALU_DEP_1)
	v_min_u32_e32 v17, 32, v18
	v_add_lshl_u32 v15, v17, v15, 23
	s_delay_alu instid0(VALU_DEP_1) | instskip(SKIP_1) | instid1(VALU_DEP_1)
	v_dual_sub_nc_u32 v11, v11, v15 :: v_dual_bitop2_b32 v14, v14, v16 bitop3:0x54
	v_not_b32_e32 v16, v17
	v_alignbit_b32 v10, v12, v10, v16
	s_delay_alu instid0(VALU_DEP_1) | instskip(NEXT) | instid1(VALU_DEP_4)
	v_lshrrev_b32_e32 v10, 9, v10
	v_mul_f32_e32 v18, 0x3fc90fda, v14
	s_delay_alu instid0(VALU_DEP_2) | instskip(NEXT) | instid1(VALU_DEP_2)
	v_or_b32_e32 v10, v11, v10
	v_fma_f32 v12, 0x3fc90fda, v14, -v18
	s_delay_alu instid0(VALU_DEP_1) | instskip(NEXT) | instid1(VALU_DEP_1)
	v_dual_fmamk_f32 v12, v14, 0x33a22168, v12 :: v_dual_add_nc_u32 v11, v13, v9
	v_fmac_f32_e32 v12, 0x3fc90fda, v10
	s_delay_alu instid0(VALU_DEP_1)
	v_add_f32_e32 v10, v18, v12
                                        ; implicit-def: $vgpr12
	s_and_not1_saveexec_b32 s2, s4
	s_cbranch_execnz .LBB30_18
	s_branch .LBB30_19
.LBB30_17:
	s_and_not1_saveexec_b32 s2, s4
.LBB30_18:
	v_rndne_f32_e32 v9, v12
	s_delay_alu instid0(VALU_DEP_1) | instskip(SKIP_1) | instid1(VALU_DEP_2)
	v_fma_f32 v10, 0xbfc90fda, v9, |v4|
	v_cvt_i32_f32_e32 v11, v9
	v_fmamk_f32 v10, v9, 0xb3a22168, v10
	s_delay_alu instid0(VALU_DEP_1)
	v_fmamk_f32 v10, v9, 0xa7c234c4, v10
.LBB30_19:
	s_or_b32 exec_lo, exec_lo, s2
	v_mad_u32 v9, v1, s9, v0
	v_mul_lo_u32 v12, v2, s5
	s_load_b128 s[0:3], s[0:1], 0x0
	s_ashr_i32 s5, s17, 31
	s_mov_b32 s4, s17
	v_mad_u32 v0, v1, s16, v0
	s_lshl_b64 s[4:5], s[4:5], 2
	v_dual_lshlrev_b32 v11, 30, v11 :: v_dual_bitop2_b32 v1, 1, v11 bitop3:0x40
	s_delay_alu instid0(VALU_DEP_4) | instskip(NEXT) | instid1(VALU_DEP_4)
	v_mad_u32 v9, v2, s8, v9
	v_sub_nc_u32_e32 v3, v3, v12
	s_delay_alu instid0(VALU_DEP_3) | instskip(SKIP_1) | instid1(VALU_DEP_3)
	v_and_b32_e32 v11, 0x80000000, v11
	v_mad_u32 v0, v2, s11, v0
	v_mad_u32 v12, v3, s7, v9
	s_delay_alu instid0(VALU_DEP_1) | instskip(NEXT) | instid1(VALU_DEP_3)
	v_ashrrev_i32_e32 v13, 31, v12
	v_mad_u32 v0, v3, s10, v0
	s_wait_kmcnt 0x0
	s_delay_alu instid0(VALU_DEP_2) | instskip(NEXT) | instid1(VALU_DEP_1)
	v_lshl_add_u64 v[14:15], v[12:13], 2, s[0:1]
	v_add_nc_u64_e32 v[14:15], s[4:5], v[14:15]
	s_clause 0x1
	global_load_b32 v9, v[14:15], off
	global_load_b32 v13, v12, s[0:1] scale_offset
	s_wait_xcnt 0x0
	v_dual_mul_f32 v12, v7, v7 :: v_dual_bitop2_b32 v14, 1, v8 bitop3:0x40
	s_mov_b32 s0, 0xb94c1982
	v_dual_mul_f32 v15, v10, v10 :: v_dual_lshlrev_b32 v8, 30, v8
	s_delay_alu instid0(VALU_DEP_2) | instskip(SKIP_2) | instid1(VALU_DEP_2)
	v_fmaak_f32 v16, s0, v12, 0x3c0881c4
	s_mov_b32 s1, 0x37d75334
	v_cmp_eq_u32_e32 vcc_lo, 0, v14
	v_fmaak_f32 v16, v12, v16, 0xbe2aaa9d
	s_delay_alu instid0(VALU_DEP_1) | instskip(SKIP_1) | instid1(VALU_DEP_2)
	v_dual_fmaak_f32 v19, s1, v15, 0xbab64f3b :: v_dual_mul_f32 v16, v12, v16
	v_fmaak_f32 v18, s0, v15, 0x3c0881c4
	v_fmaak_f32 v19, v15, v19, 0x3d2aabf7
	s_delay_alu instid0(VALU_DEP_3) | instskip(NEXT) | instid1(VALU_DEP_3)
	v_fmac_f32_e32 v7, v7, v16
	v_fmaak_f32 v18, v15, v18, 0xbe2aaa9d
	v_fmaak_f32 v17, s1, v12, 0xbab64f3b
	s_delay_alu instid0(VALU_DEP_2) | instskip(NEXT) | instid1(VALU_DEP_1)
	v_dual_fmaak_f32 v19, v15, v19, 0xbf000004 :: v_dual_mul_f32 v18, v15, v18
	v_dual_fmaak_f32 v17, v12, v17, 0x3d2aabf7 :: v_dual_fmac_f32 v10, v10, v18
	s_delay_alu instid0(VALU_DEP_1) | instskip(NEXT) | instid1(VALU_DEP_1)
	v_fmaak_f32 v17, v12, v17, 0xbf000004
	v_fma_f32 v2, v12, v17, 1.0
	v_xor_b32_e32 v6, v6, v4
	v_fma_f32 v12, v15, v19, 1.0
	s_delay_alu instid0(VALU_DEP_3) | instskip(SKIP_1) | instid1(VALU_DEP_2)
	v_cndmask_b32_e64 v2, -v7, v2, vcc_lo
	v_cmp_eq_u32_e32 vcc_lo, 0, v1
	v_bitop3_b32 v2, v8, v2, 0x80000000 bitop3:0x6c
	s_delay_alu instid0(VALU_DEP_4) | instskip(SKIP_1) | instid1(VALU_DEP_2)
	v_cndmask_b32_e32 v1, v12, v10, vcc_lo
	v_cmp_class_f32_e64 vcc_lo, v4, 0x1f8
	v_xor3_b32 v1, v6, v11, v1
	s_delay_alu instid0(VALU_DEP_4) | instskip(NEXT) | instid1(VALU_DEP_2)
	v_cndmask_b32_e32 v4, 0x7fc00000, v2, vcc_lo
	v_dual_cndmask_b32 v2, 0x7fc00000, v1 :: v_dual_ashrrev_i32 v1, 31, v0
	s_delay_alu instid0(VALU_DEP_1) | instskip(NEXT) | instid1(VALU_DEP_2)
	v_mul_f32_e64 v6, v2, -v5
	v_lshl_add_u64 v[2:3], v[0:1], 2, s[2:3]
	s_delay_alu instid0(VALU_DEP_4) | instskip(NEXT) | instid1(VALU_DEP_2)
	v_mul_f32_e32 v1, v5, v4
	v_add_nc_u64_e32 v[2:3], s[4:5], v[2:3]
	s_wait_loadcnt 0x1
	v_mul_f32_e32 v4, v9, v6
	s_wait_loadcnt 0x0
	v_mul_f32_e32 v5, v13, v6
	s_delay_alu instid0(VALU_DEP_2) | instskip(NEXT) | instid1(VALU_DEP_2)
	v_fma_f32 v4, v1, v13, -v4
	v_fmac_f32_e32 v5, v1, v9
	s_clause 0x1
	global_store_b32 v0, v4, s[2:3] scale_offset
	global_store_b32 v[2:3], v5, off
.LBB30_20:
	s_endpgm
	.section	.rodata,"a",@progbits
	.p2align	6, 0x0
	.amdhsa_kernel _ZL11rope_visionILb0ELb0EfEvPKT1_PS0_iiiiiiiiiiPKifff14rope_corr_dimsfPKf14mrope_sections
		.amdhsa_group_segment_fixed_size 0
		.amdhsa_private_segment_fixed_size 0
		.amdhsa_kernarg_size 368
		.amdhsa_user_sgpr_count 2
		.amdhsa_user_sgpr_dispatch_ptr 0
		.amdhsa_user_sgpr_queue_ptr 0
		.amdhsa_user_sgpr_kernarg_segment_ptr 1
		.amdhsa_user_sgpr_dispatch_id 0
		.amdhsa_user_sgpr_kernarg_preload_length 0
		.amdhsa_user_sgpr_kernarg_preload_offset 0
		.amdhsa_user_sgpr_private_segment_size 0
		.amdhsa_wavefront_size32 1
		.amdhsa_uses_dynamic_stack 0
		.amdhsa_enable_private_segment 0
		.amdhsa_system_sgpr_workgroup_id_x 1
		.amdhsa_system_sgpr_workgroup_id_y 1
		.amdhsa_system_sgpr_workgroup_id_z 0
		.amdhsa_system_sgpr_workgroup_info 0
		.amdhsa_system_vgpr_workitem_id 1
		.amdhsa_next_free_vgpr 26
		.amdhsa_next_free_sgpr 21
		.amdhsa_named_barrier_count 0
		.amdhsa_reserve_vcc 1
		.amdhsa_float_round_mode_32 0
		.amdhsa_float_round_mode_16_64 0
		.amdhsa_float_denorm_mode_32 3
		.amdhsa_float_denorm_mode_16_64 3
		.amdhsa_fp16_overflow 0
		.amdhsa_memory_ordered 1
		.amdhsa_forward_progress 1
		.amdhsa_inst_pref_size 37
		.amdhsa_round_robin_scheduling 0
		.amdhsa_exception_fp_ieee_invalid_op 0
		.amdhsa_exception_fp_denorm_src 0
		.amdhsa_exception_fp_ieee_div_zero 0
		.amdhsa_exception_fp_ieee_overflow 0
		.amdhsa_exception_fp_ieee_underflow 0
		.amdhsa_exception_fp_ieee_inexact 0
		.amdhsa_exception_int_div_zero 0
	.end_amdhsa_kernel
	.section	.text._ZL11rope_visionILb0ELb0EfEvPKT1_PS0_iiiiiiiiiiPKifff14rope_corr_dimsfPKf14mrope_sections,"axG",@progbits,_ZL11rope_visionILb0ELb0EfEvPKT1_PS0_iiiiiiiiiiPKifff14rope_corr_dimsfPKf14mrope_sections,comdat
.Lfunc_end30:
	.size	_ZL11rope_visionILb0ELb0EfEvPKT1_PS0_iiiiiiiiiiPKifff14rope_corr_dimsfPKf14mrope_sections, .Lfunc_end30-_ZL11rope_visionILb0ELb0EfEvPKT1_PS0_iiiiiiiiiiPKifff14rope_corr_dimsfPKf14mrope_sections
                                        ; -- End function
	.set _ZL11rope_visionILb0ELb0EfEvPKT1_PS0_iiiiiiiiiiPKifff14rope_corr_dimsfPKf14mrope_sections.num_vgpr, 26
	.set _ZL11rope_visionILb0ELb0EfEvPKT1_PS0_iiiiiiiiiiPKifff14rope_corr_dimsfPKf14mrope_sections.num_agpr, 0
	.set _ZL11rope_visionILb0ELb0EfEvPKT1_PS0_iiiiiiiiiiPKifff14rope_corr_dimsfPKf14mrope_sections.numbered_sgpr, 21
	.set _ZL11rope_visionILb0ELb0EfEvPKT1_PS0_iiiiiiiiiiPKifff14rope_corr_dimsfPKf14mrope_sections.num_named_barrier, 0
	.set _ZL11rope_visionILb0ELb0EfEvPKT1_PS0_iiiiiiiiiiPKifff14rope_corr_dimsfPKf14mrope_sections.private_seg_size, 0
	.set _ZL11rope_visionILb0ELb0EfEvPKT1_PS0_iiiiiiiiiiPKifff14rope_corr_dimsfPKf14mrope_sections.uses_vcc, 1
	.set _ZL11rope_visionILb0ELb0EfEvPKT1_PS0_iiiiiiiiiiPKifff14rope_corr_dimsfPKf14mrope_sections.uses_flat_scratch, 0
	.set _ZL11rope_visionILb0ELb0EfEvPKT1_PS0_iiiiiiiiiiPKifff14rope_corr_dimsfPKf14mrope_sections.has_dyn_sized_stack, 0
	.set _ZL11rope_visionILb0ELb0EfEvPKT1_PS0_iiiiiiiiiiPKifff14rope_corr_dimsfPKf14mrope_sections.has_recursion, 0
	.set _ZL11rope_visionILb0ELb0EfEvPKT1_PS0_iiiiiiiiiiPKifff14rope_corr_dimsfPKf14mrope_sections.has_indirect_call, 0
	.section	.AMDGPU.csdata,"",@progbits
; Kernel info:
; codeLenInByte = 4664
; TotalNumSgprs: 23
; NumVgprs: 26
; ScratchSize: 0
; MemoryBound: 0
; FloatMode: 240
; IeeeMode: 1
; LDSByteSize: 0 bytes/workgroup (compile time only)
; SGPRBlocks: 0
; VGPRBlocks: 1
; NumSGPRsForWavesPerEU: 23
; NumVGPRsForWavesPerEU: 26
; NamedBarCnt: 0
; Occupancy: 16
; WaveLimiterHint : 0
; COMPUTE_PGM_RSRC2:SCRATCH_EN: 0
; COMPUTE_PGM_RSRC2:USER_SGPR: 2
; COMPUTE_PGM_RSRC2:TRAP_HANDLER: 0
; COMPUTE_PGM_RSRC2:TGID_X_EN: 1
; COMPUTE_PGM_RSRC2:TGID_Y_EN: 1
; COMPUTE_PGM_RSRC2:TGID_Z_EN: 0
; COMPUTE_PGM_RSRC2:TIDIG_COMP_CNT: 1
	.section	.text._ZL11rope_visionILb0ELb1EfEvPKT1_PS0_iiiiiiiiiiPKifff14rope_corr_dimsfPKf14mrope_sections,"axG",@progbits,_ZL11rope_visionILb0ELb1EfEvPKT1_PS0_iiiiiiiiiiPKifff14rope_corr_dimsfPKf14mrope_sections,comdat
	.globl	_ZL11rope_visionILb0ELb1EfEvPKT1_PS0_iiiiiiiiiiPKifff14rope_corr_dimsfPKf14mrope_sections ; -- Begin function _ZL11rope_visionILb0ELb1EfEvPKT1_PS0_iiiiiiiiiiPKifff14rope_corr_dimsfPKf14mrope_sections
	.p2align	8
	.type	_ZL11rope_visionILb0ELb1EfEvPKT1_PS0_iiiiiiiiiiPKifff14rope_corr_dimsfPKf14mrope_sections,@function
_ZL11rope_visionILb0ELb1EfEvPKT1_PS0_iiiiiiiiiiPKifff14rope_corr_dimsfPKf14mrope_sections: ; @_ZL11rope_visionILb0ELb1EfEvPKT1_PS0_iiiiiiiiiiPKifff14rope_corr_dimsfPKf14mrope_sections
; %bb.0:
	s_clause 0x1
	s_load_u16 s3, s[0:1], 0x7e
	s_load_b256 s[4:11], s[0:1], 0x10
	s_bfe_u32 s2, ttmp6, 0x40010
	s_bfe_u32 s13, ttmp6, 0x40004
	s_add_co_i32 s2, s2, 1
	v_bfe_u32 v1, v0, 10, 10
	s_mul_i32 s12, ttmp7, s2
	s_getreg_b32 s2, hwreg(HW_REG_IB_STS2, 6, 4)
	s_add_co_i32 s13, s13, s12
	s_cmp_eq_u32 s2, 0
	s_cselect_b32 s12, ttmp7, s13
	s_wait_kmcnt 0x0
	s_mul_i32 s12, s12, s3
	s_mov_b32 s3, exec_lo
	v_add_lshl_u32 v1, s12, v1, 1
	s_delay_alu instid0(VALU_DEP_1)
	v_cmpx_gt_i32_e64 s4, v1
	s_cbranch_execz .LBB31_20
; %bb.1:
	s_add_nc_u64 s[12:13], s[0:1], 0x70
	s_bfe_u32 s4, ttmp6, 0x4000c
	s_load_b32 s3, s[12:13], 0xc
	s_add_co_i32 s4, s4, 1
	s_wait_xcnt 0x0
	s_and_b32 s12, ttmp6, 15
	s_mul_i32 s4, ttmp9, s4
	v_and_b32_e32 v0, 0x3ff, v0
	s_add_co_i32 s12, s12, s4
	s_mul_i32 s4, s6, s5
	s_wait_kmcnt 0x0
	s_and_b32 s3, s3, 0xffff
	s_cmp_eq_u32 s2, 0
	s_cselect_b32 s2, ttmp9, s12
	s_abs_i32 s12, s4
	v_mad_u32 v0, s2, s3, v0
	s_cvt_f32_u32 s13, s12
	s_delay_alu instid0(SALU_CYCLE_3) | instskip(SKIP_1) | instid1(TRANS32_DEP_1)
	v_rcp_iflag_f32_e32 v2, s13
	v_nop
	v_readfirstlane_b32 s2, v2
	s_delay_alu instid0(VALU_DEP_3) | instskip(SKIP_1) | instid1(VALU_DEP_1)
	v_sub_nc_u32_e32 v2, 0, v0
	s_mul_f32 s2, s2, 0x4f7ffffe
	v_max_i32_e32 v2, v0, v2
	s_delay_alu instid0(SALU_CYCLE_2) | instskip(SKIP_1) | instid1(SALU_CYCLE_2)
	s_cvt_u32_f32 s13, s2
	s_sub_co_i32 s2, 0, s12
	s_mul_i32 s2, s2, s13
	s_delay_alu instid0(SALU_CYCLE_1) | instskip(SKIP_2) | instid1(SALU_CYCLE_1)
	s_mul_hi_u32 s14, s13, s2
	s_load_b64 s[2:3], s[0:1], 0x60
	s_add_co_i32 s13, s13, s14
	v_mul_hi_u32 v3, v2, s13
	s_delay_alu instid0(VALU_DEP_1) | instskip(SKIP_2) | instid1(SALU_CYCLE_1)
	v_mul_lo_u32 v4, v3, s12
	s_wait_kmcnt 0x0
	s_add_co_i32 s3, s3, s2
	s_abs_i32 s20, s3
	s_delay_alu instid0(SALU_CYCLE_1) | instskip(NEXT) | instid1(VALU_DEP_1)
	s_cvt_f32_u32 s13, s20
	v_dual_sub_nc_u32 v2, v2, v4 :: v_dual_add_nc_u32 v4, 1, v3
	s_delay_alu instid0(SALU_CYCLE_2) | instskip(SKIP_1) | instid1(VALU_DEP_1)
	v_rcp_iflag_f32_e32 v5, s13
	s_cvt_f32_u32 s13, s5
	v_subrev_nc_u32_e32 v6, s12, v2
	v_cmp_le_u32_e32 vcc_lo, s12, v2
	s_delay_alu instid0(TRANS32_DEP_1) | instskip(SKIP_1) | instid1(VALU_DEP_4)
	v_readfirstlane_b32 s14, v5
	v_cndmask_b32_e32 v3, v3, v4, vcc_lo
	v_dual_cndmask_b32 v5, v2, v6, vcc_lo :: v_dual_bitop2_b32 v4, s4, v0 bitop3:0x14
	v_ashrrev_i32_e32 v2, 1, v1
	s_mul_f32 s14, s14, 0x4f7ffffe
	s_delay_alu instid0(VALU_DEP_2) | instskip(NEXT) | instid1(VALU_DEP_3)
	v_dual_add_nc_u32 v6, 1, v3 :: v_dual_ashrrev_i32 v4, 31, v4
	v_cmp_le_u32_e32 vcc_lo, s12, v5
	v_rcp_iflag_f32_e32 v5, s13
	s_cvt_u32_f32 s12, s14
	s_sub_co_i32 s13, 0, s20
	v_dual_ashrrev_i32 v1, 31, v1 :: v_dual_cndmask_b32 v3, v3, v6, vcc_lo
	v_sub_nc_u32_e32 v6, 0, v2
	s_mul_i32 s13, s13, s12
	s_delay_alu instid0(TRANS32_DEP_1) | instskip(SKIP_4) | instid1(VALU_DEP_1)
	v_readfirstlane_b32 s14, v5
	s_mul_hi_u32 s13, s12, s13
	v_max_i32_e32 v6, v2, v6
	v_xor_b32_e32 v3, v3, v4
	s_add_co_i32 s12, s12, s13
	v_sub_nc_u32_e32 v3, v3, v4
	s_delay_alu instid0(VALU_DEP_3) | instskip(SKIP_1) | instid1(VALU_DEP_2)
	v_mul_hi_u32 v4, v6, s12
	s_sub_co_i32 s12, 0, s5
	v_mul_lo_u32 v5, s4, v3
	s_mul_f32 s4, s14, 0x4f7ffffe
	s_delay_alu instid0(SALU_CYCLE_3) | instskip(NEXT) | instid1(VALU_DEP_2)
	s_cvt_u32_f32 s4, s4
	v_mul_lo_u32 v4, v4, s20
	s_delay_alu instid0(SALU_CYCLE_2) | instskip(NEXT) | instid1(VALU_DEP_2)
	s_mul_i32 s12, s12, s4
	v_sub_nc_u32_e32 v5, v0, v5
	s_mul_hi_u32 s12, s4, s12
	s_delay_alu instid0(SALU_CYCLE_1)
	s_add_co_i32 s4, s4, s12
	s_clause 0x2
	s_load_b64 s[18:19], s[0:1], 0x50
	s_load_b64 s[16:17], s[0:1], 0x30
	s_load_b128 s[12:15], s[0:1], 0x40
	v_mul_hi_u32 v0, v5, s4
	s_mov_b32 s4, exec_lo
	s_delay_alu instid0(VALU_DEP_1) | instskip(NEXT) | instid1(VALU_DEP_1)
	v_mul_lo_u32 v7, v0, s5
	v_dual_sub_nc_u32 v4, v6, v4 :: v_dual_sub_nc_u32 v7, v5, v7
	s_delay_alu instid0(VALU_DEP_1) | instskip(SKIP_1) | instid1(VALU_DEP_2)
	v_subrev_nc_u32_e32 v6, s20, v4
	v_cmp_le_u32_e32 vcc_lo, s20, v4
	v_cndmask_b32_e32 v4, v4, v6, vcc_lo
	s_delay_alu instid0(VALU_DEP_1) | instskip(SKIP_3) | instid1(VALU_DEP_3)
	v_subrev_nc_u32_e32 v6, s20, v4
	v_cmp_le_u32_e32 vcc_lo, s20, v4
	v_add_nc_u32_e32 v8, 1, v0
	s_mov_b32 s20, -1
	v_cndmask_b32_e32 v4, v4, v6, vcc_lo
	v_subrev_nc_u32_e32 v6, s5, v7
	v_cmp_le_u32_e32 vcc_lo, s5, v7
	v_cndmask_b32_e32 v8, v0, v8, vcc_lo
	s_delay_alu instid0(VALU_DEP_3) | instskip(NEXT) | instid1(VALU_DEP_1)
	v_dual_cndmask_b32 v4, v7, v6, vcc_lo :: v_dual_bitop2_b32 v0, v4, v1 bitop3:0x14
	v_dual_add_nc_u32 v6, 1, v8 :: v_dual_sub_nc_u32 v0, v0, v1
	s_delay_alu instid0(VALU_DEP_2) | instskip(NEXT) | instid1(VALU_DEP_2)
	v_cmp_le_u32_e32 vcc_lo, s5, v4
	v_cndmask_b32_e32 v4, v8, v6, vcc_lo
	s_delay_alu instid0(VALU_DEP_1) | instskip(NEXT) | instid1(VALU_DEP_4)
	v_mov_b32_e32 v6, v4
	v_cmpx_le_i32_e64 s2, v0
	s_cbranch_execz .LBB31_6
; %bb.2:
	s_cmp_gt_i32 s3, -1
	s_mov_b32 s3, -1
	s_cbranch_scc0 .LBB31_4
; %bb.3:
	v_subrev_nc_u32_e32 v0, s2, v0
	v_add_nc_u32_e32 v6, s6, v4
	s_branch .LBB31_5
.LBB31_4:
	s_mov_b32 s3, 0
                                        ; implicit-def: $vgpr0
                                        ; implicit-def: $vgpr6
.LBB31_5:
	s_delay_alu instid0(SALU_CYCLE_1)
	s_or_not1_b32 s20, s3, exec_lo
.LBB31_6:
	s_or_b32 exec_lo, exec_lo, s4
	v_mov_b32_e32 v1, 0
	s_and_saveexec_b32 s6, s20
	s_cbranch_execz .LBB31_8
; %bb.7:
	s_wait_kmcnt 0x0
	s_cmp_neq_f32 s19, 1.0
	v_cvt_f32_i32_e32 v0, v0
	s_load_b64 s[2:3], s[0:1], 0x38
	s_mov_b32 s4, 0x3e76c4e1
	s_cselect_b32 vcc_lo, -1, 0
	s_delay_alu instid0(VALU_DEP_1) | instskip(NEXT) | instid1(VALU_DEP_1)
	v_cndmask_b32_e32 v1, 1.0, v0, vcc_lo
	v_cmp_neq_f32_e32 vcc_lo, 0, v1
	v_cndmask_b32_e64 v0, 1.0, s19, vcc_lo
	s_delay_alu instid0(VALU_DEP_1) | instskip(SKIP_4) | instid1(VALU_DEP_1)
	v_frexp_mant_f32_e64 v7, |v0|
	s_wait_kmcnt 0x0
	global_load_b32 v22, v6, s[2:3] scale_offset
	v_cmp_gt_f32_e32 vcc_lo, 0x3f2aaaab, v7
	v_cndmask_b32_e64 v8, 1.0, 2.0, vcc_lo
	v_mul_f32_e32 v7, v7, v8
	s_delay_alu instid0(VALU_DEP_1) | instskip(NEXT) | instid1(VALU_DEP_1)
	v_dual_add_f32 v8, 1.0, v7 :: v_dual_add_f32 v9, -1.0, v7
	v_add_f32_e32 v11, -1.0, v8
	v_rcp_f32_e32 v14, v8
	v_nop
	s_delay_alu instid0(TRANS32_DEP_1) | instskip(NEXT) | instid1(VALU_DEP_1)
	v_mul_f32_e32 v15, v9, v14
	v_mul_f32_e32 v10, v8, v15
	v_sub_f32_e32 v7, v7, v11
	s_delay_alu instid0(VALU_DEP_2) | instskip(NEXT) | instid1(VALU_DEP_1)
	v_fma_f32 v12, v15, v8, -v10
	v_fmac_f32_e32 v12, v15, v7
	s_delay_alu instid0(VALU_DEP_1) | instskip(NEXT) | instid1(VALU_DEP_1)
	v_add_f32_e32 v8, v10, v12
	v_dual_sub_f32 v11, v9, v8 :: v_dual_mov_b32 v13, v8
	s_delay_alu instid0(VALU_DEP_1) | instskip(NEXT) | instid1(VALU_DEP_1)
	v_pk_add_f32 v[8:9], v[8:9], v[10:11] neg_lo:[0,1] neg_hi:[0,1]
	v_pk_add_f32 v[8:9], v[8:9], v[12:13] neg_lo:[0,1] neg_hi:[0,1]
	v_cvt_f64_f32_e64 v[12:13], |v0|
	s_delay_alu instid0(VALU_DEP_2) | instskip(NEXT) | instid1(VALU_DEP_1)
	v_add_f32_e32 v7, v8, v9
	v_add_f32_e32 v7, v11, v7
	s_delay_alu instid0(VALU_DEP_1) | instskip(NEXT) | instid1(VALU_DEP_1)
	v_mul_f32_e32 v7, v14, v7
	v_add_f32_e32 v8, v15, v7
	s_delay_alu instid0(VALU_DEP_1) | instskip(NEXT) | instid1(VALU_DEP_1)
	v_sub_f32_e32 v9, v8, v15
	v_sub_f32_e32 v18, v7, v9
	v_frexp_exp_i32_f64_e32 v17, v[12:13]
	s_delay_alu instid0(VALU_DEP_2) | instskip(NEXT) | instid1(VALU_DEP_1)
	v_dual_add_f32 v9, v18, v18 :: v_dual_mul_f32 v11, v8, v8
	v_fma_f32 v7, v8, v8, -v11
	s_delay_alu instid0(VALU_DEP_1) | instskip(NEXT) | instid1(VALU_DEP_1)
	v_fmac_f32_e32 v7, v8, v9
	v_add_f32_e32 v10, v11, v7
	s_delay_alu instid0(VALU_DEP_1) | instskip(SKIP_2) | instid1(VALU_DEP_2)
	v_sub_f32_e32 v11, v10, v11
	v_fmaak_f32 v9, s4, v10, 0x3e91f4c4
	v_cmp_eq_f32_e64 s4, 0, v0
	v_dual_sub_f32 v16, v7, v11 :: v_dual_fmaak_f32 v9, v10, v9, 0x3ecccdef
	s_delay_alu instid0(VALU_DEP_1) | instskip(SKIP_1) | instid1(VALU_DEP_1)
	v_mul_f32_e32 v14, v10, v9
	s_wait_xcnt 0x0
	v_fma_f32 v6, v10, v9, -v14
	s_delay_alu instid0(VALU_DEP_1) | instskip(NEXT) | instid1(VALU_DEP_1)
	v_fmac_f32_e32 v6, v16, v9
	v_add_f32_e32 v11, v14, v6
	s_delay_alu instid0(VALU_DEP_1) | instskip(NEXT) | instid1(VALU_DEP_1)
	v_sub_f32_e32 v9, v11, v14
	v_dual_add_f32 v7, 0x3f2aaaaa, v11 :: v_dual_sub_f32 v6, v6, v9
	s_delay_alu instid0(VALU_DEP_1) | instskip(NEXT) | instid1(VALU_DEP_2)
	v_add_f32_e32 v14, 0xbf2aaaaa, v7
	v_add_f32_e32 v9, 0x31739010, v6
	s_delay_alu instid0(VALU_DEP_2) | instskip(NEXT) | instid1(VALU_DEP_1)
	v_sub_f32_e32 v11, v11, v14
	v_pk_mul_f32 v[12:13], v[8:9], v[10:11]
	s_delay_alu instid0(VALU_DEP_1) | instskip(NEXT) | instid1(VALU_DEP_1)
	v_fma_f32 v6, v10, v8, -v12
	v_fmac_f32_e32 v6, v10, v18
	s_delay_alu instid0(VALU_DEP_1) | instskip(SKIP_2) | instid1(VALU_DEP_2)
	v_fmac_f32_e32 v6, v16, v8
	v_pk_add_f32 v[14:15], v[8:9], v[10:11]
	v_subrev_co_ci_u32_e64 v9, null, 0, v17, vcc_lo
	v_mov_b32_e32 v13, v15
	s_delay_alu instid0(VALU_DEP_2) | instskip(NEXT) | instid1(VALU_DEP_2)
	v_cvt_f32_i32_e32 v9, v9
	v_pk_add_f32 v[10:11], v[12:13], v[6:7]
	s_delay_alu instid0(VALU_DEP_1) | instskip(NEXT) | instid1(VALU_DEP_1)
	v_dual_mov_b32 v14, v11 :: v_dual_sub_f32 v13, v10, v12
	v_pk_mul_f32 v[16:17], v[10:11], v[14:15]
	s_delay_alu instid0(VALU_DEP_4) | instskip(NEXT) | instid1(VALU_DEP_3)
	v_dual_sub_f32 v7, v7, v11 :: v_dual_mul_f32 v14, 0x3f317218, v9
	v_sub_f32_e32 v6, v6, v13
	s_delay_alu instid0(VALU_DEP_3) | instskip(NEXT) | instid1(VALU_DEP_3)
	v_fma_f32 v12, v10, v11, -v16
	v_add_f32_e32 v7, v15, v7
	s_delay_alu instid0(VALU_DEP_1) | instskip(SKIP_1) | instid1(VALU_DEP_2)
	v_fmac_f32_e32 v12, v10, v7
	v_fma_f32 v7, 0x3f317218, v9, -v14
	v_fmac_f32_e32 v12, v6, v11
	s_delay_alu instid0(VALU_DEP_2) | instskip(SKIP_1) | instid1(VALU_DEP_1)
	v_fmamk_f32 v6, v9, 0xb102e308, v7
	v_ldexp_f32 v7, v8, 1
	v_dual_add_f32 v15, v16, v12 :: v_dual_mov_b32 v17, v7
	s_delay_alu instid0(VALU_DEP_1) | instskip(SKIP_2) | instid1(VALU_DEP_3)
	v_pk_add_f32 v[8:9], v[14:15], v[6:7]
	v_dual_mov_b32 v10, v15 :: v_dual_mov_b32 v13, v15
	v_ldexp_f32 v7, v18, 1
	v_dual_mov_b32 v11, v9 :: v_dual_mov_b32 v20, v9
	s_delay_alu instid0(VALU_DEP_1) | instskip(NEXT) | instid1(VALU_DEP_1)
	v_pk_add_f32 v[10:11], v[10:11], v[16:17] neg_lo:[0,1] neg_hi:[0,1]
	v_pk_add_f32 v[10:11], v[12:13], v[10:11] neg_lo:[0,1] neg_hi:[0,1]
	s_delay_alu instid0(VALU_DEP_1) | instskip(NEXT) | instid1(VALU_DEP_1)
	v_add_f32_e32 v7, v7, v10
	v_dual_add_f32 v15, v7, v11 :: v_dual_mov_b32 v7, v8
	s_delay_alu instid0(VALU_DEP_1) | instskip(SKIP_1) | instid1(VALU_DEP_2)
	v_pk_add_f32 v[10:11], v[8:9], v[14:15]
	v_pk_add_f32 v[12:13], v[8:9], v[14:15] neg_lo:[0,1] neg_hi:[0,1]
	v_mov_b32_e32 v13, v11
	s_delay_alu instid0(VALU_DEP_1) | instskip(SKIP_2) | instid1(VALU_DEP_3)
	v_pk_add_f32 v[16:17], v[6:7], v[12:13]
	v_mov_b32_e32 v16, v11
	v_pk_add_f32 v[6:7], v[6:7], v[12:13] neg_lo:[0,1] neg_hi:[0,1]
	v_mov_b32_e32 v14, v17
	s_delay_alu instid0(VALU_DEP_1) | instskip(SKIP_1) | instid1(VALU_DEP_2)
	v_pk_add_f32 v[18:19], v[14:15], v[8:9] neg_lo:[0,1] neg_hi:[0,1]
	v_dual_mov_b32 v9, v8 :: v_dual_mov_b32 v8, v15
	v_dual_mov_b32 v15, v18 :: v_dual_mov_b32 v21, v18
	s_delay_alu instid0(VALU_DEP_1) | instskip(NEXT) | instid1(VALU_DEP_2)
	v_pk_add_f32 v[10:11], v[10:11], v[14:15] neg_lo:[0,1] neg_hi:[0,1]
	v_pk_add_f32 v[12:13], v[16:17], v[20:21] neg_lo:[0,1] neg_hi:[0,1]
	v_mov_b32_e32 v10, v6
	s_delay_alu instid0(VALU_DEP_2) | instskip(NEXT) | instid1(VALU_DEP_1)
	v_pk_add_f32 v[8:9], v[8:9], v[12:13] neg_lo:[0,1] neg_hi:[0,1]
	v_pk_add_f32 v[10:11], v[10:11], v[8:9]
	s_delay_alu instid0(VALU_DEP_1) | instskip(NEXT) | instid1(VALU_DEP_1)
	v_mov_b32_e32 v12, v11
	v_pk_add_f32 v[12:13], v[10:11], v[12:13]
	s_delay_alu instid0(VALU_DEP_1) | instskip(NEXT) | instid1(VALU_DEP_1)
	v_pk_add_f32 v[14:15], v[14:15], v[12:13]
	v_dual_mov_b32 v7, v17 :: v_dual_mov_b32 v11, v14
	s_delay_alu instid0(VALU_DEP_1) | instskip(NEXT) | instid1(VALU_DEP_1)
	v_pk_add_f32 v[16:17], v[10:11], v[6:7] neg_lo:[0,1] neg_hi:[0,1]
	v_dual_mov_b32 v9, v12 :: v_dual_sub_f32 v7, v10, v16
	s_delay_alu instid0(VALU_DEP_1) | instskip(NEXT) | instid1(VALU_DEP_2)
	v_pk_add_f32 v[8:9], v[8:9], v[16:17] neg_lo:[0,1] neg_hi:[0,1]
	v_sub_f32_e32 v6, v6, v7
	s_delay_alu instid0(VALU_DEP_1) | instskip(NEXT) | instid1(VALU_DEP_1)
	v_add_f32_e32 v6, v8, v6
	v_add_f32_e32 v6, v6, v9
	s_delay_alu instid0(VALU_DEP_1) | instskip(NEXT) | instid1(VALU_DEP_1)
	v_add_f32_e32 v7, v14, v6
	v_dual_sub_f32 v8, v7, v14 :: v_dual_mul_f32 v9, v1, v7
	s_delay_alu instid0(VALU_DEP_1) | instskip(SKIP_1) | instid1(VALU_DEP_2)
	v_dual_fma_f32 v7, v1, v7, -v9 :: v_dual_sub_f32 v6, v6, v8
	v_cmp_class_f32_e64 vcc_lo, v9, 0x204
	v_fmac_f32_e32 v7, v1, v6
	s_delay_alu instid0(VALU_DEP_1) | instskip(NEXT) | instid1(VALU_DEP_1)
	v_add_f32_e32 v6, v9, v7
	v_cndmask_b32_e32 v8, v6, v9, vcc_lo
	s_delay_alu instid0(VALU_DEP_1) | instskip(SKIP_2) | instid1(VALU_DEP_2)
	v_cmp_eq_f32_e32 vcc_lo, 0x42b17218, v8
	v_cndmask_b32_e64 v10, 0, 0x37000000, vcc_lo
	v_cmp_neq_f32_e64 vcc_lo, 0x7f800000, |v8|
	v_sub_f32_e32 v11, v8, v10
	v_trunc_f32_e32 v8, v1
	s_delay_alu instid0(VALU_DEP_2) | instskip(NEXT) | instid1(VALU_DEP_1)
	v_mul_f32_e32 v12, 0x3fb8aa3b, v11
	v_fma_f32 v13, 0x3fb8aa3b, v11, -v12
	v_rndne_f32_e32 v14, v12
	s_delay_alu instid0(VALU_DEP_1) | instskip(SKIP_1) | instid1(VALU_DEP_1)
	v_dual_fmamk_f32 v13, v11, 0x32a5705f, v13 :: v_dual_sub_f32 v12, v12, v14
	v_sub_f32_e32 v6, v6, v9
	v_dual_add_f32 v12, v12, v13 :: v_dual_sub_f32 v6, v7, v6
	s_delay_alu instid0(VALU_DEP_1) | instskip(SKIP_2) | instid1(VALU_DEP_3)
	v_exp_f32_e32 v9, v12
	v_nop
	v_cvt_i32_f32_e32 v12, v14
	v_cndmask_b32_e32 v6, 0, v6, vcc_lo
	v_cmp_ngt_f32_e32 vcc_lo, 0xc2ce8ed0, v11
	s_delay_alu instid0(TRANS32_DEP_1) | instid1(VALU_DEP_3)
	v_ldexp_f32 v7, v9, v12
	s_delay_alu instid0(VALU_DEP_3) | instskip(NEXT) | instid1(VALU_DEP_2)
	v_dual_mul_f32 v9, 0.5, v1 :: v_dual_add_f32 v6, v10, v6
	v_cndmask_b32_e32 v7, 0, v7, vcc_lo
	s_delay_alu instid0(VALU_DEP_2) | instskip(SKIP_1) | instid1(VALU_DEP_2)
	v_trunc_f32_e32 v12, v9
	v_cmp_nlt_f32_e32 vcc_lo, 0x42b17218, v11
	v_cmp_neq_f32_e64 s2, v12, v9
	s_delay_alu instid0(VALU_DEP_4) | instskip(SKIP_1) | instid1(VALU_DEP_2)
	v_cndmask_b32_e32 v7, 0x7f800000, v7, vcc_lo
	v_cmp_eq_f32_e32 vcc_lo, v8, v1
	v_cmp_class_f32_e64 s3, v7, 0x204
	s_and_b32 s2, vcc_lo, s2
	s_delay_alu instid0(SALU_CYCLE_1) | instskip(NEXT) | instid1(VALU_DEP_1)
	v_dual_fma_f32 v6, v7, v6, v7 :: v_dual_cndmask_b32 v8, 1.0, v0, s2
	v_cndmask_b32_e64 v6, v6, v7, s3
	v_cmp_gt_f32_e64 s3, 0, v1
	s_delay_alu instid0(VALU_DEP_2)
	v_bfi_b32 v1, 0x7fffffff, v6, v8
	s_xor_b32 s3, s3, s4
	v_cndmask_b32_e64 v8, 0, v0, s2
	v_cndmask_b32_e64 v6, 0x7f800000, 0, s3
	v_cmp_class_f32_e64 s2, v0, 0x204
	v_cndmask_b32_e32 v7, 0x7fc00000, v1, vcc_lo
	v_cmp_gt_f32_e32 vcc_lo, 0, v0
	s_delay_alu instid0(VALU_DEP_4) | instskip(NEXT) | instid1(VALU_DEP_3)
	v_bfi_b32 v6, 0x7fffffff, v6, v8
	v_cndmask_b32_e32 v1, v1, v7, vcc_lo
	s_or_b32 vcc_lo, s4, s2
	s_delay_alu instid0(VALU_DEP_1) | instskip(SKIP_3) | instid1(VALU_DEP_3)
	v_cndmask_b32_e32 v1, v1, v6, vcc_lo
	v_cmp_o_f32_e32 vcc_lo, v0, v0
	s_wait_loadcnt 0x0
	v_cvt_f32_i32_e32 v6, v22
	v_cndmask_b32_e32 v0, 0x7fc00000, v1, vcc_lo
	s_delay_alu instid0(VALU_DEP_1)
	v_mul_f32_e32 v1, v0, v6
.LBB31_8:
	s_or_b32 exec_lo, exec_lo, s6
	s_load_b64 s[2:3], s[0:1], 0x58
	s_wait_kmcnt 0x0
	s_cmp_eq_f32 s13, 0
	global_load_b32 v0, v2, s[2:3] scale_offset
	s_wait_loadcnt 0x0
	v_div_scale_f32 v6, null, v0, v0, v1
	v_div_scale_f32 v9, vcc_lo, v1, v0, v1
	s_delay_alu instid0(VALU_DEP_2) | instskip(SKIP_1) | instid1(TRANS32_DEP_1)
	v_rcp_f32_e32 v7, v6
	v_nop
	v_fma_f32 v8, -v6, v7, 1.0
	s_delay_alu instid0(VALU_DEP_1) | instskip(NEXT) | instid1(VALU_DEP_1)
	v_fmac_f32_e32 v7, v8, v7
	v_mul_f32_e32 v8, v9, v7
	s_delay_alu instid0(VALU_DEP_1) | instskip(NEXT) | instid1(VALU_DEP_1)
	v_fma_f32 v10, -v6, v8, v9
	v_fmac_f32_e32 v8, v10, v7
	s_delay_alu instid0(VALU_DEP_1) | instskip(NEXT) | instid1(VALU_DEP_1)
	v_fma_f32 v6, -v6, v8, v9
	v_div_fmas_f32 v6, v6, v7, v8
	s_delay_alu instid0(VALU_DEP_1) | instskip(NEXT) | instid1(VALU_DEP_1)
	v_div_fixup_f32 v0, v6, v0, v1
	v_mul_f32_e32 v1, s12, v0
	s_cbranch_scc1 .LBB31_10
; %bb.9:
	v_cvt_f32_i32_e32 v6, v2
	s_sub_f32 s2, s18, s15
	v_div_scale_f32 v8, null, s12, s12, 1.0
	s_delay_alu instid0(SALU_CYCLE_2) | instskip(SKIP_4) | instid1(VALU_DEP_3)
	s_max_num_f32 s3, s2, 0x3a83126f
	v_subrev_f32_e32 v6, s15, v6
	v_rcp_f32_e32 v10, v8
	v_nop
	v_xor_b32_e32 v8, 0x80000000, v8
	v_div_scale_f32 v7, null, s3, s3, v6
	s_delay_alu instid0(TRANS32_DEP_1) | instid1(VALU_DEP_2)
	v_fma_f32 v12, v8, v10, 1.0
	s_delay_alu instid0(VALU_DEP_2) | instskip(SKIP_1) | instid1(TRANS32_DEP_1)
	v_rcp_f32_e32 v9, v7
	v_nop
	v_fma_f32 v11, -v7, v9, 1.0
	s_delay_alu instid0(VALU_DEP_1) | instskip(SKIP_2) | instid1(VALU_DEP_2)
	v_fmac_f32_e32 v9, v11, v9
	v_div_scale_f32 v13, vcc_lo, v6, s3, v6
	v_div_scale_f32 v11, s2, 1.0, s12, 1.0
	v_dual_fmac_f32 v10, v12, v10 :: v_dual_mul_f32 v12, v13, v9
	s_delay_alu instid0(VALU_DEP_1) | instskip(NEXT) | instid1(VALU_DEP_1)
	v_mul_f32_e32 v14, v11, v10
	v_dual_fma_f32 v15, -v7, v12, v13 :: v_dual_fma_f32 v16, v8, v14, v11
	s_delay_alu instid0(VALU_DEP_1) | instskip(NEXT) | instid1(VALU_DEP_1)
	v_dual_fmac_f32 v12, v15, v9 :: v_dual_fmac_f32 v14, v16, v10
	v_dual_fma_f32 v7, -v7, v12, v13 :: v_dual_fmac_f32 v11, v8, v14
	s_delay_alu instid0(VALU_DEP_1) | instskip(SKIP_1) | instid1(VALU_DEP_2)
	v_div_fmas_f32 v7, v7, v9, v12
	s_mov_b32 vcc_lo, s2
	v_div_fmas_f32 v8, v11, v10, v14
	s_delay_alu instid0(VALU_DEP_2) | instskip(NEXT) | instid1(VALU_DEP_2)
	v_div_fixup_f32 v6, v7, s3, v6 clamp
	v_div_fixup_f32 v8, v8, s12, 1.0
	s_delay_alu instid0(VALU_DEP_2) | instskip(NEXT) | instid1(VALU_DEP_2)
	v_sub_f32_e32 v10, 1.0, v6
	v_readfirstlane_b32 s2, v8
	s_delay_alu instid0(VALU_DEP_2) | instskip(SKIP_2) | instid1(SALU_CYCLE_1)
	v_mul_f32_e32 v6, s13, v10
	s_cmp_lt_f32 s2, 0x800000
	s_cselect_b32 s2, 0x4f800000, 1.0
	v_mul_f32_e32 v8, s2, v8
	s_cselect_b32 s2, 0x41b17218, 0
	s_delay_alu instid0(VALU_DEP_1) | instskip(SKIP_1) | instid1(TRANS32_DEP_1)
	v_log_f32_e32 v8, v8
	v_nop
	v_mul_f32_e32 v9, 0x3f317217, v8
	v_and_b32_e32 v7, 0x7fffffff, v8
	s_delay_alu instid0(VALU_DEP_2) | instskip(NEXT) | instid1(VALU_DEP_2)
	v_xor_b32_e32 v9, 0x80000000, v9
	v_cmp_gt_f32_e32 vcc_lo, 0x7f800000, v7
	v_fma_f32 v7, -s13, v10, 1.0
	s_delay_alu instid0(VALU_DEP_3) | instskip(NEXT) | instid1(VALU_DEP_2)
	v_fmac_f32_e32 v9, 0x3f317217, v8
	v_pk_mul_f32 v[0:1], v[6:7], v[0:1]
	s_delay_alu instid0(VALU_DEP_2) | instskip(NEXT) | instid1(VALU_DEP_2)
	v_fmamk_f32 v9, v8, 0x3377d1cf, v9
	v_add_f32_e32 v1, v0, v1
	s_delay_alu instid0(VALU_DEP_2) | instskip(NEXT) | instid1(VALU_DEP_1)
	v_fmac_f32_e32 v9, 0x3f317217, v8
	v_dual_cndmask_b32 v8, v8, v9 :: v_dual_mov_b32 v9, 1.0
	s_delay_alu instid0(VALU_DEP_1) | instskip(NEXT) | instid1(VALU_DEP_1)
	v_subrev_f32_e32 v8, s2, v8
	v_fmamk_f32 v6, v8, 0x3dcccccd, v9
	s_delay_alu instid0(VALU_DEP_1)
	v_mul_f32_e32 v6, s14, v6
	s_branch .LBB31_11
.LBB31_10:
	v_mov_b32_e32 v6, s14
.LBB31_11:
	s_delay_alu instid0(VALU_DEP_2) | instskip(SKIP_1) | instid1(VALU_DEP_2)
	v_and_b32_e32 v0, 0x7fffffff, v1
	v_cmp_ngt_f32_e64 s4, 0x48000000, |v1|
                                        ; implicit-def: $vgpr8
                                        ; implicit-def: $vgpr7
	v_lshrrev_b32_e32 v9, 23, v0
	s_and_saveexec_b32 s2, s4
	s_delay_alu instid0(SALU_CYCLE_1)
	s_xor_b32 s6, exec_lo, s2
	s_cbranch_execz .LBB31_13
; %bb.12:
	s_mov_b32 s2, 0x7fffff
	v_mov_b32_e32 v11, 0
	v_and_or_b32 v10, v0, s2, 0x800000
	s_mov_b64 s[2:3], 0xfe5163ab
	v_add_nc_u32_e32 v7, 0xffffff88, v9
	s_delay_alu instid0(VALU_DEP_2) | instskip(NEXT) | instid1(VALU_DEP_2)
	v_mul_u64_e32 v[12:13], s[2:3], v[10:11]
	v_cmp_lt_u32_e32 vcc_lo, 63, v7
	v_cndmask_b32_e64 v8, 0, 0xffffffc0, vcc_lo
	s_delay_alu instid0(VALU_DEP_3) | instskip(SKIP_2) | instid1(VALU_DEP_3)
	v_dual_mov_b32 v14, v13 :: v_dual_mov_b32 v15, v11
	v_dual_mov_b32 v17, v11 :: v_dual_mov_b32 v19, v11
	;; [unrolled: 1-line block ×3, first 2 shown]
	v_mad_nc_u64_u32 v[14:15], 0x3c439041, v10, v[14:15]
	v_dual_add_nc_u32 v7, v8, v7 :: v_dual_mov_b32 v25, v11
	s_delay_alu instid0(VALU_DEP_1) | instskip(NEXT) | instid1(VALU_DEP_3)
	v_cmp_lt_u32_e64 s2, 31, v7
	v_mov_b32_e32 v16, v15
	s_delay_alu instid0(VALU_DEP_2) | instskip(NEXT) | instid1(VALU_DEP_2)
	v_cndmask_b32_e64 v8, 0, 0xffffffe0, s2
	v_mad_nc_u64_u32 v[16:17], 0xdb629599, v10, v[16:17]
	s_delay_alu instid0(VALU_DEP_2) | instskip(NEXT) | instid1(VALU_DEP_1)
	v_add_nc_u32_e32 v7, v8, v7
	v_cmp_lt_u32_e64 s3, 31, v7
	s_delay_alu instid0(VALU_DEP_3) | instskip(NEXT) | instid1(VALU_DEP_2)
	v_mov_b32_e32 v18, v17
	v_cndmask_b32_e64 v8, 0, 0xffffffe0, s3
	v_cndmask_b32_e32 v12, v16, v12, vcc_lo
	s_delay_alu instid0(VALU_DEP_3) | instskip(NEXT) | instid1(VALU_DEP_1)
	v_mad_nc_u64_u32 v[18:19], 0xf534ddc0, v10, v[18:19]
	v_dual_cndmask_b32 v8, v18, v14 :: v_dual_add_nc_u32 v7, v8, v7
	s_delay_alu instid0(VALU_DEP_2) | instskip(NEXT) | instid1(VALU_DEP_1)
	v_mov_b32_e32 v20, v19
	v_mad_nc_u64_u32 v[20:21], 0xfc2757d1, v10, v[20:21]
	s_delay_alu instid0(VALU_DEP_1) | instskip(NEXT) | instid1(VALU_DEP_1)
	v_dual_mov_b32 v22, v21 :: v_dual_cndmask_b32 v15, v20, v16
	v_mad_nc_u64_u32 v[22:23], 0x4e441529, v10, v[22:23]
	s_delay_alu instid0(VALU_DEP_1) | instskip(NEXT) | instid1(VALU_DEP_1)
	v_dual_mov_b32 v24, v23 :: v_dual_cndmask_b32 v13, v22, v18
	v_mad_nc_u64_u32 v[10:11], 0xa2f9836e, v10, v[24:25]
	s_delay_alu instid0(VALU_DEP_1) | instskip(SKIP_1) | instid1(VALU_DEP_2)
	v_dual_cndmask_b32 v10, v10, v20 :: v_dual_cndmask_b32 v11, v11, v22
	v_cmp_eq_u32_e32 vcc_lo, 0, v7
	v_dual_cndmask_b32 v14, v10, v13, s2 :: v_dual_cndmask_b32 v10, v11, v10, s2
	v_dual_cndmask_b32 v11, v13, v15, s2 :: v_dual_cndmask_b32 v15, v15, v8, s2
	v_dual_sub_nc_u32 v13, 32, v7 :: v_dual_cndmask_b32 v8, v8, v12, s2
	s_delay_alu instid0(VALU_DEP_3) | instskip(NEXT) | instid1(VALU_DEP_2)
	v_cndmask_b32_e64 v10, v10, v14, s3
	v_dual_cndmask_b32 v14, v14, v11, s3 :: v_dual_cndmask_b32 v8, v15, v8, s3
	s_delay_alu instid0(VALU_DEP_1) | instskip(NEXT) | instid1(VALU_DEP_1)
	v_alignbit_b32 v17, v10, v14, v13
	v_dual_cndmask_b32 v11, v11, v15, s3 :: v_dual_cndmask_b32 v7, v17, v10, vcc_lo
	s_delay_alu instid0(VALU_DEP_1) | instskip(NEXT) | instid1(VALU_DEP_4)
	v_alignbit_b32 v16, v14, v11, v13
	v_alignbit_b32 v13, v11, v8, v13
	s_delay_alu instid0(VALU_DEP_3) | instskip(NEXT) | instid1(VALU_DEP_2)
	v_bfe_u32 v12, v7, 29, 1
	v_dual_cndmask_b32 v10, v16, v14 :: v_dual_cndmask_b32 v11, v13, v11
	s_delay_alu instid0(VALU_DEP_2) | instskip(NEXT) | instid1(VALU_DEP_2)
	v_sub_nc_u32_e32 v15, 0, v12
	v_alignbit_b32 v14, v7, v10, 30
	s_delay_alu instid0(VALU_DEP_3) | instskip(SKIP_1) | instid1(VALU_DEP_3)
	v_alignbit_b32 v10, v10, v11, 30
	v_alignbit_b32 v8, v11, v8, 30
	v_xor_b32_e32 v14, v14, v15
	s_delay_alu instid0(VALU_DEP_2) | instskip(NEXT) | instid1(VALU_DEP_2)
	v_xor_b32_e32 v8, v8, v15
	v_clz_i32_u32_e32 v13, v14
	s_delay_alu instid0(VALU_DEP_1) | instskip(NEXT) | instid1(VALU_DEP_1)
	v_min_u32_e32 v13, 32, v13
	v_dual_lshlrev_b32 v16, 23, v13 :: v_dual_bitop2_b32 v10, v10, v15 bitop3:0x14
	v_sub_nc_u32_e32 v11, 31, v13
	s_delay_alu instid0(VALU_DEP_1) | instskip(SKIP_2) | instid1(VALU_DEP_1)
	v_alignbit_b32 v14, v14, v10, v11
	v_lshrrev_b32_e32 v15, 29, v7
	v_alignbit_b32 v8, v10, v8, v11
	v_alignbit_b32 v11, v14, v8, 9
	s_delay_alu instid0(VALU_DEP_3) | instskip(NEXT) | instid1(VALU_DEP_2)
	v_dual_lshrrev_b32 v14, 9, v14 :: v_dual_lshlrev_b32 v10, 31, v15
	v_clz_i32_u32_e32 v17, v11
	s_delay_alu instid0(VALU_DEP_2) | instskip(SKIP_1) | instid1(VALU_DEP_2)
	v_or_b32_e32 v15, 0.5, v10
	v_or_b32_e32 v10, 0x33000000, v10
	v_sub_nc_u32_e32 v15, v15, v16
	s_delay_alu instid0(VALU_DEP_4) | instskip(NEXT) | instid1(VALU_DEP_1)
	v_min_u32_e32 v16, 32, v17
	v_add_lshl_u32 v13, v16, v13, 23
	s_delay_alu instid0(VALU_DEP_1) | instskip(NEXT) | instid1(VALU_DEP_4)
	v_sub_nc_u32_e32 v10, v10, v13
	v_or_b32_e32 v14, v14, v15
	v_not_b32_e32 v15, v16
	s_delay_alu instid0(VALU_DEP_1) | instskip(NEXT) | instid1(VALU_DEP_1)
	v_alignbit_b32 v8, v11, v8, v15
	v_dual_mul_f32 v17, 0x3fc90fda, v14 :: v_dual_lshrrev_b32 v8, 9, v8
	s_delay_alu instid0(VALU_DEP_1) | instskip(NEXT) | instid1(VALU_DEP_2)
	v_or_b32_e32 v8, v10, v8
	v_fma_f32 v11, 0x3fc90fda, v14, -v17
	s_delay_alu instid0(VALU_DEP_1) | instskip(NEXT) | instid1(VALU_DEP_1)
	v_fmamk_f32 v11, v14, 0x33a22168, v11
	v_dual_fmac_f32 v11, 0x3fc90fda, v8 :: v_dual_lshrrev_b32 v8, 30, v7
	s_delay_alu instid0(VALU_DEP_1)
	v_dual_add_f32 v7, v17, v11 :: v_dual_add_nc_u32 v8, v12, v8
	s_or_saveexec_b32 s2, s6
	v_mul_f32_e64 v12, 0x3f22f983, |v1|
	s_xor_b32 exec_lo, exec_lo, s2
	s_branch .LBB31_14
.LBB31_13:
	s_or_saveexec_b32 s2, s6
	v_mul_f32_e64 v12, 0x3f22f983, |v1|
	s_xor_b32 exec_lo, exec_lo, s2
.LBB31_14:
	s_delay_alu instid0(VALU_DEP_1) | instskip(NEXT) | instid1(VALU_DEP_1)
	v_rndne_f32_e32 v8, v12
	v_fma_f32 v7, 0xbfc90fda, v8, |v1|
	s_delay_alu instid0(VALU_DEP_1) | instskip(NEXT) | instid1(VALU_DEP_1)
	v_fmamk_f32 v7, v8, 0xb3a22168, v7
	v_fmamk_f32 v7, v8, 0xa7c234c4, v7
	v_cvt_i32_f32_e32 v8, v8
; %bb.15:
	s_or_b32 exec_lo, exec_lo, s2
                                        ; implicit-def: $vgpr11
                                        ; implicit-def: $vgpr10
	s_and_saveexec_b32 s2, s4
	s_delay_alu instid0(SALU_CYCLE_1)
	s_xor_b32 s4, exec_lo, s2
	s_cbranch_execz .LBB31_17
; %bb.16:
	s_mov_b32 s2, 0x7fffff
	v_mov_b32_e32 v11, 0
	v_and_or_b32 v10, v0, s2, 0x800000
	s_mov_b64 s[2:3], 0xfe5163ab
	v_add_nc_u32_e32 v9, 0xffffff88, v9
	s_delay_alu instid0(VALU_DEP_2) | instskip(NEXT) | instid1(VALU_DEP_2)
	v_mul_u64_e32 v[12:13], s[2:3], v[10:11]
	v_cmp_lt_u32_e32 vcc_lo, 63, v9
	s_delay_alu instid0(VALU_DEP_2) | instskip(SKIP_2) | instid1(VALU_DEP_3)
	v_dual_mov_b32 v14, v13 :: v_dual_mov_b32 v15, v11
	v_dual_mov_b32 v17, v11 :: v_dual_mov_b32 v19, v11
	v_dual_mov_b32 v21, v11 :: v_dual_mov_b32 v23, v11
	v_mad_nc_u64_u32 v[14:15], 0x3c439041, v10, v[14:15]
	v_cndmask_b32_e64 v13, 0, 0xffffffc0, vcc_lo
	s_delay_alu instid0(VALU_DEP_1) | instskip(NEXT) | instid1(VALU_DEP_3)
	v_dual_mov_b32 v25, v11 :: v_dual_add_nc_u32 v9, v13, v9
	v_mov_b32_e32 v16, v15
	s_delay_alu instid0(VALU_DEP_2) | instskip(NEXT) | instid1(VALU_DEP_2)
	v_cmp_lt_u32_e64 s2, 31, v9
	v_mad_nc_u64_u32 v[16:17], 0xdb629599, v10, v[16:17]
	s_delay_alu instid0(VALU_DEP_2) | instskip(NEXT) | instid1(VALU_DEP_1)
	v_cndmask_b32_e64 v13, 0, 0xffffffe0, s2
	v_add_nc_u32_e32 v9, v13, v9
	s_delay_alu instid0(VALU_DEP_3) | instskip(NEXT) | instid1(VALU_DEP_2)
	v_mov_b32_e32 v18, v17
	v_cmp_lt_u32_e64 s3, 31, v9
	v_cndmask_b32_e32 v12, v16, v12, vcc_lo
	s_delay_alu instid0(VALU_DEP_3) | instskip(NEXT) | instid1(VALU_DEP_3)
	v_mad_nc_u64_u32 v[18:19], 0xf534ddc0, v10, v[18:19]
	v_cndmask_b32_e64 v13, 0, 0xffffffe0, s3
	s_delay_alu instid0(VALU_DEP_1) | instskip(NEXT) | instid1(VALU_DEP_3)
	v_dual_add_nc_u32 v9, v13, v9 :: v_dual_cndmask_b32 v13, v18, v14, vcc_lo
	v_mov_b32_e32 v20, v19
	s_delay_alu instid0(VALU_DEP_1) | instskip(NEXT) | instid1(VALU_DEP_1)
	v_mad_nc_u64_u32 v[20:21], 0xfc2757d1, v10, v[20:21]
	v_dual_mov_b32 v22, v21 :: v_dual_cndmask_b32 v17, v20, v16
	s_delay_alu instid0(VALU_DEP_1) | instskip(NEXT) | instid1(VALU_DEP_1)
	v_mad_nc_u64_u32 v[22:23], 0x4e441529, v10, v[22:23]
	v_dual_mov_b32 v24, v23 :: v_dual_cndmask_b32 v15, v22, v18
	s_delay_alu instid0(VALU_DEP_1) | instskip(NEXT) | instid1(VALU_DEP_1)
	v_mad_nc_u64_u32 v[10:11], 0xa2f9836e, v10, v[24:25]
	v_dual_cndmask_b32 v10, v10, v20 :: v_dual_cndmask_b32 v11, v11, v22
	v_cmp_eq_u32_e32 vcc_lo, 0, v9
	s_delay_alu instid0(VALU_DEP_2) | instskip(SKIP_2) | instid1(VALU_DEP_3)
	v_dual_cndmask_b32 v14, v10, v15, s2 :: v_dual_cndmask_b32 v10, v11, v10, s2
	v_cndmask_b32_e64 v11, v15, v17, s2
	v_sub_nc_u32_e32 v15, 32, v9
	v_dual_cndmask_b32 v17, v17, v13, s2 :: v_dual_cndmask_b32 v10, v10, v14, s3
	s_delay_alu instid0(VALU_DEP_3) | instskip(NEXT) | instid1(VALU_DEP_1)
	v_cndmask_b32_e64 v14, v14, v11, s3
	v_alignbit_b32 v18, v10, v14, v15
	s_delay_alu instid0(VALU_DEP_1) | instskip(NEXT) | instid1(VALU_DEP_1)
	v_dual_cndmask_b32 v11, v11, v17, s3 :: v_dual_cndmask_b32 v9, v18, v10, vcc_lo
	v_alignbit_b32 v16, v14, v11, v15
	v_cndmask_b32_e64 v10, v13, v12, s2
	s_delay_alu instid0(VALU_DEP_3) | instskip(NEXT) | instid1(VALU_DEP_3)
	v_bfe_u32 v13, v9, 29, 1
	v_cndmask_b32_e32 v12, v16, v14, vcc_lo
	s_delay_alu instid0(VALU_DEP_2) | instskip(NEXT) | instid1(VALU_DEP_2)
	v_dual_cndmask_b32 v10, v17, v10, s3 :: v_dual_sub_nc_u32 v16, 0, v13
	v_alignbit_b32 v14, v9, v12, 30
	s_delay_alu instid0(VALU_DEP_2) | instskip(NEXT) | instid1(VALU_DEP_1)
	v_alignbit_b32 v15, v11, v10, v15
	v_dual_cndmask_b32 v11, v15, v11, vcc_lo :: v_dual_bitop2_b32 v14, v14, v16 bitop3:0x14
	s_delay_alu instid0(VALU_DEP_1) | instskip(NEXT) | instid1(VALU_DEP_2)
	v_clz_i32_u32_e32 v15, v14
	v_alignbit_b32 v12, v12, v11, 30
	v_alignbit_b32 v10, v11, v10, 30
	s_delay_alu instid0(VALU_DEP_3) | instskip(NEXT) | instid1(VALU_DEP_3)
	v_min_u32_e32 v15, 32, v15
	v_xor_b32_e32 v11, v12, v16
	s_delay_alu instid0(VALU_DEP_3) | instskip(NEXT) | instid1(VALU_DEP_3)
	v_dual_lshrrev_b32 v16, 29, v9 :: v_dual_bitop2_b32 v10, v10, v16 bitop3:0x14
	v_dual_lshrrev_b32 v9, 30, v9 :: v_dual_sub_nc_u32 v12, 31, v15
	v_lshlrev_b32_e32 v17, 23, v15
	s_delay_alu instid0(VALU_DEP_2) | instskip(NEXT) | instid1(VALU_DEP_4)
	v_alignbit_b32 v14, v14, v11, v12
	v_alignbit_b32 v10, v11, v10, v12
	v_lshlrev_b32_e32 v11, 31, v16
	s_delay_alu instid0(VALU_DEP_2) | instskip(NEXT) | instid1(VALU_DEP_2)
	v_alignbit_b32 v12, v14, v10, 9
	v_dual_lshrrev_b32 v14, 9, v14 :: v_dual_bitop2_b32 v16, 0.5, v11 bitop3:0x54
	v_or_b32_e32 v11, 0x33000000, v11
	s_delay_alu instid0(VALU_DEP_3) | instskip(NEXT) | instid1(VALU_DEP_3)
	v_clz_i32_u32_e32 v18, v12
	v_sub_nc_u32_e32 v16, v16, v17
	s_delay_alu instid0(VALU_DEP_2) | instskip(NEXT) | instid1(VALU_DEP_1)
	v_min_u32_e32 v17, 32, v18
	v_add_lshl_u32 v15, v17, v15, 23
	s_delay_alu instid0(VALU_DEP_1) | instskip(SKIP_1) | instid1(VALU_DEP_1)
	v_dual_sub_nc_u32 v11, v11, v15 :: v_dual_bitop2_b32 v14, v14, v16 bitop3:0x54
	v_not_b32_e32 v16, v17
	v_alignbit_b32 v10, v12, v10, v16
	s_delay_alu instid0(VALU_DEP_1) | instskip(NEXT) | instid1(VALU_DEP_4)
	v_lshrrev_b32_e32 v10, 9, v10
	v_mul_f32_e32 v18, 0x3fc90fda, v14
	s_delay_alu instid0(VALU_DEP_2) | instskip(NEXT) | instid1(VALU_DEP_2)
	v_or_b32_e32 v10, v11, v10
	v_fma_f32 v12, 0x3fc90fda, v14, -v18
	s_delay_alu instid0(VALU_DEP_1) | instskip(NEXT) | instid1(VALU_DEP_1)
	v_dual_fmamk_f32 v12, v14, 0x33a22168, v12 :: v_dual_add_nc_u32 v11, v13, v9
	v_fmac_f32_e32 v12, 0x3fc90fda, v10
	s_delay_alu instid0(VALU_DEP_1)
	v_add_f32_e32 v10, v18, v12
                                        ; implicit-def: $vgpr12
	s_and_not1_saveexec_b32 s2, s4
	s_cbranch_execnz .LBB31_18
	s_branch .LBB31_19
.LBB31_17:
	s_and_not1_saveexec_b32 s2, s4
.LBB31_18:
	v_rndne_f32_e32 v9, v12
	s_delay_alu instid0(VALU_DEP_1) | instskip(SKIP_1) | instid1(VALU_DEP_2)
	v_fma_f32 v10, 0xbfc90fda, v9, |v1|
	v_cvt_i32_f32_e32 v11, v9
	v_fmamk_f32 v10, v9, 0xb3a22168, v10
	s_delay_alu instid0(VALU_DEP_1)
	v_fmamk_f32 v10, v9, 0xa7c234c4, v10
.LBB31_19:
	s_or_b32 exec_lo, exec_lo, s2
	v_mad_u32 v9, v3, s9, v2
	v_mul_lo_u32 v12, v4, s5
	s_load_b128 s[0:3], s[0:1], 0x0
	s_ashr_i32 s5, s17, 31
	s_mov_b32 s4, s17
	v_mad_u32 v2, v3, s16, v2
	s_lshl_b64 s[4:5], s[4:5], 2
	v_dual_lshlrev_b32 v11, 30, v11 :: v_dual_bitop2_b32 v3, 1, v11 bitop3:0x40
	s_delay_alu instid0(VALU_DEP_4) | instskip(NEXT) | instid1(VALU_DEP_4)
	v_mad_u32 v9, v4, s8, v9
	v_sub_nc_u32_e32 v5, v5, v12
	s_delay_alu instid0(VALU_DEP_3) | instskip(SKIP_1) | instid1(VALU_DEP_3)
	v_and_b32_e32 v11, 0x80000000, v11
	v_mad_u32 v2, v4, s11, v2
	v_mad_u32 v12, v5, s7, v9
	s_delay_alu instid0(VALU_DEP_1) | instskip(SKIP_1) | instid1(VALU_DEP_1)
	v_ashrrev_i32_e32 v13, 31, v12
	s_wait_kmcnt 0x0
	v_lshl_add_u64 v[14:15], v[12:13], 2, s[0:1]
	s_delay_alu instid0(VALU_DEP_1)
	v_add_nc_u64_e32 v[14:15], s[4:5], v[14:15]
	s_clause 0x1
	global_load_b32 v9, v[14:15], off
	global_load_b32 v13, v12, s[0:1] scale_offset
	s_wait_xcnt 0x0
	v_dual_mul_f32 v12, v7, v7 :: v_dual_bitop2_b32 v14, 1, v8 bitop3:0x40
	v_dual_mul_f32 v15, v10, v10 :: v_dual_lshlrev_b32 v8, 30, v8
	s_mov_b32 s0, 0xb94c1982
	s_mov_b32 s1, 0x37d75334
	s_delay_alu instid0(VALU_DEP_2) | instskip(SKIP_3) | instid1(VALU_DEP_3)
	v_cmp_eq_u32_e32 vcc_lo, 0, v14
	v_fmaak_f32 v17, s1, v12, 0xbab64f3b
	v_fmaak_f32 v18, s0, v15, 0x3c0881c4
	v_xor_b32_e32 v20, v0, v1
	v_fmaak_f32 v17, v12, v17, 0x3d2aabf7
	s_delay_alu instid0(VALU_DEP_3) | instskip(SKIP_1) | instid1(VALU_DEP_1)
	v_fmaak_f32 v18, v15, v18, 0xbe2aaa9d
	v_fmaak_f32 v16, s0, v12, 0x3c0881c4
	;; [unrolled: 1-line block ×3, first 2 shown]
	s_delay_alu instid0(VALU_DEP_1) | instskip(NEXT) | instid1(VALU_DEP_4)
	v_dual_fmaak_f32 v19, s1, v15, 0xbab64f3b :: v_dual_mul_f32 v0, v12, v16
	v_dual_fmaak_f32 v16, v12, v17, 0xbf000004 :: v_dual_mul_f32 v17, v15, v18
	s_delay_alu instid0(VALU_DEP_2) | instskip(NEXT) | instid1(VALU_DEP_3)
	v_fmaak_f32 v19, v15, v19, 0x3d2aabf7
	v_fmac_f32_e32 v7, v7, v0
	s_delay_alu instid0(VALU_DEP_3) | instskip(NEXT) | instid1(VALU_DEP_1)
	v_fma_f32 v0, v12, v16, 1.0
	v_dual_fmac_f32 v10, v10, v17 :: v_dual_cndmask_b32 v7, -v7, v0, vcc_lo
	v_cmp_eq_u32_e32 vcc_lo, 0, v3
	v_fmaak_f32 v18, v15, v19, 0xbf000004
	v_mad_u32 v0, v5, s10, v2
	s_delay_alu instid0(VALU_DEP_4) | instskip(NEXT) | instid1(VALU_DEP_3)
	v_bitop3_b32 v2, v8, v7, 0x80000000 bitop3:0x6c
	v_fma_f32 v4, v15, v18, 1.0
	s_delay_alu instid0(VALU_DEP_1) | instskip(SKIP_2) | instid1(VALU_DEP_3)
	v_cndmask_b32_e32 v3, v4, v10, vcc_lo
	v_cmp_class_f32_e64 vcc_lo, v1, 0x1f8
	v_ashrrev_i32_e32 v1, 31, v0
	v_xor3_b32 v3, v20, v11, v3
	v_cndmask_b32_e32 v4, 0x7fc00000, v2, vcc_lo
	s_delay_alu instid0(VALU_DEP_2) | instskip(NEXT) | instid1(VALU_DEP_1)
	v_cndmask_b32_e32 v2, 0x7fc00000, v3, vcc_lo
	v_mul_f32_e64 v5, v2, -v6
	v_lshl_add_u64 v[2:3], v[0:1], 2, s[2:3]
	s_delay_alu instid0(VALU_DEP_4) | instskip(NEXT) | instid1(VALU_DEP_2)
	v_mul_f32_e32 v1, v6, v4
	v_add_nc_u64_e32 v[2:3], s[4:5], v[2:3]
	s_wait_loadcnt 0x1
	v_mul_f32_e32 v4, v9, v5
	s_wait_loadcnt 0x0
	s_delay_alu instid0(VALU_DEP_1) | instskip(SKIP_1) | instid1(VALU_DEP_1)
	v_fma_f32 v4, v1, v13, -v4
	v_mul_f32_e32 v5, v13, v5
	v_fmac_f32_e32 v5, v1, v9
	s_clause 0x1
	global_store_b32 v0, v4, s[2:3] scale_offset
	global_store_b32 v[2:3], v5, off
.LBB31_20:
	s_endpgm
	.section	.rodata,"a",@progbits
	.p2align	6, 0x0
	.amdhsa_kernel _ZL11rope_visionILb0ELb1EfEvPKT1_PS0_iiiiiiiiiiPKifff14rope_corr_dimsfPKf14mrope_sections
		.amdhsa_group_segment_fixed_size 0
		.amdhsa_private_segment_fixed_size 0
		.amdhsa_kernarg_size 368
		.amdhsa_user_sgpr_count 2
		.amdhsa_user_sgpr_dispatch_ptr 0
		.amdhsa_user_sgpr_queue_ptr 0
		.amdhsa_user_sgpr_kernarg_segment_ptr 1
		.amdhsa_user_sgpr_dispatch_id 0
		.amdhsa_user_sgpr_kernarg_preload_length 0
		.amdhsa_user_sgpr_kernarg_preload_offset 0
		.amdhsa_user_sgpr_private_segment_size 0
		.amdhsa_wavefront_size32 1
		.amdhsa_uses_dynamic_stack 0
		.amdhsa_enable_private_segment 0
		.amdhsa_system_sgpr_workgroup_id_x 1
		.amdhsa_system_sgpr_workgroup_id_y 1
		.amdhsa_system_sgpr_workgroup_id_z 0
		.amdhsa_system_sgpr_workgroup_info 0
		.amdhsa_system_vgpr_workitem_id 1
		.amdhsa_next_free_vgpr 26
		.amdhsa_next_free_sgpr 21
		.amdhsa_named_barrier_count 0
		.amdhsa_reserve_vcc 1
		.amdhsa_float_round_mode_32 0
		.amdhsa_float_round_mode_16_64 0
		.amdhsa_float_denorm_mode_32 3
		.amdhsa_float_denorm_mode_16_64 3
		.amdhsa_fp16_overflow 0
		.amdhsa_memory_ordered 1
		.amdhsa_forward_progress 1
		.amdhsa_inst_pref_size 38
		.amdhsa_round_robin_scheduling 0
		.amdhsa_exception_fp_ieee_invalid_op 0
		.amdhsa_exception_fp_denorm_src 0
		.amdhsa_exception_fp_ieee_div_zero 0
		.amdhsa_exception_fp_ieee_overflow 0
		.amdhsa_exception_fp_ieee_underflow 0
		.amdhsa_exception_fp_ieee_inexact 0
		.amdhsa_exception_int_div_zero 0
	.end_amdhsa_kernel
	.section	.text._ZL11rope_visionILb0ELb1EfEvPKT1_PS0_iiiiiiiiiiPKifff14rope_corr_dimsfPKf14mrope_sections,"axG",@progbits,_ZL11rope_visionILb0ELb1EfEvPKT1_PS0_iiiiiiiiiiPKifff14rope_corr_dimsfPKf14mrope_sections,comdat
.Lfunc_end31:
	.size	_ZL11rope_visionILb0ELb1EfEvPKT1_PS0_iiiiiiiiiiPKifff14rope_corr_dimsfPKf14mrope_sections, .Lfunc_end31-_ZL11rope_visionILb0ELb1EfEvPKT1_PS0_iiiiiiiiiiPKifff14rope_corr_dimsfPKf14mrope_sections
                                        ; -- End function
	.set _ZL11rope_visionILb0ELb1EfEvPKT1_PS0_iiiiiiiiiiPKifff14rope_corr_dimsfPKf14mrope_sections.num_vgpr, 26
	.set _ZL11rope_visionILb0ELb1EfEvPKT1_PS0_iiiiiiiiiiPKifff14rope_corr_dimsfPKf14mrope_sections.num_agpr, 0
	.set _ZL11rope_visionILb0ELb1EfEvPKT1_PS0_iiiiiiiiiiPKifff14rope_corr_dimsfPKf14mrope_sections.numbered_sgpr, 21
	.set _ZL11rope_visionILb0ELb1EfEvPKT1_PS0_iiiiiiiiiiPKifff14rope_corr_dimsfPKf14mrope_sections.num_named_barrier, 0
	.set _ZL11rope_visionILb0ELb1EfEvPKT1_PS0_iiiiiiiiiiPKifff14rope_corr_dimsfPKf14mrope_sections.private_seg_size, 0
	.set _ZL11rope_visionILb0ELb1EfEvPKT1_PS0_iiiiiiiiiiPKifff14rope_corr_dimsfPKf14mrope_sections.uses_vcc, 1
	.set _ZL11rope_visionILb0ELb1EfEvPKT1_PS0_iiiiiiiiiiPKifff14rope_corr_dimsfPKf14mrope_sections.uses_flat_scratch, 0
	.set _ZL11rope_visionILb0ELb1EfEvPKT1_PS0_iiiiiiiiiiPKifff14rope_corr_dimsfPKf14mrope_sections.has_dyn_sized_stack, 0
	.set _ZL11rope_visionILb0ELb1EfEvPKT1_PS0_iiiiiiiiiiPKifff14rope_corr_dimsfPKf14mrope_sections.has_recursion, 0
	.set _ZL11rope_visionILb0ELb1EfEvPKT1_PS0_iiiiiiiiiiPKifff14rope_corr_dimsfPKf14mrope_sections.has_indirect_call, 0
	.section	.AMDGPU.csdata,"",@progbits
; Kernel info:
; codeLenInByte = 4764
; TotalNumSgprs: 23
; NumVgprs: 26
; ScratchSize: 0
; MemoryBound: 0
; FloatMode: 240
; IeeeMode: 1
; LDSByteSize: 0 bytes/workgroup (compile time only)
; SGPRBlocks: 0
; VGPRBlocks: 1
; NumSGPRsForWavesPerEU: 23
; NumVGPRsForWavesPerEU: 26
; NamedBarCnt: 0
; Occupancy: 16
; WaveLimiterHint : 0
; COMPUTE_PGM_RSRC2:SCRATCH_EN: 0
; COMPUTE_PGM_RSRC2:USER_SGPR: 2
; COMPUTE_PGM_RSRC2:TRAP_HANDLER: 0
; COMPUTE_PGM_RSRC2:TGID_X_EN: 1
; COMPUTE_PGM_RSRC2:TGID_Y_EN: 1
; COMPUTE_PGM_RSRC2:TGID_Z_EN: 0
; COMPUTE_PGM_RSRC2:TIDIG_COMP_CNT: 1
	.section	.text._ZL11rope_visionILb0ELb0E6__halfEvPKT1_PS1_iiiiiiiiiiPKifff14rope_corr_dimsfPKf14mrope_sections,"axG",@progbits,_ZL11rope_visionILb0ELb0E6__halfEvPKT1_PS1_iiiiiiiiiiPKifff14rope_corr_dimsfPKf14mrope_sections,comdat
	.globl	_ZL11rope_visionILb0ELb0E6__halfEvPKT1_PS1_iiiiiiiiiiPKifff14rope_corr_dimsfPKf14mrope_sections ; -- Begin function _ZL11rope_visionILb0ELb0E6__halfEvPKT1_PS1_iiiiiiiiiiPKifff14rope_corr_dimsfPKf14mrope_sections
	.p2align	8
	.type	_ZL11rope_visionILb0ELb0E6__halfEvPKT1_PS1_iiiiiiiiiiPKifff14rope_corr_dimsfPKf14mrope_sections,@function
_ZL11rope_visionILb0ELb0E6__halfEvPKT1_PS1_iiiiiiiiiiPKifff14rope_corr_dimsfPKf14mrope_sections: ; @_ZL11rope_visionILb0ELb0E6__halfEvPKT1_PS1_iiiiiiiiiiPKifff14rope_corr_dimsfPKf14mrope_sections
; %bb.0:
	s_clause 0x1
	s_load_u16 s3, s[0:1], 0x7e
	s_load_b256 s[4:11], s[0:1], 0x10
	s_bfe_u32 s2, ttmp6, 0x40010
	s_bfe_u32 s13, ttmp6, 0x40004
	s_add_co_i32 s2, s2, 1
	v_bfe_u32 v1, v0, 10, 10
	s_mul_i32 s12, ttmp7, s2
	s_getreg_b32 s2, hwreg(HW_REG_IB_STS2, 6, 4)
	s_add_co_i32 s13, s13, s12
	s_cmp_eq_u32 s2, 0
	s_cselect_b32 s12, ttmp7, s13
	s_wait_kmcnt 0x0
	s_mul_i32 s12, s12, s3
	s_mov_b32 s3, exec_lo
	v_add_lshl_u32 v2, s12, v1, 1
	s_delay_alu instid0(VALU_DEP_1)
	v_cmpx_gt_i32_e64 s4, v2
	s_cbranch_execz .LBB32_20
; %bb.1:
	s_add_nc_u64 s[12:13], s[0:1], 0x70
	s_bfe_u32 s4, ttmp6, 0x4000c
	s_load_b32 s3, s[12:13], 0xc
	s_add_co_i32 s4, s4, 1
	s_wait_xcnt 0x0
	s_and_b32 s12, ttmp6, 15
	s_mul_i32 s4, ttmp9, s4
	v_and_b32_e32 v0, 0x3ff, v0
	s_add_co_i32 s12, s12, s4
	s_mul_i32 s4, s6, s5
	s_wait_kmcnt 0x0
	s_and_b32 s3, s3, 0xffff
	s_cmp_eq_u32 s2, 0
	s_cselect_b32 s2, ttmp9, s12
	s_abs_i32 s12, s4
	v_mad_u32 v3, s2, s3, v0
	s_cvt_f32_u32 s13, s12
	s_delay_alu instid0(SALU_CYCLE_3) | instskip(NEXT) | instid1(VALU_DEP_1)
	v_rcp_iflag_f32_e32 v1, s13
	v_sub_nc_u32_e32 v0, 0, v3
	s_delay_alu instid0(TRANS32_DEP_1) | instskip(NEXT) | instid1(VALU_DEP_2)
	v_readfirstlane_b32 s2, v1
	v_max_i32_e32 v0, v3, v0
	s_mul_f32 s2, s2, 0x4f7ffffe
	s_delay_alu instid0(SALU_CYCLE_3) | instskip(SKIP_1) | instid1(SALU_CYCLE_2)
	s_cvt_u32_f32 s13, s2
	s_sub_co_i32 s2, 0, s12
	s_mul_i32 s2, s2, s13
	s_delay_alu instid0(SALU_CYCLE_1) | instskip(SKIP_2) | instid1(SALU_CYCLE_1)
	s_mul_hi_u32 s14, s13, s2
	s_load_b64 s[2:3], s[0:1], 0x60
	s_add_co_i32 s13, s13, s14
	v_mul_hi_u32 v1, v0, s13
	s_delay_alu instid0(VALU_DEP_1) | instskip(SKIP_2) | instid1(SALU_CYCLE_1)
	v_mul_lo_u32 v4, v1, s12
	s_wait_kmcnt 0x0
	s_add_co_i32 s3, s3, s2
	s_abs_i32 s20, s3
	s_delay_alu instid0(SALU_CYCLE_1) | instskip(NEXT) | instid1(VALU_DEP_1)
	s_cvt_f32_u32 s13, s20
	v_dual_sub_nc_u32 v0, v0, v4 :: v_dual_add_nc_u32 v4, 1, v1
	s_delay_alu instid0(SALU_CYCLE_2) | instskip(SKIP_1) | instid1(VALU_DEP_1)
	v_rcp_iflag_f32_e32 v5, s13
	s_cvt_f32_u32 s13, s5
	v_cmp_le_u32_e32 vcc_lo, s12, v0
	s_delay_alu instid0(TRANS32_DEP_1) | instskip(SKIP_4) | instid1(VALU_DEP_2)
	v_readfirstlane_b32 s14, v5
	v_cndmask_b32_e32 v1, v1, v4, vcc_lo
	v_subrev_nc_u32_e32 v6, s12, v0
	v_xor_b32_e32 v4, s4, v3
	s_mul_f32 s14, s14, 0x4f7ffffe
	v_dual_cndmask_b32 v5, v0, v6 :: v_dual_add_nc_u32 v6, 1, v1
	s_delay_alu instid0(VALU_DEP_2) | instskip(NEXT) | instid1(VALU_DEP_2)
	v_dual_ashrrev_i32 v0, 1, v2 :: v_dual_ashrrev_i32 v4, 31, v4
	v_cmp_le_u32_e32 vcc_lo, s12, v5
	v_rcp_iflag_f32_e32 v5, s13
	s_cvt_u32_f32 s12, s14
	s_sub_co_i32 s13, 0, s20
	v_dual_cndmask_b32 v1, v1, v6 :: v_dual_sub_nc_u32 v6, 0, v0
	s_delay_alu instid0(SALU_CYCLE_1) | instskip(NEXT) | instid1(TRANS32_DEP_1)
	s_mul_i32 s13, s13, s12
	v_readfirstlane_b32 s14, v5
	s_mul_hi_u32 s13, s12, s13
	v_xor_b32_e32 v1, v1, v4
	v_max_i32_e32 v6, v0, v6
	s_add_co_i32 s12, s12, s13
	s_delay_alu instid0(VALU_DEP_2) | instskip(NEXT) | instid1(VALU_DEP_2)
	v_sub_nc_u32_e32 v1, v1, v4
	v_mul_hi_u32 v4, v6, s12
	s_sub_co_i32 s12, 0, s5
	s_delay_alu instid0(VALU_DEP_2) | instskip(SKIP_1) | instid1(SALU_CYCLE_3)
	v_mul_lo_u32 v5, s4, v1
	s_mul_f32 s4, s14, 0x4f7ffffe
	s_cvt_u32_f32 s4, s4
	s_delay_alu instid0(VALU_DEP_2) | instskip(NEXT) | instid1(SALU_CYCLE_2)
	v_mul_lo_u32 v4, v4, s20
	s_mul_i32 s12, s12, s4
	s_delay_alu instid0(VALU_DEP_2) | instskip(SKIP_1) | instid1(SALU_CYCLE_1)
	v_sub_nc_u32_e32 v3, v3, v5
	s_mul_hi_u32 s12, s4, s12
	s_add_co_i32 s4, s4, s12
	s_clause 0x2
	s_load_b64 s[18:19], s[0:1], 0x50
	s_load_b64 s[16:17], s[0:1], 0x30
	s_load_b128 s[12:15], s[0:1], 0x40
	v_mul_hi_u32 v5, v3, s4
	s_mov_b32 s4, exec_lo
	s_delay_alu instid0(VALU_DEP_1) | instskip(SKIP_1) | instid1(VALU_DEP_2)
	v_mul_lo_u32 v7, v5, s5
	v_dual_sub_nc_u32 v4, v6, v4 :: v_dual_add_nc_u32 v8, 1, v5
	v_sub_nc_u32_e32 v7, v3, v7
	s_delay_alu instid0(VALU_DEP_2) | instskip(SKIP_1) | instid1(VALU_DEP_2)
	v_subrev_nc_u32_e32 v6, s20, v4
	v_cmp_le_u32_e32 vcc_lo, s20, v4
	v_cndmask_b32_e32 v4, v4, v6, vcc_lo
	s_delay_alu instid0(VALU_DEP_1) | instskip(SKIP_2) | instid1(VALU_DEP_2)
	v_subrev_nc_u32_e32 v6, s20, v4
	v_cmp_le_u32_e32 vcc_lo, s20, v4
	s_mov_b32 s20, -1
	v_cndmask_b32_e32 v4, v4, v6, vcc_lo
	v_subrev_nc_u32_e32 v6, s5, v7
	v_cmp_le_u32_e32 vcc_lo, s5, v7
	v_dual_cndmask_b32 v5, v5, v8 :: v_dual_ashrrev_i32 v2, 31, v2
	s_delay_alu instid0(VALU_DEP_3) | instskip(NEXT) | instid1(VALU_DEP_2)
	v_cndmask_b32_e32 v6, v7, v6, vcc_lo
	v_dual_add_nc_u32 v7, 1, v5 :: v_dual_bitop2_b32 v4, v4, v2 bitop3:0x14
	s_delay_alu instid0(VALU_DEP_2) | instskip(NEXT) | instid1(VALU_DEP_2)
	v_cmp_le_u32_e32 vcc_lo, s5, v6
	v_dual_sub_nc_u32 v4, v4, v2 :: v_dual_cndmask_b32 v2, v5, v7, vcc_lo
	s_delay_alu instid0(VALU_DEP_1) | instskip(NEXT) | instid1(VALU_DEP_2)
	v_mov_b32_e32 v6, v2
	v_cmpx_le_i32_e64 s2, v4
	s_cbranch_execz .LBB32_4
; %bb.2:
	s_cmp_gt_i32 s3, -1
	s_mov_b32 s3, -1
	s_cbranch_scc0 .LBB32_7
; %bb.3:
	v_subrev_nc_u32_e32 v4, s2, v4
	v_add_nc_u32_e32 v6, s6, v2
	s_branch .LBB32_8
.LBB32_4:
	s_or_b32 exec_lo, exec_lo, s4
	v_mov_b32_e32 v7, 0
	s_and_saveexec_b32 s6, s20
	s_cbranch_execz .LBB32_9
.LBB32_5:
	s_wait_kmcnt 0x0
	s_cmp_neq_f32 s19, 1.0
	v_cvt_f32_i32_e32 v4, v4
	s_load_b64 s[2:3], s[0:1], 0x38
	s_mov_b32 s4, 0x3e76c4e1
	s_cselect_b32 vcc_lo, -1, 0
	s_delay_alu instid0(VALU_DEP_1) | instskip(NEXT) | instid1(VALU_DEP_1)
	v_cndmask_b32_e32 v5, 1.0, v4, vcc_lo
	v_cmp_neq_f32_e32 vcc_lo, 0, v5
	v_cndmask_b32_e64 v4, 1.0, s19, vcc_lo
	s_delay_alu instid0(VALU_DEP_1) | instskip(SKIP_4) | instid1(VALU_DEP_1)
	v_frexp_mant_f32_e64 v7, |v4|
	s_wait_kmcnt 0x0
	global_load_b32 v22, v6, s[2:3] scale_offset
	v_cmp_gt_f32_e32 vcc_lo, 0x3f2aaaab, v7
	v_cndmask_b32_e64 v8, 1.0, 2.0, vcc_lo
	v_mul_f32_e32 v7, v7, v8
	s_delay_alu instid0(VALU_DEP_1) | instskip(NEXT) | instid1(VALU_DEP_1)
	v_dual_add_f32 v8, 1.0, v7 :: v_dual_add_f32 v9, -1.0, v7
	v_add_f32_e32 v11, -1.0, v8
	v_rcp_f32_e32 v14, v8
	v_nop
	s_delay_alu instid0(TRANS32_DEP_1) | instskip(NEXT) | instid1(VALU_DEP_1)
	v_mul_f32_e32 v15, v9, v14
	v_mul_f32_e32 v10, v8, v15
	v_sub_f32_e32 v7, v7, v11
	s_delay_alu instid0(VALU_DEP_2) | instskip(NEXT) | instid1(VALU_DEP_1)
	v_fma_f32 v12, v15, v8, -v10
	v_fmac_f32_e32 v12, v15, v7
	s_delay_alu instid0(VALU_DEP_1) | instskip(NEXT) | instid1(VALU_DEP_1)
	v_add_f32_e32 v8, v10, v12
	v_dual_sub_f32 v11, v9, v8 :: v_dual_mov_b32 v13, v8
	s_delay_alu instid0(VALU_DEP_1) | instskip(NEXT) | instid1(VALU_DEP_1)
	v_pk_add_f32 v[8:9], v[8:9], v[10:11] neg_lo:[0,1] neg_hi:[0,1]
	v_pk_add_f32 v[8:9], v[8:9], v[12:13] neg_lo:[0,1] neg_hi:[0,1]
	v_cvt_f64_f32_e64 v[12:13], |v4|
	s_delay_alu instid0(VALU_DEP_2) | instskip(NEXT) | instid1(VALU_DEP_1)
	v_add_f32_e32 v7, v8, v9
	v_add_f32_e32 v7, v11, v7
	s_delay_alu instid0(VALU_DEP_1) | instskip(NEXT) | instid1(VALU_DEP_1)
	v_mul_f32_e32 v7, v14, v7
	v_add_f32_e32 v8, v15, v7
	s_delay_alu instid0(VALU_DEP_1) | instskip(NEXT) | instid1(VALU_DEP_1)
	v_sub_f32_e32 v9, v8, v15
	v_sub_f32_e32 v18, v7, v9
	v_frexp_exp_i32_f64_e32 v17, v[12:13]
	s_delay_alu instid0(VALU_DEP_2) | instskip(NEXT) | instid1(VALU_DEP_1)
	v_dual_add_f32 v9, v18, v18 :: v_dual_mul_f32 v11, v8, v8
	v_fma_f32 v7, v8, v8, -v11
	s_delay_alu instid0(VALU_DEP_1) | instskip(NEXT) | instid1(VALU_DEP_1)
	v_fmac_f32_e32 v7, v8, v9
	v_add_f32_e32 v10, v11, v7
	s_delay_alu instid0(VALU_DEP_1) | instskip(SKIP_2) | instid1(VALU_DEP_2)
	v_sub_f32_e32 v11, v10, v11
	v_fmaak_f32 v9, s4, v10, 0x3e91f4c4
	v_cmp_eq_f32_e64 s4, 0, v4
	v_dual_sub_f32 v16, v7, v11 :: v_dual_fmaak_f32 v9, v10, v9, 0x3ecccdef
	s_delay_alu instid0(VALU_DEP_1) | instskip(SKIP_1) | instid1(VALU_DEP_1)
	v_mul_f32_e32 v14, v10, v9
	s_wait_xcnt 0x0
	v_fma_f32 v6, v10, v9, -v14
	s_delay_alu instid0(VALU_DEP_1) | instskip(NEXT) | instid1(VALU_DEP_1)
	v_fmac_f32_e32 v6, v16, v9
	v_add_f32_e32 v11, v14, v6
	s_delay_alu instid0(VALU_DEP_1) | instskip(NEXT) | instid1(VALU_DEP_1)
	v_sub_f32_e32 v9, v11, v14
	v_dual_add_f32 v7, 0x3f2aaaaa, v11 :: v_dual_sub_f32 v6, v6, v9
	s_delay_alu instid0(VALU_DEP_1) | instskip(NEXT) | instid1(VALU_DEP_2)
	v_add_f32_e32 v14, 0xbf2aaaaa, v7
	v_add_f32_e32 v9, 0x31739010, v6
	s_delay_alu instid0(VALU_DEP_2) | instskip(NEXT) | instid1(VALU_DEP_1)
	v_sub_f32_e32 v11, v11, v14
	v_pk_mul_f32 v[12:13], v[8:9], v[10:11]
	s_delay_alu instid0(VALU_DEP_1) | instskip(NEXT) | instid1(VALU_DEP_1)
	v_fma_f32 v6, v10, v8, -v12
	v_fmac_f32_e32 v6, v10, v18
	s_delay_alu instid0(VALU_DEP_1) | instskip(SKIP_2) | instid1(VALU_DEP_2)
	v_fmac_f32_e32 v6, v16, v8
	v_pk_add_f32 v[14:15], v[8:9], v[10:11]
	v_subrev_co_ci_u32_e64 v9, null, 0, v17, vcc_lo
	v_mov_b32_e32 v13, v15
	s_delay_alu instid0(VALU_DEP_2) | instskip(NEXT) | instid1(VALU_DEP_2)
	v_cvt_f32_i32_e32 v9, v9
	v_pk_add_f32 v[10:11], v[12:13], v[6:7]
	s_delay_alu instid0(VALU_DEP_1) | instskip(NEXT) | instid1(VALU_DEP_1)
	v_dual_mov_b32 v14, v11 :: v_dual_sub_f32 v13, v10, v12
	v_pk_mul_f32 v[16:17], v[10:11], v[14:15]
	s_delay_alu instid0(VALU_DEP_4) | instskip(NEXT) | instid1(VALU_DEP_3)
	v_dual_sub_f32 v7, v7, v11 :: v_dual_mul_f32 v14, 0x3f317218, v9
	v_sub_f32_e32 v6, v6, v13
	s_delay_alu instid0(VALU_DEP_3) | instskip(NEXT) | instid1(VALU_DEP_3)
	v_fma_f32 v12, v10, v11, -v16
	v_add_f32_e32 v7, v15, v7
	s_delay_alu instid0(VALU_DEP_1) | instskip(SKIP_1) | instid1(VALU_DEP_2)
	v_fmac_f32_e32 v12, v10, v7
	v_fma_f32 v7, 0x3f317218, v9, -v14
	v_fmac_f32_e32 v12, v6, v11
	s_delay_alu instid0(VALU_DEP_2) | instskip(SKIP_1) | instid1(VALU_DEP_1)
	v_fmamk_f32 v6, v9, 0xb102e308, v7
	v_ldexp_f32 v7, v8, 1
	v_dual_add_f32 v15, v16, v12 :: v_dual_mov_b32 v17, v7
	s_delay_alu instid0(VALU_DEP_1) | instskip(SKIP_2) | instid1(VALU_DEP_3)
	v_pk_add_f32 v[8:9], v[14:15], v[6:7]
	v_dual_mov_b32 v10, v15 :: v_dual_mov_b32 v13, v15
	v_ldexp_f32 v7, v18, 1
	v_dual_mov_b32 v11, v9 :: v_dual_mov_b32 v20, v9
	s_delay_alu instid0(VALU_DEP_1) | instskip(NEXT) | instid1(VALU_DEP_1)
	v_pk_add_f32 v[10:11], v[10:11], v[16:17] neg_lo:[0,1] neg_hi:[0,1]
	v_pk_add_f32 v[10:11], v[12:13], v[10:11] neg_lo:[0,1] neg_hi:[0,1]
	s_delay_alu instid0(VALU_DEP_1) | instskip(NEXT) | instid1(VALU_DEP_1)
	v_add_f32_e32 v7, v7, v10
	v_dual_add_f32 v15, v7, v11 :: v_dual_mov_b32 v7, v8
	s_delay_alu instid0(VALU_DEP_1) | instskip(SKIP_1) | instid1(VALU_DEP_2)
	v_pk_add_f32 v[10:11], v[8:9], v[14:15]
	v_pk_add_f32 v[12:13], v[8:9], v[14:15] neg_lo:[0,1] neg_hi:[0,1]
	v_mov_b32_e32 v13, v11
	s_delay_alu instid0(VALU_DEP_1) | instskip(SKIP_2) | instid1(VALU_DEP_3)
	v_pk_add_f32 v[16:17], v[6:7], v[12:13]
	v_mov_b32_e32 v16, v11
	v_pk_add_f32 v[6:7], v[6:7], v[12:13] neg_lo:[0,1] neg_hi:[0,1]
	v_mov_b32_e32 v14, v17
	s_delay_alu instid0(VALU_DEP_1) | instskip(SKIP_1) | instid1(VALU_DEP_2)
	v_pk_add_f32 v[18:19], v[14:15], v[8:9] neg_lo:[0,1] neg_hi:[0,1]
	v_dual_mov_b32 v9, v8 :: v_dual_mov_b32 v8, v15
	v_dual_mov_b32 v15, v18 :: v_dual_mov_b32 v21, v18
	s_delay_alu instid0(VALU_DEP_1) | instskip(NEXT) | instid1(VALU_DEP_2)
	v_pk_add_f32 v[10:11], v[10:11], v[14:15] neg_lo:[0,1] neg_hi:[0,1]
	v_pk_add_f32 v[12:13], v[16:17], v[20:21] neg_lo:[0,1] neg_hi:[0,1]
	v_mov_b32_e32 v10, v6
	s_delay_alu instid0(VALU_DEP_2) | instskip(NEXT) | instid1(VALU_DEP_1)
	v_pk_add_f32 v[8:9], v[8:9], v[12:13] neg_lo:[0,1] neg_hi:[0,1]
	v_pk_add_f32 v[10:11], v[10:11], v[8:9]
	s_delay_alu instid0(VALU_DEP_1) | instskip(NEXT) | instid1(VALU_DEP_1)
	v_mov_b32_e32 v12, v11
	v_pk_add_f32 v[12:13], v[10:11], v[12:13]
	s_delay_alu instid0(VALU_DEP_1) | instskip(NEXT) | instid1(VALU_DEP_1)
	v_pk_add_f32 v[14:15], v[14:15], v[12:13]
	v_dual_mov_b32 v7, v17 :: v_dual_mov_b32 v11, v14
	s_delay_alu instid0(VALU_DEP_1) | instskip(NEXT) | instid1(VALU_DEP_1)
	v_pk_add_f32 v[16:17], v[10:11], v[6:7] neg_lo:[0,1] neg_hi:[0,1]
	v_dual_mov_b32 v9, v12 :: v_dual_sub_f32 v7, v10, v16
	s_delay_alu instid0(VALU_DEP_1) | instskip(NEXT) | instid1(VALU_DEP_2)
	v_pk_add_f32 v[8:9], v[8:9], v[16:17] neg_lo:[0,1] neg_hi:[0,1]
	v_sub_f32_e32 v6, v6, v7
	s_delay_alu instid0(VALU_DEP_1) | instskip(NEXT) | instid1(VALU_DEP_1)
	v_add_f32_e32 v6, v8, v6
	v_add_f32_e32 v6, v6, v9
	s_delay_alu instid0(VALU_DEP_1) | instskip(NEXT) | instid1(VALU_DEP_1)
	v_add_f32_e32 v7, v14, v6
	v_dual_sub_f32 v8, v7, v14 :: v_dual_mul_f32 v9, v5, v7
	s_delay_alu instid0(VALU_DEP_1) | instskip(SKIP_1) | instid1(VALU_DEP_2)
	v_dual_fma_f32 v7, v5, v7, -v9 :: v_dual_sub_f32 v6, v6, v8
	v_cmp_class_f32_e64 vcc_lo, v9, 0x204
	v_fmac_f32_e32 v7, v5, v6
	s_delay_alu instid0(VALU_DEP_1) | instskip(NEXT) | instid1(VALU_DEP_1)
	v_add_f32_e32 v6, v9, v7
	v_cndmask_b32_e32 v8, v6, v9, vcc_lo
	s_delay_alu instid0(VALU_DEP_1) | instskip(SKIP_2) | instid1(VALU_DEP_2)
	v_cmp_eq_f32_e32 vcc_lo, 0x42b17218, v8
	v_cndmask_b32_e64 v10, 0, 0x37000000, vcc_lo
	v_cmp_neq_f32_e64 vcc_lo, 0x7f800000, |v8|
	v_sub_f32_e32 v11, v8, v10
	v_trunc_f32_e32 v8, v5
	s_delay_alu instid0(VALU_DEP_2) | instskip(NEXT) | instid1(VALU_DEP_1)
	v_mul_f32_e32 v12, 0x3fb8aa3b, v11
	v_fma_f32 v13, 0x3fb8aa3b, v11, -v12
	v_rndne_f32_e32 v14, v12
	s_delay_alu instid0(VALU_DEP_1) | instskip(SKIP_1) | instid1(VALU_DEP_1)
	v_dual_fmamk_f32 v13, v11, 0x32a5705f, v13 :: v_dual_sub_f32 v12, v12, v14
	v_sub_f32_e32 v6, v6, v9
	v_dual_add_f32 v12, v12, v13 :: v_dual_sub_f32 v6, v7, v6
	s_delay_alu instid0(VALU_DEP_1) | instskip(SKIP_2) | instid1(VALU_DEP_3)
	v_exp_f32_e32 v9, v12
	v_nop
	v_cvt_i32_f32_e32 v12, v14
	v_cndmask_b32_e32 v6, 0, v6, vcc_lo
	v_cmp_ngt_f32_e32 vcc_lo, 0xc2ce8ed0, v11
	s_delay_alu instid0(TRANS32_DEP_1) | instid1(VALU_DEP_3)
	v_ldexp_f32 v7, v9, v12
	s_delay_alu instid0(VALU_DEP_3) | instskip(NEXT) | instid1(VALU_DEP_2)
	v_dual_mul_f32 v9, 0.5, v5 :: v_dual_add_f32 v6, v10, v6
	v_cndmask_b32_e32 v7, 0, v7, vcc_lo
	s_delay_alu instid0(VALU_DEP_2) | instskip(SKIP_1) | instid1(VALU_DEP_2)
	v_trunc_f32_e32 v12, v9
	v_cmp_nlt_f32_e32 vcc_lo, 0x42b17218, v11
	v_cmp_neq_f32_e64 s2, v12, v9
	s_delay_alu instid0(VALU_DEP_4) | instskip(SKIP_1) | instid1(VALU_DEP_2)
	v_cndmask_b32_e32 v7, 0x7f800000, v7, vcc_lo
	v_cmp_eq_f32_e32 vcc_lo, v8, v5
	v_cmp_class_f32_e64 s3, v7, 0x204
	s_and_b32 s2, vcc_lo, s2
	s_delay_alu instid0(SALU_CYCLE_1) | instskip(NEXT) | instid1(VALU_DEP_1)
	v_dual_fma_f32 v6, v7, v6, v7 :: v_dual_cndmask_b32 v8, 1.0, v4, s2
	v_cndmask_b32_e64 v6, v6, v7, s3
	v_cmp_gt_f32_e64 s3, 0, v5
	s_delay_alu instid0(VALU_DEP_2)
	v_bfi_b32 v5, 0x7fffffff, v6, v8
	s_xor_b32 s3, s3, s4
	v_cndmask_b32_e64 v8, 0, v4, s2
	v_cndmask_b32_e64 v6, 0x7f800000, 0, s3
	v_cmp_class_f32_e64 s2, v4, 0x204
	v_cndmask_b32_e32 v7, 0x7fc00000, v5, vcc_lo
	v_cmp_gt_f32_e32 vcc_lo, 0, v4
	s_delay_alu instid0(VALU_DEP_4) | instskip(NEXT) | instid1(VALU_DEP_3)
	v_bfi_b32 v6, 0x7fffffff, v6, v8
	v_cndmask_b32_e32 v5, v5, v7, vcc_lo
	s_or_b32 vcc_lo, s4, s2
	s_delay_alu instid0(VALU_DEP_1) | instskip(SKIP_3) | instid1(VALU_DEP_3)
	v_cndmask_b32_e32 v5, v5, v6, vcc_lo
	v_cmp_o_f32_e32 vcc_lo, v4, v4
	s_wait_loadcnt 0x0
	v_cvt_f32_i32_e32 v6, v22
	v_cndmask_b32_e32 v4, 0x7fc00000, v5, vcc_lo
	s_delay_alu instid0(VALU_DEP_1) | instskip(SKIP_1) | instid1(VALU_DEP_1)
	v_mul_f32_e32 v7, v4, v6
	s_or_b32 exec_lo, exec_lo, s6
	v_mul_f32_e32 v4, s12, v7
	s_cmp_eq_f32 s13, 0
	s_cbranch_scc0 .LBB32_10
.LBB32_6:
	v_mov_b32_e32 v5, s14
	s_branch .LBB32_11
.LBB32_7:
	s_mov_b32 s3, 0
                                        ; implicit-def: $vgpr4
                                        ; implicit-def: $vgpr6
.LBB32_8:
	s_delay_alu instid0(SALU_CYCLE_1)
	s_or_not1_b32 s20, s3, exec_lo
	s_or_b32 exec_lo, exec_lo, s4
	v_mov_b32_e32 v7, 0
	s_and_saveexec_b32 s6, s20
	s_cbranch_execnz .LBB32_5
.LBB32_9:
	s_or_b32 exec_lo, exec_lo, s6
	s_wait_kmcnt 0x0
	v_mul_f32_e32 v4, s12, v7
	s_cmp_eq_f32 s13, 0
	s_cbranch_scc1 .LBB32_6
.LBB32_10:
	v_div_scale_f32 v8, null, s12, s12, 1.0
	v_cvt_f32_i32_e32 v5, v0
	s_sub_f32 s2, s18, s15
	s_delay_alu instid0(VALU_DEP_2)
	v_rcp_f32_e32 v10, v8
	v_nop
	v_xor_b32_e32 v8, 0x80000000, v8
	s_max_num_f32 s3, s2, 0x3a83126f
	s_delay_alu instid0(TRANS32_DEP_1) | instid1(VALU_DEP_1)
	v_fma_f32 v12, v8, v10, 1.0
	s_delay_alu instid0(VALU_DEP_1)
	v_dual_subrev_f32 v5, s15, v5 :: v_dual_fmac_f32 v10, v12, v10
	s_delay_alu instid0(VALU_DEP_1) | instid1(SALU_CYCLE_1)
	v_div_scale_f32 v6, null, s3, s3, v5
	v_div_scale_f32 v13, vcc_lo, v5, s3, v5
	s_delay_alu instid0(VALU_DEP_2) | instskip(SKIP_1) | instid1(TRANS32_DEP_1)
	v_rcp_f32_e32 v9, v6
	v_nop
	v_fma_f32 v11, -v6, v9, 1.0
	s_delay_alu instid0(VALU_DEP_1) | instskip(SKIP_1) | instid1(VALU_DEP_1)
	v_fmac_f32_e32 v9, v11, v9
	v_div_scale_f32 v11, s2, 1.0, s12, 1.0
	v_dual_mul_f32 v14, v11, v10 :: v_dual_mul_f32 v12, v13, v9
	s_delay_alu instid0(VALU_DEP_1) | instskip(NEXT) | instid1(VALU_DEP_1)
	v_dual_fma_f32 v16, v8, v14, v11 :: v_dual_fma_f32 v15, -v6, v12, v13
	v_dual_fmac_f32 v14, v16, v10 :: v_dual_fmac_f32 v12, v15, v9
	s_delay_alu instid0(VALU_DEP_1) | instskip(NEXT) | instid1(VALU_DEP_1)
	v_dual_fmac_f32 v11, v8, v14 :: v_dual_fma_f32 v6, -v6, v12, v13
	v_div_fmas_f32 v6, v6, v9, v12
	s_mov_b32 vcc_lo, s2
	s_delay_alu instid0(VALU_DEP_2) | instskip(NEXT) | instid1(VALU_DEP_2)
	v_div_fmas_f32 v8, v11, v10, v14
	v_div_fixup_f32 v5, v6, s3, v5 clamp
	s_delay_alu instid0(VALU_DEP_2) | instskip(NEXT) | instid1(VALU_DEP_2)
	v_div_fixup_f32 v8, v8, s12, 1.0
	v_sub_f32_e32 v5, 1.0, v5
	s_delay_alu instid0(VALU_DEP_2) | instskip(SKIP_2) | instid1(SALU_CYCLE_1)
	v_readfirstlane_b32 s2, v8
	s_cmp_lt_f32 s2, 0x800000
	s_cselect_b32 s2, 0x4f800000, 1.0
	v_mul_f32_e32 v8, s2, v8
	s_cselect_b32 s2, 0x41b17218, 0
	s_delay_alu instid0(VALU_DEP_1) | instskip(SKIP_1) | instid1(TRANS32_DEP_1)
	v_log_f32_e32 v8, v8
	v_nop
	v_mul_f32_e32 v9, 0x3f317217, v8
	v_and_b32_e32 v6, 0x7fffffff, v8
	s_delay_alu instid0(VALU_DEP_2) | instskip(NEXT) | instid1(VALU_DEP_2)
	v_xor_b32_e32 v9, 0x80000000, v9
	v_cmp_gt_f32_e32 vcc_lo, 0x7f800000, v6
	s_delay_alu instid0(VALU_DEP_2) | instskip(NEXT) | instid1(VALU_DEP_1)
	v_fmac_f32_e32 v9, 0x3f317217, v8
	v_fmamk_f32 v9, v8, 0x3377d1cf, v9
	s_delay_alu instid0(VALU_DEP_1) | instskip(NEXT) | instid1(VALU_DEP_1)
	v_fmac_f32_e32 v9, 0x3f317217, v8
	v_dual_cndmask_b32 v6, v8, v9 :: v_dual_mov_b32 v9, 1.0
	v_fma_f32 v8, -s13, v5, 1.0
	s_delay_alu instid0(VALU_DEP_2) | instskip(NEXT) | instid1(VALU_DEP_2)
	v_dual_subrev_f32 v6, s2, v6 :: v_dual_mul_f32 v5, s13, v5
	v_mul_f32_e32 v4, v8, v4
	s_delay_alu instid0(VALU_DEP_2) | instskip(NEXT) | instid1(VALU_DEP_1)
	v_fmamk_f32 v6, v6, 0x3dcccccd, v9
	v_dual_fmac_f32 v4, v5, v7 :: v_dual_mul_f32 v5, s14, v6
.LBB32_11:
	s_delay_alu instid0(VALU_DEP_1) | instskip(SKIP_1) | instid1(VALU_DEP_2)
	v_and_b32_e32 v6, 0x7fffffff, v4
	v_cmp_ngt_f32_e64 s4, 0x48000000, |v4|
                                        ; implicit-def: $vgpr8
                                        ; implicit-def: $vgpr7
	v_lshrrev_b32_e32 v9, 23, v6
	s_and_saveexec_b32 s2, s4
	s_delay_alu instid0(SALU_CYCLE_1)
	s_xor_b32 s6, exec_lo, s2
	s_cbranch_execz .LBB32_13
; %bb.12:
	s_mov_b32 s2, 0x7fffff
	v_mov_b32_e32 v11, 0
	v_and_or_b32 v10, v6, s2, 0x800000
	s_mov_b64 s[2:3], 0xfe5163ab
	v_add_nc_u32_e32 v7, 0xffffff88, v9
	s_delay_alu instid0(VALU_DEP_2) | instskip(NEXT) | instid1(VALU_DEP_2)
	v_mul_u64_e32 v[12:13], s[2:3], v[10:11]
	v_cmp_lt_u32_e32 vcc_lo, 63, v7
	v_cndmask_b32_e64 v8, 0, 0xffffffc0, vcc_lo
	s_delay_alu instid0(VALU_DEP_3) | instskip(SKIP_2) | instid1(VALU_DEP_3)
	v_dual_mov_b32 v14, v13 :: v_dual_mov_b32 v15, v11
	v_dual_mov_b32 v17, v11 :: v_dual_mov_b32 v19, v11
	;; [unrolled: 1-line block ×3, first 2 shown]
	v_mad_nc_u64_u32 v[14:15], 0x3c439041, v10, v[14:15]
	v_dual_add_nc_u32 v7, v8, v7 :: v_dual_mov_b32 v25, v11
	s_delay_alu instid0(VALU_DEP_1) | instskip(NEXT) | instid1(VALU_DEP_3)
	v_cmp_lt_u32_e64 s2, 31, v7
	v_mov_b32_e32 v16, v15
	s_delay_alu instid0(VALU_DEP_2) | instskip(NEXT) | instid1(VALU_DEP_2)
	v_cndmask_b32_e64 v8, 0, 0xffffffe0, s2
	v_mad_nc_u64_u32 v[16:17], 0xdb629599, v10, v[16:17]
	s_delay_alu instid0(VALU_DEP_2) | instskip(NEXT) | instid1(VALU_DEP_1)
	v_add_nc_u32_e32 v7, v8, v7
	v_cmp_lt_u32_e64 s3, 31, v7
	s_delay_alu instid0(VALU_DEP_3) | instskip(NEXT) | instid1(VALU_DEP_2)
	v_mov_b32_e32 v18, v17
	v_cndmask_b32_e64 v8, 0, 0xffffffe0, s3
	v_cndmask_b32_e32 v12, v16, v12, vcc_lo
	s_delay_alu instid0(VALU_DEP_3) | instskip(NEXT) | instid1(VALU_DEP_1)
	v_mad_nc_u64_u32 v[18:19], 0xf534ddc0, v10, v[18:19]
	v_dual_cndmask_b32 v8, v18, v14 :: v_dual_add_nc_u32 v7, v8, v7
	s_delay_alu instid0(VALU_DEP_2) | instskip(NEXT) | instid1(VALU_DEP_1)
	v_mov_b32_e32 v20, v19
	v_mad_nc_u64_u32 v[20:21], 0xfc2757d1, v10, v[20:21]
	s_delay_alu instid0(VALU_DEP_1) | instskip(NEXT) | instid1(VALU_DEP_1)
	v_dual_mov_b32 v22, v21 :: v_dual_cndmask_b32 v15, v20, v16
	v_mad_nc_u64_u32 v[22:23], 0x4e441529, v10, v[22:23]
	s_delay_alu instid0(VALU_DEP_1) | instskip(NEXT) | instid1(VALU_DEP_1)
	v_dual_mov_b32 v24, v23 :: v_dual_cndmask_b32 v13, v22, v18
	v_mad_nc_u64_u32 v[10:11], 0xa2f9836e, v10, v[24:25]
	s_delay_alu instid0(VALU_DEP_1) | instskip(SKIP_1) | instid1(VALU_DEP_2)
	v_dual_cndmask_b32 v10, v10, v20 :: v_dual_cndmask_b32 v11, v11, v22
	v_cmp_eq_u32_e32 vcc_lo, 0, v7
	v_dual_cndmask_b32 v14, v10, v13, s2 :: v_dual_cndmask_b32 v10, v11, v10, s2
	v_dual_cndmask_b32 v11, v13, v15, s2 :: v_dual_cndmask_b32 v15, v15, v8, s2
	v_dual_sub_nc_u32 v13, 32, v7 :: v_dual_cndmask_b32 v8, v8, v12, s2
	s_delay_alu instid0(VALU_DEP_3) | instskip(NEXT) | instid1(VALU_DEP_2)
	v_cndmask_b32_e64 v10, v10, v14, s3
	v_dual_cndmask_b32 v14, v14, v11, s3 :: v_dual_cndmask_b32 v8, v15, v8, s3
	s_delay_alu instid0(VALU_DEP_1) | instskip(NEXT) | instid1(VALU_DEP_1)
	v_alignbit_b32 v17, v10, v14, v13
	v_dual_cndmask_b32 v11, v11, v15, s3 :: v_dual_cndmask_b32 v7, v17, v10, vcc_lo
	s_delay_alu instid0(VALU_DEP_1) | instskip(NEXT) | instid1(VALU_DEP_4)
	v_alignbit_b32 v16, v14, v11, v13
	v_alignbit_b32 v13, v11, v8, v13
	s_delay_alu instid0(VALU_DEP_3) | instskip(NEXT) | instid1(VALU_DEP_2)
	v_bfe_u32 v12, v7, 29, 1
	v_dual_cndmask_b32 v10, v16, v14 :: v_dual_cndmask_b32 v11, v13, v11
	s_delay_alu instid0(VALU_DEP_2) | instskip(NEXT) | instid1(VALU_DEP_2)
	v_sub_nc_u32_e32 v15, 0, v12
	v_alignbit_b32 v14, v7, v10, 30
	s_delay_alu instid0(VALU_DEP_3) | instskip(SKIP_1) | instid1(VALU_DEP_3)
	v_alignbit_b32 v10, v10, v11, 30
	v_alignbit_b32 v8, v11, v8, 30
	v_xor_b32_e32 v14, v14, v15
	s_delay_alu instid0(VALU_DEP_2) | instskip(NEXT) | instid1(VALU_DEP_2)
	v_xor_b32_e32 v8, v8, v15
	v_clz_i32_u32_e32 v13, v14
	s_delay_alu instid0(VALU_DEP_1) | instskip(NEXT) | instid1(VALU_DEP_1)
	v_min_u32_e32 v13, 32, v13
	v_dual_lshlrev_b32 v16, 23, v13 :: v_dual_bitop2_b32 v10, v10, v15 bitop3:0x14
	v_sub_nc_u32_e32 v11, 31, v13
	s_delay_alu instid0(VALU_DEP_1) | instskip(SKIP_2) | instid1(VALU_DEP_1)
	v_alignbit_b32 v14, v14, v10, v11
	v_lshrrev_b32_e32 v15, 29, v7
	v_alignbit_b32 v8, v10, v8, v11
	v_alignbit_b32 v11, v14, v8, 9
	s_delay_alu instid0(VALU_DEP_3) | instskip(NEXT) | instid1(VALU_DEP_2)
	v_dual_lshrrev_b32 v14, 9, v14 :: v_dual_lshlrev_b32 v10, 31, v15
	v_clz_i32_u32_e32 v17, v11
	s_delay_alu instid0(VALU_DEP_2) | instskip(SKIP_1) | instid1(VALU_DEP_2)
	v_or_b32_e32 v15, 0.5, v10
	v_or_b32_e32 v10, 0x33000000, v10
	v_sub_nc_u32_e32 v15, v15, v16
	s_delay_alu instid0(VALU_DEP_4) | instskip(NEXT) | instid1(VALU_DEP_1)
	v_min_u32_e32 v16, 32, v17
	v_add_lshl_u32 v13, v16, v13, 23
	s_delay_alu instid0(VALU_DEP_1) | instskip(NEXT) | instid1(VALU_DEP_4)
	v_sub_nc_u32_e32 v10, v10, v13
	v_or_b32_e32 v14, v14, v15
	v_not_b32_e32 v15, v16
	s_delay_alu instid0(VALU_DEP_1) | instskip(NEXT) | instid1(VALU_DEP_1)
	v_alignbit_b32 v8, v11, v8, v15
	v_dual_mul_f32 v17, 0x3fc90fda, v14 :: v_dual_lshrrev_b32 v8, 9, v8
	s_delay_alu instid0(VALU_DEP_1) | instskip(NEXT) | instid1(VALU_DEP_2)
	v_or_b32_e32 v8, v10, v8
	v_fma_f32 v11, 0x3fc90fda, v14, -v17
	s_delay_alu instid0(VALU_DEP_1) | instskip(NEXT) | instid1(VALU_DEP_1)
	v_fmamk_f32 v11, v14, 0x33a22168, v11
	v_dual_fmac_f32 v11, 0x3fc90fda, v8 :: v_dual_lshrrev_b32 v8, 30, v7
	s_delay_alu instid0(VALU_DEP_1)
	v_dual_add_f32 v7, v17, v11 :: v_dual_add_nc_u32 v8, v12, v8
	s_or_saveexec_b32 s2, s6
	v_mul_f32_e64 v12, 0x3f22f983, |v4|
	s_xor_b32 exec_lo, exec_lo, s2
	s_branch .LBB32_14
.LBB32_13:
	s_or_saveexec_b32 s2, s6
	v_mul_f32_e64 v12, 0x3f22f983, |v4|
	s_xor_b32 exec_lo, exec_lo, s2
.LBB32_14:
	s_delay_alu instid0(VALU_DEP_1) | instskip(NEXT) | instid1(VALU_DEP_1)
	v_rndne_f32_e32 v8, v12
	v_fma_f32 v7, 0xbfc90fda, v8, |v4|
	s_delay_alu instid0(VALU_DEP_1) | instskip(NEXT) | instid1(VALU_DEP_1)
	v_fmamk_f32 v7, v8, 0xb3a22168, v7
	v_fmamk_f32 v7, v8, 0xa7c234c4, v7
	v_cvt_i32_f32_e32 v8, v8
; %bb.15:
	s_or_b32 exec_lo, exec_lo, s2
                                        ; implicit-def: $vgpr11
                                        ; implicit-def: $vgpr10
	s_and_saveexec_b32 s2, s4
	s_delay_alu instid0(SALU_CYCLE_1)
	s_xor_b32 s4, exec_lo, s2
	s_cbranch_execz .LBB32_17
; %bb.16:
	s_mov_b32 s2, 0x7fffff
	v_mov_b32_e32 v11, 0
	v_and_or_b32 v10, v6, s2, 0x800000
	s_mov_b64 s[2:3], 0xfe5163ab
	v_add_nc_u32_e32 v9, 0xffffff88, v9
	s_delay_alu instid0(VALU_DEP_2) | instskip(NEXT) | instid1(VALU_DEP_2)
	v_mul_u64_e32 v[12:13], s[2:3], v[10:11]
	v_cmp_lt_u32_e32 vcc_lo, 63, v9
	s_delay_alu instid0(VALU_DEP_2) | instskip(SKIP_2) | instid1(VALU_DEP_3)
	v_dual_mov_b32 v14, v13 :: v_dual_mov_b32 v15, v11
	v_dual_mov_b32 v17, v11 :: v_dual_mov_b32 v19, v11
	;; [unrolled: 1-line block ×3, first 2 shown]
	v_mad_nc_u64_u32 v[14:15], 0x3c439041, v10, v[14:15]
	v_cndmask_b32_e64 v13, 0, 0xffffffc0, vcc_lo
	s_delay_alu instid0(VALU_DEP_1) | instskip(NEXT) | instid1(VALU_DEP_3)
	v_dual_mov_b32 v25, v11 :: v_dual_add_nc_u32 v9, v13, v9
	v_mov_b32_e32 v16, v15
	s_delay_alu instid0(VALU_DEP_2) | instskip(NEXT) | instid1(VALU_DEP_2)
	v_cmp_lt_u32_e64 s2, 31, v9
	v_mad_nc_u64_u32 v[16:17], 0xdb629599, v10, v[16:17]
	s_delay_alu instid0(VALU_DEP_2) | instskip(NEXT) | instid1(VALU_DEP_1)
	v_cndmask_b32_e64 v13, 0, 0xffffffe0, s2
	v_add_nc_u32_e32 v9, v13, v9
	s_delay_alu instid0(VALU_DEP_3) | instskip(NEXT) | instid1(VALU_DEP_2)
	v_mov_b32_e32 v18, v17
	v_cmp_lt_u32_e64 s3, 31, v9
	v_cndmask_b32_e32 v12, v16, v12, vcc_lo
	s_delay_alu instid0(VALU_DEP_3) | instskip(NEXT) | instid1(VALU_DEP_3)
	v_mad_nc_u64_u32 v[18:19], 0xf534ddc0, v10, v[18:19]
	v_cndmask_b32_e64 v13, 0, 0xffffffe0, s3
	s_delay_alu instid0(VALU_DEP_1) | instskip(NEXT) | instid1(VALU_DEP_3)
	v_dual_add_nc_u32 v9, v13, v9 :: v_dual_cndmask_b32 v13, v18, v14, vcc_lo
	v_mov_b32_e32 v20, v19
	s_delay_alu instid0(VALU_DEP_1) | instskip(NEXT) | instid1(VALU_DEP_1)
	v_mad_nc_u64_u32 v[20:21], 0xfc2757d1, v10, v[20:21]
	v_dual_mov_b32 v22, v21 :: v_dual_cndmask_b32 v17, v20, v16
	s_delay_alu instid0(VALU_DEP_1) | instskip(NEXT) | instid1(VALU_DEP_1)
	v_mad_nc_u64_u32 v[22:23], 0x4e441529, v10, v[22:23]
	v_dual_mov_b32 v24, v23 :: v_dual_cndmask_b32 v15, v22, v18
	s_delay_alu instid0(VALU_DEP_1) | instskip(NEXT) | instid1(VALU_DEP_1)
	v_mad_nc_u64_u32 v[10:11], 0xa2f9836e, v10, v[24:25]
	v_dual_cndmask_b32 v10, v10, v20 :: v_dual_cndmask_b32 v11, v11, v22
	v_cmp_eq_u32_e32 vcc_lo, 0, v9
	s_delay_alu instid0(VALU_DEP_2) | instskip(SKIP_2) | instid1(VALU_DEP_3)
	v_dual_cndmask_b32 v14, v10, v15, s2 :: v_dual_cndmask_b32 v10, v11, v10, s2
	v_cndmask_b32_e64 v11, v15, v17, s2
	v_sub_nc_u32_e32 v15, 32, v9
	v_dual_cndmask_b32 v17, v17, v13, s2 :: v_dual_cndmask_b32 v10, v10, v14, s3
	s_delay_alu instid0(VALU_DEP_3) | instskip(NEXT) | instid1(VALU_DEP_1)
	v_cndmask_b32_e64 v14, v14, v11, s3
	v_alignbit_b32 v18, v10, v14, v15
	s_delay_alu instid0(VALU_DEP_1) | instskip(NEXT) | instid1(VALU_DEP_1)
	v_dual_cndmask_b32 v11, v11, v17, s3 :: v_dual_cndmask_b32 v9, v18, v10, vcc_lo
	v_alignbit_b32 v16, v14, v11, v15
	v_cndmask_b32_e64 v10, v13, v12, s2
	s_delay_alu instid0(VALU_DEP_3) | instskip(NEXT) | instid1(VALU_DEP_3)
	v_bfe_u32 v13, v9, 29, 1
	v_cndmask_b32_e32 v12, v16, v14, vcc_lo
	s_delay_alu instid0(VALU_DEP_2) | instskip(NEXT) | instid1(VALU_DEP_2)
	v_dual_cndmask_b32 v10, v17, v10, s3 :: v_dual_sub_nc_u32 v16, 0, v13
	v_alignbit_b32 v14, v9, v12, 30
	s_delay_alu instid0(VALU_DEP_2) | instskip(NEXT) | instid1(VALU_DEP_1)
	v_alignbit_b32 v15, v11, v10, v15
	v_dual_cndmask_b32 v11, v15, v11, vcc_lo :: v_dual_bitop2_b32 v14, v14, v16 bitop3:0x14
	s_delay_alu instid0(VALU_DEP_1) | instskip(NEXT) | instid1(VALU_DEP_2)
	v_clz_i32_u32_e32 v15, v14
	v_alignbit_b32 v12, v12, v11, 30
	v_alignbit_b32 v10, v11, v10, 30
	s_delay_alu instid0(VALU_DEP_3) | instskip(NEXT) | instid1(VALU_DEP_3)
	v_min_u32_e32 v15, 32, v15
	v_xor_b32_e32 v11, v12, v16
	s_delay_alu instid0(VALU_DEP_3) | instskip(NEXT) | instid1(VALU_DEP_3)
	v_dual_lshrrev_b32 v16, 29, v9 :: v_dual_bitop2_b32 v10, v10, v16 bitop3:0x14
	v_dual_lshrrev_b32 v9, 30, v9 :: v_dual_sub_nc_u32 v12, 31, v15
	v_lshlrev_b32_e32 v17, 23, v15
	s_delay_alu instid0(VALU_DEP_2) | instskip(NEXT) | instid1(VALU_DEP_4)
	v_alignbit_b32 v14, v14, v11, v12
	v_alignbit_b32 v10, v11, v10, v12
	v_lshlrev_b32_e32 v11, 31, v16
	s_delay_alu instid0(VALU_DEP_2) | instskip(NEXT) | instid1(VALU_DEP_2)
	v_alignbit_b32 v12, v14, v10, 9
	v_dual_lshrrev_b32 v14, 9, v14 :: v_dual_bitop2_b32 v16, 0.5, v11 bitop3:0x54
	v_or_b32_e32 v11, 0x33000000, v11
	s_delay_alu instid0(VALU_DEP_3) | instskip(NEXT) | instid1(VALU_DEP_3)
	v_clz_i32_u32_e32 v18, v12
	v_sub_nc_u32_e32 v16, v16, v17
	s_delay_alu instid0(VALU_DEP_2) | instskip(NEXT) | instid1(VALU_DEP_1)
	v_min_u32_e32 v17, 32, v18
	v_add_lshl_u32 v15, v17, v15, 23
	s_delay_alu instid0(VALU_DEP_1) | instskip(SKIP_1) | instid1(VALU_DEP_1)
	v_dual_sub_nc_u32 v11, v11, v15 :: v_dual_bitop2_b32 v14, v14, v16 bitop3:0x54
	v_not_b32_e32 v16, v17
	v_alignbit_b32 v10, v12, v10, v16
	s_delay_alu instid0(VALU_DEP_1) | instskip(NEXT) | instid1(VALU_DEP_4)
	v_lshrrev_b32_e32 v10, 9, v10
	v_mul_f32_e32 v18, 0x3fc90fda, v14
	s_delay_alu instid0(VALU_DEP_2) | instskip(NEXT) | instid1(VALU_DEP_2)
	v_or_b32_e32 v10, v11, v10
	v_fma_f32 v12, 0x3fc90fda, v14, -v18
	s_delay_alu instid0(VALU_DEP_1) | instskip(NEXT) | instid1(VALU_DEP_1)
	v_dual_fmamk_f32 v12, v14, 0x33a22168, v12 :: v_dual_add_nc_u32 v11, v13, v9
	v_fmac_f32_e32 v12, 0x3fc90fda, v10
	s_delay_alu instid0(VALU_DEP_1)
	v_add_f32_e32 v10, v18, v12
                                        ; implicit-def: $vgpr12
	s_and_not1_saveexec_b32 s2, s4
	s_cbranch_execnz .LBB32_18
	s_branch .LBB32_19
.LBB32_17:
	s_and_not1_saveexec_b32 s2, s4
.LBB32_18:
	v_rndne_f32_e32 v9, v12
	s_delay_alu instid0(VALU_DEP_1) | instskip(SKIP_1) | instid1(VALU_DEP_2)
	v_fma_f32 v10, 0xbfc90fda, v9, |v4|
	v_cvt_i32_f32_e32 v11, v9
	v_fmamk_f32 v10, v9, 0xb3a22168, v10
	s_delay_alu instid0(VALU_DEP_1)
	v_fmamk_f32 v10, v9, 0xa7c234c4, v10
.LBB32_19:
	s_or_b32 exec_lo, exec_lo, s2
	v_mad_u32 v9, v1, s9, v0
	v_mul_lo_u32 v12, v2, s5
	s_load_b128 s[0:3], s[0:1], 0x0
	s_ashr_i32 s5, s17, 31
	s_mov_b32 s4, s17
	v_mad_u32 v0, v1, s16, v0
	s_lshl_b64 s[4:5], s[4:5], 1
	v_dual_lshlrev_b32 v11, 30, v11 :: v_dual_bitop2_b32 v1, 1, v11 bitop3:0x40
	s_delay_alu instid0(VALU_DEP_4) | instskip(NEXT) | instid1(VALU_DEP_4)
	v_mad_u32 v9, v2, s8, v9
	v_sub_nc_u32_e32 v3, v3, v12
	s_delay_alu instid0(VALU_DEP_3) | instskip(SKIP_1) | instid1(VALU_DEP_3)
	v_and_b32_e32 v11, 0x80000000, v11
	v_mad_u32 v0, v2, s11, v0
	v_mad_u32 v12, v3, s7, v9
	s_delay_alu instid0(VALU_DEP_1) | instskip(NEXT) | instid1(VALU_DEP_3)
	v_ashrrev_i32_e32 v13, 31, v12
	v_mad_u32 v0, v3, s10, v0
	s_wait_kmcnt 0x0
	s_delay_alu instid0(VALU_DEP_2) | instskip(NEXT) | instid1(VALU_DEP_1)
	v_lshl_add_u64 v[14:15], v[12:13], 1, s[0:1]
	v_add_nc_u64_e32 v[14:15], s[4:5], v[14:15]
	s_clause 0x1
	global_load_u16 v9, v[14:15], off
	global_load_u16 v13, v12, s[0:1] scale_offset
	s_wait_xcnt 0x0
	v_dual_mul_f32 v12, v7, v7 :: v_dual_bitop2_b32 v14, 1, v8 bitop3:0x40
	s_mov_b32 s0, 0xb94c1982
	v_dual_mul_f32 v15, v10, v10 :: v_dual_lshlrev_b32 v8, 30, v8
	s_delay_alu instid0(VALU_DEP_2) | instskip(SKIP_2) | instid1(VALU_DEP_2)
	v_fmaak_f32 v16, s0, v12, 0x3c0881c4
	s_mov_b32 s1, 0x37d75334
	v_cmp_eq_u32_e32 vcc_lo, 0, v14
	v_fmaak_f32 v16, v12, v16, 0xbe2aaa9d
	s_delay_alu instid0(VALU_DEP_1) | instskip(SKIP_1) | instid1(VALU_DEP_2)
	v_dual_fmaak_f32 v19, s1, v15, 0xbab64f3b :: v_dual_mul_f32 v16, v12, v16
	v_fmaak_f32 v18, s0, v15, 0x3c0881c4
	v_fmaak_f32 v19, v15, v19, 0x3d2aabf7
	s_delay_alu instid0(VALU_DEP_3) | instskip(NEXT) | instid1(VALU_DEP_3)
	v_fmac_f32_e32 v7, v7, v16
	v_fmaak_f32 v18, v15, v18, 0xbe2aaa9d
	v_fmaak_f32 v17, s1, v12, 0xbab64f3b
	s_delay_alu instid0(VALU_DEP_2) | instskip(NEXT) | instid1(VALU_DEP_1)
	v_dual_fmaak_f32 v19, v15, v19, 0xbf000004 :: v_dual_mul_f32 v18, v15, v18
	v_dual_fmaak_f32 v17, v12, v17, 0x3d2aabf7 :: v_dual_fmac_f32 v10, v10, v18
	s_delay_alu instid0(VALU_DEP_1) | instskip(NEXT) | instid1(VALU_DEP_1)
	v_fmaak_f32 v17, v12, v17, 0xbf000004
	v_fma_f32 v2, v12, v17, 1.0
	v_xor_b32_e32 v6, v6, v4
	v_fma_f32 v12, v15, v19, 1.0
	s_delay_alu instid0(VALU_DEP_3) | instskip(SKIP_1) | instid1(VALU_DEP_2)
	v_cndmask_b32_e64 v2, -v7, v2, vcc_lo
	v_cmp_eq_u32_e32 vcc_lo, 0, v1
	v_bitop3_b32 v2, v8, v2, 0x80000000 bitop3:0x6c
	s_delay_alu instid0(VALU_DEP_4) | instskip(SKIP_1) | instid1(VALU_DEP_2)
	v_cndmask_b32_e32 v1, v12, v10, vcc_lo
	v_cmp_class_f32_e64 vcc_lo, v4, 0x1f8
	v_xor3_b32 v1, v6, v11, v1
	s_wait_loadcnt 0x1
	v_cvt_f32_f16_e32 v7, v9
	s_wait_loadcnt 0x0
	v_cvt_f32_f16_e32 v8, v13
	v_cndmask_b32_e32 v4, 0x7fc00000, v2, vcc_lo
	v_dual_cndmask_b32 v2, 0x7fc00000, v1 :: v_dual_ashrrev_i32 v1, 31, v0
	s_delay_alu instid0(VALU_DEP_1) | instskip(NEXT) | instid1(VALU_DEP_2)
	v_mul_f32_e64 v6, v2, -v5
	v_lshl_add_u64 v[2:3], v[0:1], 1, s[2:3]
	s_delay_alu instid0(VALU_DEP_2) | instskip(SKIP_1) | instid1(VALU_DEP_3)
	v_dual_mul_f32 v1, v5, v4 :: v_dual_mul_f32 v4, v6, v7
	v_mul_f32_e32 v5, v6, v8
	v_add_nc_u64_e32 v[2:3], s[4:5], v[2:3]
	s_delay_alu instid0(VALU_DEP_3) | instskip(NEXT) | instid1(VALU_DEP_3)
	v_fma_mixlo_f16 v4, v1, v13, -v4 op_sel_hi:[0,1,0]
	v_fma_mixlo_f16 v1, v1, v9, v5 op_sel_hi:[0,1,0]
	s_clause 0x1
	global_store_b16 v0, v4, s[2:3] scale_offset
	global_store_b16 v[2:3], v1, off
.LBB32_20:
	s_endpgm
	.section	.rodata,"a",@progbits
	.p2align	6, 0x0
	.amdhsa_kernel _ZL11rope_visionILb0ELb0E6__halfEvPKT1_PS1_iiiiiiiiiiPKifff14rope_corr_dimsfPKf14mrope_sections
		.amdhsa_group_segment_fixed_size 0
		.amdhsa_private_segment_fixed_size 0
		.amdhsa_kernarg_size 368
		.amdhsa_user_sgpr_count 2
		.amdhsa_user_sgpr_dispatch_ptr 0
		.amdhsa_user_sgpr_queue_ptr 0
		.amdhsa_user_sgpr_kernarg_segment_ptr 1
		.amdhsa_user_sgpr_dispatch_id 0
		.amdhsa_user_sgpr_kernarg_preload_length 0
		.amdhsa_user_sgpr_kernarg_preload_offset 0
		.amdhsa_user_sgpr_private_segment_size 0
		.amdhsa_wavefront_size32 1
		.amdhsa_uses_dynamic_stack 0
		.amdhsa_enable_private_segment 0
		.amdhsa_system_sgpr_workgroup_id_x 1
		.amdhsa_system_sgpr_workgroup_id_y 1
		.amdhsa_system_sgpr_workgroup_id_z 0
		.amdhsa_system_sgpr_workgroup_info 0
		.amdhsa_system_vgpr_workitem_id 1
		.amdhsa_next_free_vgpr 26
		.amdhsa_next_free_sgpr 21
		.amdhsa_named_barrier_count 0
		.amdhsa_reserve_vcc 1
		.amdhsa_float_round_mode_32 0
		.amdhsa_float_round_mode_16_64 0
		.amdhsa_float_denorm_mode_32 3
		.amdhsa_float_denorm_mode_16_64 3
		.amdhsa_fp16_overflow 0
		.amdhsa_memory_ordered 1
		.amdhsa_forward_progress 1
		.amdhsa_inst_pref_size 37
		.amdhsa_round_robin_scheduling 0
		.amdhsa_exception_fp_ieee_invalid_op 0
		.amdhsa_exception_fp_denorm_src 0
		.amdhsa_exception_fp_ieee_div_zero 0
		.amdhsa_exception_fp_ieee_overflow 0
		.amdhsa_exception_fp_ieee_underflow 0
		.amdhsa_exception_fp_ieee_inexact 0
		.amdhsa_exception_int_div_zero 0
	.end_amdhsa_kernel
	.section	.text._ZL11rope_visionILb0ELb0E6__halfEvPKT1_PS1_iiiiiiiiiiPKifff14rope_corr_dimsfPKf14mrope_sections,"axG",@progbits,_ZL11rope_visionILb0ELb0E6__halfEvPKT1_PS1_iiiiiiiiiiPKifff14rope_corr_dimsfPKf14mrope_sections,comdat
.Lfunc_end32:
	.size	_ZL11rope_visionILb0ELb0E6__halfEvPKT1_PS1_iiiiiiiiiiPKifff14rope_corr_dimsfPKf14mrope_sections, .Lfunc_end32-_ZL11rope_visionILb0ELb0E6__halfEvPKT1_PS1_iiiiiiiiiiPKifff14rope_corr_dimsfPKf14mrope_sections
                                        ; -- End function
	.set _ZL11rope_visionILb0ELb0E6__halfEvPKT1_PS1_iiiiiiiiiiPKifff14rope_corr_dimsfPKf14mrope_sections.num_vgpr, 26
	.set _ZL11rope_visionILb0ELb0E6__halfEvPKT1_PS1_iiiiiiiiiiPKifff14rope_corr_dimsfPKf14mrope_sections.num_agpr, 0
	.set _ZL11rope_visionILb0ELb0E6__halfEvPKT1_PS1_iiiiiiiiiiPKifff14rope_corr_dimsfPKf14mrope_sections.numbered_sgpr, 21
	.set _ZL11rope_visionILb0ELb0E6__halfEvPKT1_PS1_iiiiiiiiiiPKifff14rope_corr_dimsfPKf14mrope_sections.num_named_barrier, 0
	.set _ZL11rope_visionILb0ELb0E6__halfEvPKT1_PS1_iiiiiiiiiiPKifff14rope_corr_dimsfPKf14mrope_sections.private_seg_size, 0
	.set _ZL11rope_visionILb0ELb0E6__halfEvPKT1_PS1_iiiiiiiiiiPKifff14rope_corr_dimsfPKf14mrope_sections.uses_vcc, 1
	.set _ZL11rope_visionILb0ELb0E6__halfEvPKT1_PS1_iiiiiiiiiiPKifff14rope_corr_dimsfPKf14mrope_sections.uses_flat_scratch, 0
	.set _ZL11rope_visionILb0ELb0E6__halfEvPKT1_PS1_iiiiiiiiiiPKifff14rope_corr_dimsfPKf14mrope_sections.has_dyn_sized_stack, 0
	.set _ZL11rope_visionILb0ELb0E6__halfEvPKT1_PS1_iiiiiiiiiiPKifff14rope_corr_dimsfPKf14mrope_sections.has_recursion, 0
	.set _ZL11rope_visionILb0ELb0E6__halfEvPKT1_PS1_iiiiiiiiiiPKifff14rope_corr_dimsfPKf14mrope_sections.has_indirect_call, 0
	.section	.AMDGPU.csdata,"",@progbits
; Kernel info:
; codeLenInByte = 4672
; TotalNumSgprs: 23
; NumVgprs: 26
; ScratchSize: 0
; MemoryBound: 0
; FloatMode: 240
; IeeeMode: 1
; LDSByteSize: 0 bytes/workgroup (compile time only)
; SGPRBlocks: 0
; VGPRBlocks: 1
; NumSGPRsForWavesPerEU: 23
; NumVGPRsForWavesPerEU: 26
; NamedBarCnt: 0
; Occupancy: 16
; WaveLimiterHint : 0
; COMPUTE_PGM_RSRC2:SCRATCH_EN: 0
; COMPUTE_PGM_RSRC2:USER_SGPR: 2
; COMPUTE_PGM_RSRC2:TRAP_HANDLER: 0
; COMPUTE_PGM_RSRC2:TGID_X_EN: 1
; COMPUTE_PGM_RSRC2:TGID_Y_EN: 1
; COMPUTE_PGM_RSRC2:TGID_Z_EN: 0
; COMPUTE_PGM_RSRC2:TIDIG_COMP_CNT: 1
	.section	.text._ZL11rope_visionILb0ELb1E6__halfEvPKT1_PS1_iiiiiiiiiiPKifff14rope_corr_dimsfPKf14mrope_sections,"axG",@progbits,_ZL11rope_visionILb0ELb1E6__halfEvPKT1_PS1_iiiiiiiiiiPKifff14rope_corr_dimsfPKf14mrope_sections,comdat
	.globl	_ZL11rope_visionILb0ELb1E6__halfEvPKT1_PS1_iiiiiiiiiiPKifff14rope_corr_dimsfPKf14mrope_sections ; -- Begin function _ZL11rope_visionILb0ELb1E6__halfEvPKT1_PS1_iiiiiiiiiiPKifff14rope_corr_dimsfPKf14mrope_sections
	.p2align	8
	.type	_ZL11rope_visionILb0ELb1E6__halfEvPKT1_PS1_iiiiiiiiiiPKifff14rope_corr_dimsfPKf14mrope_sections,@function
_ZL11rope_visionILb0ELb1E6__halfEvPKT1_PS1_iiiiiiiiiiPKifff14rope_corr_dimsfPKf14mrope_sections: ; @_ZL11rope_visionILb0ELb1E6__halfEvPKT1_PS1_iiiiiiiiiiPKifff14rope_corr_dimsfPKf14mrope_sections
; %bb.0:
	s_clause 0x1
	s_load_u16 s3, s[0:1], 0x7e
	s_load_b256 s[4:11], s[0:1], 0x10
	s_bfe_u32 s2, ttmp6, 0x40010
	s_bfe_u32 s13, ttmp6, 0x40004
	s_add_co_i32 s2, s2, 1
	v_bfe_u32 v1, v0, 10, 10
	s_mul_i32 s12, ttmp7, s2
	s_getreg_b32 s2, hwreg(HW_REG_IB_STS2, 6, 4)
	s_add_co_i32 s13, s13, s12
	s_cmp_eq_u32 s2, 0
	s_cselect_b32 s12, ttmp7, s13
	s_wait_kmcnt 0x0
	s_mul_i32 s12, s12, s3
	s_mov_b32 s3, exec_lo
	v_add_lshl_u32 v1, s12, v1, 1
	s_delay_alu instid0(VALU_DEP_1)
	v_cmpx_gt_i32_e64 s4, v1
	s_cbranch_execz .LBB33_20
; %bb.1:
	s_add_nc_u64 s[12:13], s[0:1], 0x70
	s_bfe_u32 s4, ttmp6, 0x4000c
	s_load_b32 s3, s[12:13], 0xc
	s_add_co_i32 s4, s4, 1
	s_wait_xcnt 0x0
	s_and_b32 s12, ttmp6, 15
	s_mul_i32 s4, ttmp9, s4
	v_and_b32_e32 v0, 0x3ff, v0
	s_add_co_i32 s12, s12, s4
	s_mul_i32 s4, s6, s5
	s_wait_kmcnt 0x0
	s_and_b32 s3, s3, 0xffff
	s_cmp_eq_u32 s2, 0
	s_cselect_b32 s2, ttmp9, s12
	s_abs_i32 s12, s4
	v_mad_u32 v0, s2, s3, v0
	s_cvt_f32_u32 s13, s12
	s_delay_alu instid0(SALU_CYCLE_3) | instskip(SKIP_1) | instid1(TRANS32_DEP_1)
	v_rcp_iflag_f32_e32 v2, s13
	v_nop
	v_readfirstlane_b32 s2, v2
	s_delay_alu instid0(VALU_DEP_3) | instskip(SKIP_1) | instid1(VALU_DEP_1)
	v_sub_nc_u32_e32 v2, 0, v0
	s_mul_f32 s2, s2, 0x4f7ffffe
	v_max_i32_e32 v2, v0, v2
	s_delay_alu instid0(SALU_CYCLE_2) | instskip(SKIP_1) | instid1(SALU_CYCLE_2)
	s_cvt_u32_f32 s13, s2
	s_sub_co_i32 s2, 0, s12
	s_mul_i32 s2, s2, s13
	s_delay_alu instid0(SALU_CYCLE_1) | instskip(SKIP_2) | instid1(SALU_CYCLE_1)
	s_mul_hi_u32 s14, s13, s2
	s_load_b64 s[2:3], s[0:1], 0x60
	s_add_co_i32 s13, s13, s14
	v_mul_hi_u32 v3, v2, s13
	s_delay_alu instid0(VALU_DEP_1) | instskip(SKIP_2) | instid1(SALU_CYCLE_1)
	v_mul_lo_u32 v4, v3, s12
	s_wait_kmcnt 0x0
	s_add_co_i32 s3, s3, s2
	s_abs_i32 s20, s3
	s_delay_alu instid0(SALU_CYCLE_1) | instskip(NEXT) | instid1(VALU_DEP_1)
	s_cvt_f32_u32 s13, s20
	v_dual_sub_nc_u32 v2, v2, v4 :: v_dual_add_nc_u32 v4, 1, v3
	s_delay_alu instid0(SALU_CYCLE_2) | instskip(SKIP_1) | instid1(VALU_DEP_1)
	v_rcp_iflag_f32_e32 v5, s13
	s_cvt_f32_u32 s13, s5
	v_subrev_nc_u32_e32 v6, s12, v2
	v_cmp_le_u32_e32 vcc_lo, s12, v2
	s_delay_alu instid0(TRANS32_DEP_1) | instskip(SKIP_1) | instid1(VALU_DEP_4)
	v_readfirstlane_b32 s14, v5
	v_cndmask_b32_e32 v3, v3, v4, vcc_lo
	v_dual_cndmask_b32 v5, v2, v6, vcc_lo :: v_dual_bitop2_b32 v4, s4, v0 bitop3:0x14
	v_ashrrev_i32_e32 v2, 1, v1
	s_mul_f32 s14, s14, 0x4f7ffffe
	s_delay_alu instid0(VALU_DEP_2) | instskip(NEXT) | instid1(VALU_DEP_3)
	v_dual_add_nc_u32 v6, 1, v3 :: v_dual_ashrrev_i32 v4, 31, v4
	v_cmp_le_u32_e32 vcc_lo, s12, v5
	v_rcp_iflag_f32_e32 v5, s13
	s_cvt_u32_f32 s12, s14
	s_sub_co_i32 s13, 0, s20
	v_dual_ashrrev_i32 v1, 31, v1 :: v_dual_cndmask_b32 v3, v3, v6, vcc_lo
	v_sub_nc_u32_e32 v6, 0, v2
	s_mul_i32 s13, s13, s12
	s_delay_alu instid0(TRANS32_DEP_1) | instskip(SKIP_4) | instid1(VALU_DEP_1)
	v_readfirstlane_b32 s14, v5
	s_mul_hi_u32 s13, s12, s13
	v_max_i32_e32 v6, v2, v6
	v_xor_b32_e32 v3, v3, v4
	s_add_co_i32 s12, s12, s13
	v_sub_nc_u32_e32 v3, v3, v4
	s_delay_alu instid0(VALU_DEP_3) | instskip(SKIP_1) | instid1(VALU_DEP_2)
	v_mul_hi_u32 v4, v6, s12
	s_sub_co_i32 s12, 0, s5
	v_mul_lo_u32 v5, s4, v3
	s_mul_f32 s4, s14, 0x4f7ffffe
	s_delay_alu instid0(SALU_CYCLE_3) | instskip(NEXT) | instid1(VALU_DEP_2)
	s_cvt_u32_f32 s4, s4
	v_mul_lo_u32 v4, v4, s20
	s_delay_alu instid0(SALU_CYCLE_2) | instskip(NEXT) | instid1(VALU_DEP_2)
	s_mul_i32 s12, s12, s4
	v_sub_nc_u32_e32 v5, v0, v5
	s_mul_hi_u32 s12, s4, s12
	s_delay_alu instid0(SALU_CYCLE_1)
	s_add_co_i32 s4, s4, s12
	s_clause 0x2
	s_load_b64 s[18:19], s[0:1], 0x50
	s_load_b64 s[16:17], s[0:1], 0x30
	s_load_b128 s[12:15], s[0:1], 0x40
	v_mul_hi_u32 v0, v5, s4
	s_mov_b32 s4, exec_lo
	s_delay_alu instid0(VALU_DEP_1) | instskip(NEXT) | instid1(VALU_DEP_1)
	v_mul_lo_u32 v7, v0, s5
	v_dual_sub_nc_u32 v4, v6, v4 :: v_dual_sub_nc_u32 v7, v5, v7
	s_delay_alu instid0(VALU_DEP_1) | instskip(SKIP_1) | instid1(VALU_DEP_2)
	v_subrev_nc_u32_e32 v6, s20, v4
	v_cmp_le_u32_e32 vcc_lo, s20, v4
	v_cndmask_b32_e32 v4, v4, v6, vcc_lo
	s_delay_alu instid0(VALU_DEP_1) | instskip(SKIP_3) | instid1(VALU_DEP_3)
	v_subrev_nc_u32_e32 v6, s20, v4
	v_cmp_le_u32_e32 vcc_lo, s20, v4
	v_add_nc_u32_e32 v8, 1, v0
	s_mov_b32 s20, -1
	v_cndmask_b32_e32 v4, v4, v6, vcc_lo
	v_subrev_nc_u32_e32 v6, s5, v7
	v_cmp_le_u32_e32 vcc_lo, s5, v7
	v_cndmask_b32_e32 v8, v0, v8, vcc_lo
	s_delay_alu instid0(VALU_DEP_3) | instskip(NEXT) | instid1(VALU_DEP_1)
	v_dual_cndmask_b32 v4, v7, v6, vcc_lo :: v_dual_bitop2_b32 v0, v4, v1 bitop3:0x14
	v_dual_add_nc_u32 v6, 1, v8 :: v_dual_sub_nc_u32 v0, v0, v1
	s_delay_alu instid0(VALU_DEP_2) | instskip(NEXT) | instid1(VALU_DEP_2)
	v_cmp_le_u32_e32 vcc_lo, s5, v4
	v_cndmask_b32_e32 v4, v8, v6, vcc_lo
	s_delay_alu instid0(VALU_DEP_1) | instskip(NEXT) | instid1(VALU_DEP_4)
	v_mov_b32_e32 v6, v4
	v_cmpx_le_i32_e64 s2, v0
	s_cbranch_execz .LBB33_6
; %bb.2:
	s_cmp_gt_i32 s3, -1
	s_mov_b32 s3, -1
	s_cbranch_scc0 .LBB33_4
; %bb.3:
	v_subrev_nc_u32_e32 v0, s2, v0
	v_add_nc_u32_e32 v6, s6, v4
	s_branch .LBB33_5
.LBB33_4:
	s_mov_b32 s3, 0
                                        ; implicit-def: $vgpr0
                                        ; implicit-def: $vgpr6
.LBB33_5:
	s_delay_alu instid0(SALU_CYCLE_1)
	s_or_not1_b32 s20, s3, exec_lo
.LBB33_6:
	s_or_b32 exec_lo, exec_lo, s4
	v_mov_b32_e32 v1, 0
	s_and_saveexec_b32 s6, s20
	s_cbranch_execz .LBB33_8
; %bb.7:
	s_wait_kmcnt 0x0
	s_cmp_neq_f32 s19, 1.0
	v_cvt_f32_i32_e32 v0, v0
	s_load_b64 s[2:3], s[0:1], 0x38
	s_mov_b32 s4, 0x3e76c4e1
	s_cselect_b32 vcc_lo, -1, 0
	s_delay_alu instid0(VALU_DEP_1) | instskip(NEXT) | instid1(VALU_DEP_1)
	v_cndmask_b32_e32 v1, 1.0, v0, vcc_lo
	v_cmp_neq_f32_e32 vcc_lo, 0, v1
	v_cndmask_b32_e64 v0, 1.0, s19, vcc_lo
	s_delay_alu instid0(VALU_DEP_1) | instskip(SKIP_4) | instid1(VALU_DEP_1)
	v_frexp_mant_f32_e64 v7, |v0|
	s_wait_kmcnt 0x0
	global_load_b32 v22, v6, s[2:3] scale_offset
	v_cmp_gt_f32_e32 vcc_lo, 0x3f2aaaab, v7
	v_cndmask_b32_e64 v8, 1.0, 2.0, vcc_lo
	v_mul_f32_e32 v7, v7, v8
	s_delay_alu instid0(VALU_DEP_1) | instskip(NEXT) | instid1(VALU_DEP_1)
	v_dual_add_f32 v8, 1.0, v7 :: v_dual_add_f32 v9, -1.0, v7
	v_add_f32_e32 v11, -1.0, v8
	v_rcp_f32_e32 v14, v8
	v_nop
	s_delay_alu instid0(TRANS32_DEP_1) | instskip(NEXT) | instid1(VALU_DEP_1)
	v_mul_f32_e32 v15, v9, v14
	v_mul_f32_e32 v10, v8, v15
	v_sub_f32_e32 v7, v7, v11
	s_delay_alu instid0(VALU_DEP_2) | instskip(NEXT) | instid1(VALU_DEP_1)
	v_fma_f32 v12, v15, v8, -v10
	v_fmac_f32_e32 v12, v15, v7
	s_delay_alu instid0(VALU_DEP_1) | instskip(NEXT) | instid1(VALU_DEP_1)
	v_add_f32_e32 v8, v10, v12
	v_dual_sub_f32 v11, v9, v8 :: v_dual_mov_b32 v13, v8
	s_delay_alu instid0(VALU_DEP_1) | instskip(NEXT) | instid1(VALU_DEP_1)
	v_pk_add_f32 v[8:9], v[8:9], v[10:11] neg_lo:[0,1] neg_hi:[0,1]
	v_pk_add_f32 v[8:9], v[8:9], v[12:13] neg_lo:[0,1] neg_hi:[0,1]
	v_cvt_f64_f32_e64 v[12:13], |v0|
	s_delay_alu instid0(VALU_DEP_2) | instskip(NEXT) | instid1(VALU_DEP_1)
	v_add_f32_e32 v7, v8, v9
	v_add_f32_e32 v7, v11, v7
	s_delay_alu instid0(VALU_DEP_1) | instskip(NEXT) | instid1(VALU_DEP_1)
	v_mul_f32_e32 v7, v14, v7
	v_add_f32_e32 v8, v15, v7
	s_delay_alu instid0(VALU_DEP_1) | instskip(NEXT) | instid1(VALU_DEP_1)
	v_sub_f32_e32 v9, v8, v15
	v_sub_f32_e32 v18, v7, v9
	v_frexp_exp_i32_f64_e32 v17, v[12:13]
	s_delay_alu instid0(VALU_DEP_2) | instskip(NEXT) | instid1(VALU_DEP_1)
	v_dual_add_f32 v9, v18, v18 :: v_dual_mul_f32 v11, v8, v8
	v_fma_f32 v7, v8, v8, -v11
	s_delay_alu instid0(VALU_DEP_1) | instskip(NEXT) | instid1(VALU_DEP_1)
	v_fmac_f32_e32 v7, v8, v9
	v_add_f32_e32 v10, v11, v7
	s_delay_alu instid0(VALU_DEP_1) | instskip(SKIP_2) | instid1(VALU_DEP_2)
	v_sub_f32_e32 v11, v10, v11
	v_fmaak_f32 v9, s4, v10, 0x3e91f4c4
	v_cmp_eq_f32_e64 s4, 0, v0
	v_dual_sub_f32 v16, v7, v11 :: v_dual_fmaak_f32 v9, v10, v9, 0x3ecccdef
	s_delay_alu instid0(VALU_DEP_1) | instskip(SKIP_1) | instid1(VALU_DEP_1)
	v_mul_f32_e32 v14, v10, v9
	s_wait_xcnt 0x0
	v_fma_f32 v6, v10, v9, -v14
	s_delay_alu instid0(VALU_DEP_1) | instskip(NEXT) | instid1(VALU_DEP_1)
	v_fmac_f32_e32 v6, v16, v9
	v_add_f32_e32 v11, v14, v6
	s_delay_alu instid0(VALU_DEP_1) | instskip(NEXT) | instid1(VALU_DEP_1)
	v_sub_f32_e32 v9, v11, v14
	v_dual_add_f32 v7, 0x3f2aaaaa, v11 :: v_dual_sub_f32 v6, v6, v9
	s_delay_alu instid0(VALU_DEP_1) | instskip(NEXT) | instid1(VALU_DEP_2)
	v_add_f32_e32 v14, 0xbf2aaaaa, v7
	v_add_f32_e32 v9, 0x31739010, v6
	s_delay_alu instid0(VALU_DEP_2) | instskip(NEXT) | instid1(VALU_DEP_1)
	v_sub_f32_e32 v11, v11, v14
	v_pk_mul_f32 v[12:13], v[8:9], v[10:11]
	s_delay_alu instid0(VALU_DEP_1) | instskip(NEXT) | instid1(VALU_DEP_1)
	v_fma_f32 v6, v10, v8, -v12
	v_fmac_f32_e32 v6, v10, v18
	s_delay_alu instid0(VALU_DEP_1) | instskip(SKIP_2) | instid1(VALU_DEP_2)
	v_fmac_f32_e32 v6, v16, v8
	v_pk_add_f32 v[14:15], v[8:9], v[10:11]
	v_subrev_co_ci_u32_e64 v9, null, 0, v17, vcc_lo
	v_mov_b32_e32 v13, v15
	s_delay_alu instid0(VALU_DEP_2) | instskip(NEXT) | instid1(VALU_DEP_2)
	v_cvt_f32_i32_e32 v9, v9
	v_pk_add_f32 v[10:11], v[12:13], v[6:7]
	s_delay_alu instid0(VALU_DEP_1) | instskip(NEXT) | instid1(VALU_DEP_1)
	v_dual_mov_b32 v14, v11 :: v_dual_sub_f32 v13, v10, v12
	v_pk_mul_f32 v[16:17], v[10:11], v[14:15]
	s_delay_alu instid0(VALU_DEP_4) | instskip(NEXT) | instid1(VALU_DEP_3)
	v_dual_sub_f32 v7, v7, v11 :: v_dual_mul_f32 v14, 0x3f317218, v9
	v_sub_f32_e32 v6, v6, v13
	s_delay_alu instid0(VALU_DEP_3) | instskip(NEXT) | instid1(VALU_DEP_3)
	v_fma_f32 v12, v10, v11, -v16
	v_add_f32_e32 v7, v15, v7
	s_delay_alu instid0(VALU_DEP_1) | instskip(SKIP_1) | instid1(VALU_DEP_2)
	v_fmac_f32_e32 v12, v10, v7
	v_fma_f32 v7, 0x3f317218, v9, -v14
	v_fmac_f32_e32 v12, v6, v11
	s_delay_alu instid0(VALU_DEP_2) | instskip(SKIP_1) | instid1(VALU_DEP_1)
	v_fmamk_f32 v6, v9, 0xb102e308, v7
	v_ldexp_f32 v7, v8, 1
	v_dual_add_f32 v15, v16, v12 :: v_dual_mov_b32 v17, v7
	s_delay_alu instid0(VALU_DEP_1) | instskip(SKIP_2) | instid1(VALU_DEP_3)
	v_pk_add_f32 v[8:9], v[14:15], v[6:7]
	v_dual_mov_b32 v10, v15 :: v_dual_mov_b32 v13, v15
	v_ldexp_f32 v7, v18, 1
	v_dual_mov_b32 v11, v9 :: v_dual_mov_b32 v20, v9
	s_delay_alu instid0(VALU_DEP_1) | instskip(NEXT) | instid1(VALU_DEP_1)
	v_pk_add_f32 v[10:11], v[10:11], v[16:17] neg_lo:[0,1] neg_hi:[0,1]
	v_pk_add_f32 v[10:11], v[12:13], v[10:11] neg_lo:[0,1] neg_hi:[0,1]
	s_delay_alu instid0(VALU_DEP_1) | instskip(NEXT) | instid1(VALU_DEP_1)
	v_add_f32_e32 v7, v7, v10
	v_dual_add_f32 v15, v7, v11 :: v_dual_mov_b32 v7, v8
	s_delay_alu instid0(VALU_DEP_1) | instskip(SKIP_1) | instid1(VALU_DEP_2)
	v_pk_add_f32 v[10:11], v[8:9], v[14:15]
	v_pk_add_f32 v[12:13], v[8:9], v[14:15] neg_lo:[0,1] neg_hi:[0,1]
	v_mov_b32_e32 v13, v11
	s_delay_alu instid0(VALU_DEP_1) | instskip(SKIP_2) | instid1(VALU_DEP_3)
	v_pk_add_f32 v[16:17], v[6:7], v[12:13]
	v_mov_b32_e32 v16, v11
	v_pk_add_f32 v[6:7], v[6:7], v[12:13] neg_lo:[0,1] neg_hi:[0,1]
	v_mov_b32_e32 v14, v17
	s_delay_alu instid0(VALU_DEP_1) | instskip(SKIP_1) | instid1(VALU_DEP_2)
	v_pk_add_f32 v[18:19], v[14:15], v[8:9] neg_lo:[0,1] neg_hi:[0,1]
	v_dual_mov_b32 v9, v8 :: v_dual_mov_b32 v8, v15
	v_dual_mov_b32 v15, v18 :: v_dual_mov_b32 v21, v18
	s_delay_alu instid0(VALU_DEP_1) | instskip(NEXT) | instid1(VALU_DEP_2)
	v_pk_add_f32 v[10:11], v[10:11], v[14:15] neg_lo:[0,1] neg_hi:[0,1]
	v_pk_add_f32 v[12:13], v[16:17], v[20:21] neg_lo:[0,1] neg_hi:[0,1]
	v_mov_b32_e32 v10, v6
	s_delay_alu instid0(VALU_DEP_2) | instskip(NEXT) | instid1(VALU_DEP_1)
	v_pk_add_f32 v[8:9], v[8:9], v[12:13] neg_lo:[0,1] neg_hi:[0,1]
	v_pk_add_f32 v[10:11], v[10:11], v[8:9]
	s_delay_alu instid0(VALU_DEP_1) | instskip(NEXT) | instid1(VALU_DEP_1)
	v_mov_b32_e32 v12, v11
	v_pk_add_f32 v[12:13], v[10:11], v[12:13]
	s_delay_alu instid0(VALU_DEP_1) | instskip(NEXT) | instid1(VALU_DEP_1)
	v_pk_add_f32 v[14:15], v[14:15], v[12:13]
	v_dual_mov_b32 v7, v17 :: v_dual_mov_b32 v11, v14
	s_delay_alu instid0(VALU_DEP_1) | instskip(NEXT) | instid1(VALU_DEP_1)
	v_pk_add_f32 v[16:17], v[10:11], v[6:7] neg_lo:[0,1] neg_hi:[0,1]
	v_dual_mov_b32 v9, v12 :: v_dual_sub_f32 v7, v10, v16
	s_delay_alu instid0(VALU_DEP_1) | instskip(NEXT) | instid1(VALU_DEP_2)
	v_pk_add_f32 v[8:9], v[8:9], v[16:17] neg_lo:[0,1] neg_hi:[0,1]
	v_sub_f32_e32 v6, v6, v7
	s_delay_alu instid0(VALU_DEP_1) | instskip(NEXT) | instid1(VALU_DEP_1)
	v_add_f32_e32 v6, v8, v6
	v_add_f32_e32 v6, v6, v9
	s_delay_alu instid0(VALU_DEP_1) | instskip(NEXT) | instid1(VALU_DEP_1)
	v_add_f32_e32 v7, v14, v6
	v_dual_sub_f32 v8, v7, v14 :: v_dual_mul_f32 v9, v1, v7
	s_delay_alu instid0(VALU_DEP_1) | instskip(SKIP_1) | instid1(VALU_DEP_2)
	v_dual_fma_f32 v7, v1, v7, -v9 :: v_dual_sub_f32 v6, v6, v8
	v_cmp_class_f32_e64 vcc_lo, v9, 0x204
	v_fmac_f32_e32 v7, v1, v6
	s_delay_alu instid0(VALU_DEP_1) | instskip(NEXT) | instid1(VALU_DEP_1)
	v_add_f32_e32 v6, v9, v7
	v_cndmask_b32_e32 v8, v6, v9, vcc_lo
	s_delay_alu instid0(VALU_DEP_1) | instskip(SKIP_2) | instid1(VALU_DEP_2)
	v_cmp_eq_f32_e32 vcc_lo, 0x42b17218, v8
	v_cndmask_b32_e64 v10, 0, 0x37000000, vcc_lo
	v_cmp_neq_f32_e64 vcc_lo, 0x7f800000, |v8|
	v_sub_f32_e32 v11, v8, v10
	v_trunc_f32_e32 v8, v1
	s_delay_alu instid0(VALU_DEP_2) | instskip(NEXT) | instid1(VALU_DEP_1)
	v_mul_f32_e32 v12, 0x3fb8aa3b, v11
	v_fma_f32 v13, 0x3fb8aa3b, v11, -v12
	v_rndne_f32_e32 v14, v12
	s_delay_alu instid0(VALU_DEP_1) | instskip(SKIP_1) | instid1(VALU_DEP_1)
	v_dual_fmamk_f32 v13, v11, 0x32a5705f, v13 :: v_dual_sub_f32 v12, v12, v14
	v_sub_f32_e32 v6, v6, v9
	v_dual_add_f32 v12, v12, v13 :: v_dual_sub_f32 v6, v7, v6
	s_delay_alu instid0(VALU_DEP_1) | instskip(SKIP_2) | instid1(VALU_DEP_3)
	v_exp_f32_e32 v9, v12
	v_nop
	v_cvt_i32_f32_e32 v12, v14
	v_cndmask_b32_e32 v6, 0, v6, vcc_lo
	v_cmp_ngt_f32_e32 vcc_lo, 0xc2ce8ed0, v11
	s_delay_alu instid0(TRANS32_DEP_1) | instid1(VALU_DEP_3)
	v_ldexp_f32 v7, v9, v12
	s_delay_alu instid0(VALU_DEP_3) | instskip(NEXT) | instid1(VALU_DEP_2)
	v_dual_mul_f32 v9, 0.5, v1 :: v_dual_add_f32 v6, v10, v6
	v_cndmask_b32_e32 v7, 0, v7, vcc_lo
	s_delay_alu instid0(VALU_DEP_2) | instskip(SKIP_1) | instid1(VALU_DEP_2)
	v_trunc_f32_e32 v12, v9
	v_cmp_nlt_f32_e32 vcc_lo, 0x42b17218, v11
	v_cmp_neq_f32_e64 s2, v12, v9
	s_delay_alu instid0(VALU_DEP_4) | instskip(SKIP_1) | instid1(VALU_DEP_2)
	v_cndmask_b32_e32 v7, 0x7f800000, v7, vcc_lo
	v_cmp_eq_f32_e32 vcc_lo, v8, v1
	v_cmp_class_f32_e64 s3, v7, 0x204
	s_and_b32 s2, vcc_lo, s2
	s_delay_alu instid0(SALU_CYCLE_1) | instskip(NEXT) | instid1(VALU_DEP_1)
	v_dual_fma_f32 v6, v7, v6, v7 :: v_dual_cndmask_b32 v8, 1.0, v0, s2
	v_cndmask_b32_e64 v6, v6, v7, s3
	v_cmp_gt_f32_e64 s3, 0, v1
	s_delay_alu instid0(VALU_DEP_2)
	v_bfi_b32 v1, 0x7fffffff, v6, v8
	s_xor_b32 s3, s3, s4
	v_cndmask_b32_e64 v8, 0, v0, s2
	v_cndmask_b32_e64 v6, 0x7f800000, 0, s3
	v_cmp_class_f32_e64 s2, v0, 0x204
	v_cndmask_b32_e32 v7, 0x7fc00000, v1, vcc_lo
	v_cmp_gt_f32_e32 vcc_lo, 0, v0
	s_delay_alu instid0(VALU_DEP_4) | instskip(NEXT) | instid1(VALU_DEP_3)
	v_bfi_b32 v6, 0x7fffffff, v6, v8
	v_cndmask_b32_e32 v1, v1, v7, vcc_lo
	s_or_b32 vcc_lo, s4, s2
	s_delay_alu instid0(VALU_DEP_1) | instskip(SKIP_3) | instid1(VALU_DEP_3)
	v_cndmask_b32_e32 v1, v1, v6, vcc_lo
	v_cmp_o_f32_e32 vcc_lo, v0, v0
	s_wait_loadcnt 0x0
	v_cvt_f32_i32_e32 v6, v22
	v_cndmask_b32_e32 v0, 0x7fc00000, v1, vcc_lo
	s_delay_alu instid0(VALU_DEP_1)
	v_mul_f32_e32 v1, v0, v6
.LBB33_8:
	s_or_b32 exec_lo, exec_lo, s6
	s_load_b64 s[2:3], s[0:1], 0x58
	s_wait_kmcnt 0x0
	s_cmp_eq_f32 s13, 0
	global_load_b32 v0, v2, s[2:3] scale_offset
	s_wait_loadcnt 0x0
	v_div_scale_f32 v6, null, v0, v0, v1
	v_div_scale_f32 v9, vcc_lo, v1, v0, v1
	s_delay_alu instid0(VALU_DEP_2) | instskip(SKIP_1) | instid1(TRANS32_DEP_1)
	v_rcp_f32_e32 v7, v6
	v_nop
	v_fma_f32 v8, -v6, v7, 1.0
	s_delay_alu instid0(VALU_DEP_1) | instskip(NEXT) | instid1(VALU_DEP_1)
	v_fmac_f32_e32 v7, v8, v7
	v_mul_f32_e32 v8, v9, v7
	s_delay_alu instid0(VALU_DEP_1) | instskip(NEXT) | instid1(VALU_DEP_1)
	v_fma_f32 v10, -v6, v8, v9
	v_fmac_f32_e32 v8, v10, v7
	s_delay_alu instid0(VALU_DEP_1) | instskip(NEXT) | instid1(VALU_DEP_1)
	v_fma_f32 v6, -v6, v8, v9
	v_div_fmas_f32 v6, v6, v7, v8
	s_delay_alu instid0(VALU_DEP_1) | instskip(NEXT) | instid1(VALU_DEP_1)
	v_div_fixup_f32 v0, v6, v0, v1
	v_mul_f32_e32 v1, s12, v0
	s_cbranch_scc1 .LBB33_10
; %bb.9:
	v_cvt_f32_i32_e32 v6, v2
	s_sub_f32 s2, s18, s15
	v_div_scale_f32 v8, null, s12, s12, 1.0
	s_delay_alu instid0(SALU_CYCLE_2) | instskip(SKIP_4) | instid1(VALU_DEP_3)
	s_max_num_f32 s3, s2, 0x3a83126f
	v_subrev_f32_e32 v6, s15, v6
	v_rcp_f32_e32 v10, v8
	v_nop
	v_xor_b32_e32 v8, 0x80000000, v8
	v_div_scale_f32 v7, null, s3, s3, v6
	s_delay_alu instid0(TRANS32_DEP_1) | instid1(VALU_DEP_2)
	v_fma_f32 v12, v8, v10, 1.0
	s_delay_alu instid0(VALU_DEP_2) | instskip(SKIP_1) | instid1(TRANS32_DEP_1)
	v_rcp_f32_e32 v9, v7
	v_nop
	v_fma_f32 v11, -v7, v9, 1.0
	s_delay_alu instid0(VALU_DEP_1) | instskip(SKIP_2) | instid1(VALU_DEP_2)
	v_fmac_f32_e32 v9, v11, v9
	v_div_scale_f32 v13, vcc_lo, v6, s3, v6
	v_div_scale_f32 v11, s2, 1.0, s12, 1.0
	v_dual_fmac_f32 v10, v12, v10 :: v_dual_mul_f32 v12, v13, v9
	s_delay_alu instid0(VALU_DEP_1) | instskip(NEXT) | instid1(VALU_DEP_1)
	v_mul_f32_e32 v14, v11, v10
	v_dual_fma_f32 v15, -v7, v12, v13 :: v_dual_fma_f32 v16, v8, v14, v11
	s_delay_alu instid0(VALU_DEP_1) | instskip(NEXT) | instid1(VALU_DEP_1)
	v_dual_fmac_f32 v12, v15, v9 :: v_dual_fmac_f32 v14, v16, v10
	v_dual_fma_f32 v7, -v7, v12, v13 :: v_dual_fmac_f32 v11, v8, v14
	s_delay_alu instid0(VALU_DEP_1) | instskip(SKIP_1) | instid1(VALU_DEP_2)
	v_div_fmas_f32 v7, v7, v9, v12
	s_mov_b32 vcc_lo, s2
	v_div_fmas_f32 v8, v11, v10, v14
	s_delay_alu instid0(VALU_DEP_2) | instskip(NEXT) | instid1(VALU_DEP_2)
	v_div_fixup_f32 v6, v7, s3, v6 clamp
	v_div_fixup_f32 v8, v8, s12, 1.0
	s_delay_alu instid0(VALU_DEP_2) | instskip(NEXT) | instid1(VALU_DEP_2)
	v_sub_f32_e32 v10, 1.0, v6
	v_readfirstlane_b32 s2, v8
	s_delay_alu instid0(VALU_DEP_2) | instskip(SKIP_2) | instid1(SALU_CYCLE_1)
	v_mul_f32_e32 v6, s13, v10
	s_cmp_lt_f32 s2, 0x800000
	s_cselect_b32 s2, 0x4f800000, 1.0
	v_mul_f32_e32 v8, s2, v8
	s_cselect_b32 s2, 0x41b17218, 0
	s_delay_alu instid0(VALU_DEP_1) | instskip(SKIP_1) | instid1(TRANS32_DEP_1)
	v_log_f32_e32 v8, v8
	v_nop
	v_mul_f32_e32 v9, 0x3f317217, v8
	v_and_b32_e32 v7, 0x7fffffff, v8
	s_delay_alu instid0(VALU_DEP_2) | instskip(NEXT) | instid1(VALU_DEP_2)
	v_xor_b32_e32 v9, 0x80000000, v9
	v_cmp_gt_f32_e32 vcc_lo, 0x7f800000, v7
	v_fma_f32 v7, -s13, v10, 1.0
	s_delay_alu instid0(VALU_DEP_3) | instskip(NEXT) | instid1(VALU_DEP_2)
	v_fmac_f32_e32 v9, 0x3f317217, v8
	v_pk_mul_f32 v[0:1], v[6:7], v[0:1]
	s_delay_alu instid0(VALU_DEP_2) | instskip(NEXT) | instid1(VALU_DEP_2)
	v_fmamk_f32 v9, v8, 0x3377d1cf, v9
	v_add_f32_e32 v1, v0, v1
	s_delay_alu instid0(VALU_DEP_2) | instskip(NEXT) | instid1(VALU_DEP_1)
	v_fmac_f32_e32 v9, 0x3f317217, v8
	v_dual_cndmask_b32 v8, v8, v9 :: v_dual_mov_b32 v9, 1.0
	s_delay_alu instid0(VALU_DEP_1) | instskip(NEXT) | instid1(VALU_DEP_1)
	v_subrev_f32_e32 v8, s2, v8
	v_fmamk_f32 v6, v8, 0x3dcccccd, v9
	s_delay_alu instid0(VALU_DEP_1)
	v_mul_f32_e32 v6, s14, v6
	s_branch .LBB33_11
.LBB33_10:
	v_mov_b32_e32 v6, s14
.LBB33_11:
	s_delay_alu instid0(VALU_DEP_2) | instskip(SKIP_1) | instid1(VALU_DEP_2)
	v_and_b32_e32 v0, 0x7fffffff, v1
	v_cmp_ngt_f32_e64 s4, 0x48000000, |v1|
                                        ; implicit-def: $vgpr8
                                        ; implicit-def: $vgpr7
	v_lshrrev_b32_e32 v9, 23, v0
	s_and_saveexec_b32 s2, s4
	s_delay_alu instid0(SALU_CYCLE_1)
	s_xor_b32 s6, exec_lo, s2
	s_cbranch_execz .LBB33_13
; %bb.12:
	s_mov_b32 s2, 0x7fffff
	v_mov_b32_e32 v11, 0
	v_and_or_b32 v10, v0, s2, 0x800000
	s_mov_b64 s[2:3], 0xfe5163ab
	v_add_nc_u32_e32 v7, 0xffffff88, v9
	s_delay_alu instid0(VALU_DEP_2) | instskip(NEXT) | instid1(VALU_DEP_2)
	v_mul_u64_e32 v[12:13], s[2:3], v[10:11]
	v_cmp_lt_u32_e32 vcc_lo, 63, v7
	v_cndmask_b32_e64 v8, 0, 0xffffffc0, vcc_lo
	s_delay_alu instid0(VALU_DEP_3) | instskip(SKIP_2) | instid1(VALU_DEP_3)
	v_dual_mov_b32 v14, v13 :: v_dual_mov_b32 v15, v11
	v_dual_mov_b32 v17, v11 :: v_dual_mov_b32 v19, v11
	;; [unrolled: 1-line block ×3, first 2 shown]
	v_mad_nc_u64_u32 v[14:15], 0x3c439041, v10, v[14:15]
	v_dual_add_nc_u32 v7, v8, v7 :: v_dual_mov_b32 v25, v11
	s_delay_alu instid0(VALU_DEP_1) | instskip(NEXT) | instid1(VALU_DEP_3)
	v_cmp_lt_u32_e64 s2, 31, v7
	v_mov_b32_e32 v16, v15
	s_delay_alu instid0(VALU_DEP_2) | instskip(NEXT) | instid1(VALU_DEP_2)
	v_cndmask_b32_e64 v8, 0, 0xffffffe0, s2
	v_mad_nc_u64_u32 v[16:17], 0xdb629599, v10, v[16:17]
	s_delay_alu instid0(VALU_DEP_2) | instskip(NEXT) | instid1(VALU_DEP_1)
	v_add_nc_u32_e32 v7, v8, v7
	v_cmp_lt_u32_e64 s3, 31, v7
	s_delay_alu instid0(VALU_DEP_3) | instskip(NEXT) | instid1(VALU_DEP_2)
	v_mov_b32_e32 v18, v17
	v_cndmask_b32_e64 v8, 0, 0xffffffe0, s3
	v_cndmask_b32_e32 v12, v16, v12, vcc_lo
	s_delay_alu instid0(VALU_DEP_3) | instskip(NEXT) | instid1(VALU_DEP_1)
	v_mad_nc_u64_u32 v[18:19], 0xf534ddc0, v10, v[18:19]
	v_dual_cndmask_b32 v8, v18, v14 :: v_dual_add_nc_u32 v7, v8, v7
	s_delay_alu instid0(VALU_DEP_2) | instskip(NEXT) | instid1(VALU_DEP_1)
	v_mov_b32_e32 v20, v19
	v_mad_nc_u64_u32 v[20:21], 0xfc2757d1, v10, v[20:21]
	s_delay_alu instid0(VALU_DEP_1) | instskip(NEXT) | instid1(VALU_DEP_1)
	v_dual_mov_b32 v22, v21 :: v_dual_cndmask_b32 v15, v20, v16
	v_mad_nc_u64_u32 v[22:23], 0x4e441529, v10, v[22:23]
	s_delay_alu instid0(VALU_DEP_1) | instskip(NEXT) | instid1(VALU_DEP_1)
	v_dual_mov_b32 v24, v23 :: v_dual_cndmask_b32 v13, v22, v18
	v_mad_nc_u64_u32 v[10:11], 0xa2f9836e, v10, v[24:25]
	s_delay_alu instid0(VALU_DEP_1) | instskip(SKIP_1) | instid1(VALU_DEP_2)
	v_dual_cndmask_b32 v10, v10, v20 :: v_dual_cndmask_b32 v11, v11, v22
	v_cmp_eq_u32_e32 vcc_lo, 0, v7
	v_dual_cndmask_b32 v14, v10, v13, s2 :: v_dual_cndmask_b32 v10, v11, v10, s2
	v_dual_cndmask_b32 v11, v13, v15, s2 :: v_dual_cndmask_b32 v15, v15, v8, s2
	v_dual_sub_nc_u32 v13, 32, v7 :: v_dual_cndmask_b32 v8, v8, v12, s2
	s_delay_alu instid0(VALU_DEP_3) | instskip(NEXT) | instid1(VALU_DEP_2)
	v_cndmask_b32_e64 v10, v10, v14, s3
	v_dual_cndmask_b32 v14, v14, v11, s3 :: v_dual_cndmask_b32 v8, v15, v8, s3
	s_delay_alu instid0(VALU_DEP_1) | instskip(NEXT) | instid1(VALU_DEP_1)
	v_alignbit_b32 v17, v10, v14, v13
	v_dual_cndmask_b32 v11, v11, v15, s3 :: v_dual_cndmask_b32 v7, v17, v10, vcc_lo
	s_delay_alu instid0(VALU_DEP_1) | instskip(NEXT) | instid1(VALU_DEP_4)
	v_alignbit_b32 v16, v14, v11, v13
	v_alignbit_b32 v13, v11, v8, v13
	s_delay_alu instid0(VALU_DEP_3) | instskip(NEXT) | instid1(VALU_DEP_2)
	v_bfe_u32 v12, v7, 29, 1
	v_dual_cndmask_b32 v10, v16, v14 :: v_dual_cndmask_b32 v11, v13, v11
	s_delay_alu instid0(VALU_DEP_2) | instskip(NEXT) | instid1(VALU_DEP_2)
	v_sub_nc_u32_e32 v15, 0, v12
	v_alignbit_b32 v14, v7, v10, 30
	s_delay_alu instid0(VALU_DEP_3) | instskip(SKIP_1) | instid1(VALU_DEP_3)
	v_alignbit_b32 v10, v10, v11, 30
	v_alignbit_b32 v8, v11, v8, 30
	v_xor_b32_e32 v14, v14, v15
	s_delay_alu instid0(VALU_DEP_2) | instskip(NEXT) | instid1(VALU_DEP_2)
	v_xor_b32_e32 v8, v8, v15
	v_clz_i32_u32_e32 v13, v14
	s_delay_alu instid0(VALU_DEP_1) | instskip(NEXT) | instid1(VALU_DEP_1)
	v_min_u32_e32 v13, 32, v13
	v_dual_lshlrev_b32 v16, 23, v13 :: v_dual_bitop2_b32 v10, v10, v15 bitop3:0x14
	v_sub_nc_u32_e32 v11, 31, v13
	s_delay_alu instid0(VALU_DEP_1) | instskip(SKIP_2) | instid1(VALU_DEP_1)
	v_alignbit_b32 v14, v14, v10, v11
	v_lshrrev_b32_e32 v15, 29, v7
	v_alignbit_b32 v8, v10, v8, v11
	v_alignbit_b32 v11, v14, v8, 9
	s_delay_alu instid0(VALU_DEP_3) | instskip(NEXT) | instid1(VALU_DEP_2)
	v_dual_lshrrev_b32 v14, 9, v14 :: v_dual_lshlrev_b32 v10, 31, v15
	v_clz_i32_u32_e32 v17, v11
	s_delay_alu instid0(VALU_DEP_2) | instskip(SKIP_1) | instid1(VALU_DEP_2)
	v_or_b32_e32 v15, 0.5, v10
	v_or_b32_e32 v10, 0x33000000, v10
	v_sub_nc_u32_e32 v15, v15, v16
	s_delay_alu instid0(VALU_DEP_4) | instskip(NEXT) | instid1(VALU_DEP_1)
	v_min_u32_e32 v16, 32, v17
	v_add_lshl_u32 v13, v16, v13, 23
	s_delay_alu instid0(VALU_DEP_1) | instskip(NEXT) | instid1(VALU_DEP_4)
	v_sub_nc_u32_e32 v10, v10, v13
	v_or_b32_e32 v14, v14, v15
	v_not_b32_e32 v15, v16
	s_delay_alu instid0(VALU_DEP_1) | instskip(NEXT) | instid1(VALU_DEP_1)
	v_alignbit_b32 v8, v11, v8, v15
	v_dual_mul_f32 v17, 0x3fc90fda, v14 :: v_dual_lshrrev_b32 v8, 9, v8
	s_delay_alu instid0(VALU_DEP_1) | instskip(NEXT) | instid1(VALU_DEP_2)
	v_or_b32_e32 v8, v10, v8
	v_fma_f32 v11, 0x3fc90fda, v14, -v17
	s_delay_alu instid0(VALU_DEP_1) | instskip(NEXT) | instid1(VALU_DEP_1)
	v_fmamk_f32 v11, v14, 0x33a22168, v11
	v_dual_fmac_f32 v11, 0x3fc90fda, v8 :: v_dual_lshrrev_b32 v8, 30, v7
	s_delay_alu instid0(VALU_DEP_1)
	v_dual_add_f32 v7, v17, v11 :: v_dual_add_nc_u32 v8, v12, v8
	s_or_saveexec_b32 s2, s6
	v_mul_f32_e64 v12, 0x3f22f983, |v1|
	s_xor_b32 exec_lo, exec_lo, s2
	s_branch .LBB33_14
.LBB33_13:
	s_or_saveexec_b32 s2, s6
	v_mul_f32_e64 v12, 0x3f22f983, |v1|
	s_xor_b32 exec_lo, exec_lo, s2
.LBB33_14:
	s_delay_alu instid0(VALU_DEP_1) | instskip(NEXT) | instid1(VALU_DEP_1)
	v_rndne_f32_e32 v8, v12
	v_fma_f32 v7, 0xbfc90fda, v8, |v1|
	s_delay_alu instid0(VALU_DEP_1) | instskip(NEXT) | instid1(VALU_DEP_1)
	v_fmamk_f32 v7, v8, 0xb3a22168, v7
	v_fmamk_f32 v7, v8, 0xa7c234c4, v7
	v_cvt_i32_f32_e32 v8, v8
; %bb.15:
	s_or_b32 exec_lo, exec_lo, s2
                                        ; implicit-def: $vgpr11
                                        ; implicit-def: $vgpr10
	s_and_saveexec_b32 s2, s4
	s_delay_alu instid0(SALU_CYCLE_1)
	s_xor_b32 s4, exec_lo, s2
	s_cbranch_execz .LBB33_17
; %bb.16:
	s_mov_b32 s2, 0x7fffff
	v_mov_b32_e32 v11, 0
	v_and_or_b32 v10, v0, s2, 0x800000
	s_mov_b64 s[2:3], 0xfe5163ab
	v_add_nc_u32_e32 v9, 0xffffff88, v9
	s_delay_alu instid0(VALU_DEP_2) | instskip(NEXT) | instid1(VALU_DEP_2)
	v_mul_u64_e32 v[12:13], s[2:3], v[10:11]
	v_cmp_lt_u32_e32 vcc_lo, 63, v9
	s_delay_alu instid0(VALU_DEP_2) | instskip(SKIP_2) | instid1(VALU_DEP_3)
	v_dual_mov_b32 v14, v13 :: v_dual_mov_b32 v15, v11
	v_dual_mov_b32 v17, v11 :: v_dual_mov_b32 v19, v11
	;; [unrolled: 1-line block ×3, first 2 shown]
	v_mad_nc_u64_u32 v[14:15], 0x3c439041, v10, v[14:15]
	v_cndmask_b32_e64 v13, 0, 0xffffffc0, vcc_lo
	s_delay_alu instid0(VALU_DEP_1) | instskip(NEXT) | instid1(VALU_DEP_3)
	v_dual_mov_b32 v25, v11 :: v_dual_add_nc_u32 v9, v13, v9
	v_mov_b32_e32 v16, v15
	s_delay_alu instid0(VALU_DEP_2) | instskip(NEXT) | instid1(VALU_DEP_2)
	v_cmp_lt_u32_e64 s2, 31, v9
	v_mad_nc_u64_u32 v[16:17], 0xdb629599, v10, v[16:17]
	s_delay_alu instid0(VALU_DEP_2) | instskip(NEXT) | instid1(VALU_DEP_1)
	v_cndmask_b32_e64 v13, 0, 0xffffffe0, s2
	v_add_nc_u32_e32 v9, v13, v9
	s_delay_alu instid0(VALU_DEP_3) | instskip(NEXT) | instid1(VALU_DEP_2)
	v_mov_b32_e32 v18, v17
	v_cmp_lt_u32_e64 s3, 31, v9
	v_cndmask_b32_e32 v12, v16, v12, vcc_lo
	s_delay_alu instid0(VALU_DEP_3) | instskip(NEXT) | instid1(VALU_DEP_3)
	v_mad_nc_u64_u32 v[18:19], 0xf534ddc0, v10, v[18:19]
	v_cndmask_b32_e64 v13, 0, 0xffffffe0, s3
	s_delay_alu instid0(VALU_DEP_1) | instskip(NEXT) | instid1(VALU_DEP_3)
	v_dual_add_nc_u32 v9, v13, v9 :: v_dual_cndmask_b32 v13, v18, v14, vcc_lo
	v_mov_b32_e32 v20, v19
	s_delay_alu instid0(VALU_DEP_1) | instskip(NEXT) | instid1(VALU_DEP_1)
	v_mad_nc_u64_u32 v[20:21], 0xfc2757d1, v10, v[20:21]
	v_dual_mov_b32 v22, v21 :: v_dual_cndmask_b32 v17, v20, v16
	s_delay_alu instid0(VALU_DEP_1) | instskip(NEXT) | instid1(VALU_DEP_1)
	v_mad_nc_u64_u32 v[22:23], 0x4e441529, v10, v[22:23]
	v_dual_mov_b32 v24, v23 :: v_dual_cndmask_b32 v15, v22, v18
	s_delay_alu instid0(VALU_DEP_1) | instskip(NEXT) | instid1(VALU_DEP_1)
	v_mad_nc_u64_u32 v[10:11], 0xa2f9836e, v10, v[24:25]
	v_dual_cndmask_b32 v10, v10, v20 :: v_dual_cndmask_b32 v11, v11, v22
	v_cmp_eq_u32_e32 vcc_lo, 0, v9
	s_delay_alu instid0(VALU_DEP_2) | instskip(SKIP_2) | instid1(VALU_DEP_3)
	v_dual_cndmask_b32 v14, v10, v15, s2 :: v_dual_cndmask_b32 v10, v11, v10, s2
	v_cndmask_b32_e64 v11, v15, v17, s2
	v_sub_nc_u32_e32 v15, 32, v9
	v_dual_cndmask_b32 v17, v17, v13, s2 :: v_dual_cndmask_b32 v10, v10, v14, s3
	s_delay_alu instid0(VALU_DEP_3) | instskip(NEXT) | instid1(VALU_DEP_1)
	v_cndmask_b32_e64 v14, v14, v11, s3
	v_alignbit_b32 v18, v10, v14, v15
	s_delay_alu instid0(VALU_DEP_1) | instskip(NEXT) | instid1(VALU_DEP_1)
	v_dual_cndmask_b32 v11, v11, v17, s3 :: v_dual_cndmask_b32 v9, v18, v10, vcc_lo
	v_alignbit_b32 v16, v14, v11, v15
	v_cndmask_b32_e64 v10, v13, v12, s2
	s_delay_alu instid0(VALU_DEP_3) | instskip(NEXT) | instid1(VALU_DEP_3)
	v_bfe_u32 v13, v9, 29, 1
	v_cndmask_b32_e32 v12, v16, v14, vcc_lo
	s_delay_alu instid0(VALU_DEP_2) | instskip(NEXT) | instid1(VALU_DEP_2)
	v_dual_cndmask_b32 v10, v17, v10, s3 :: v_dual_sub_nc_u32 v16, 0, v13
	v_alignbit_b32 v14, v9, v12, 30
	s_delay_alu instid0(VALU_DEP_2) | instskip(NEXT) | instid1(VALU_DEP_1)
	v_alignbit_b32 v15, v11, v10, v15
	v_dual_cndmask_b32 v11, v15, v11, vcc_lo :: v_dual_bitop2_b32 v14, v14, v16 bitop3:0x14
	s_delay_alu instid0(VALU_DEP_1) | instskip(NEXT) | instid1(VALU_DEP_2)
	v_clz_i32_u32_e32 v15, v14
	v_alignbit_b32 v12, v12, v11, 30
	v_alignbit_b32 v10, v11, v10, 30
	s_delay_alu instid0(VALU_DEP_3) | instskip(NEXT) | instid1(VALU_DEP_3)
	v_min_u32_e32 v15, 32, v15
	v_xor_b32_e32 v11, v12, v16
	s_delay_alu instid0(VALU_DEP_3) | instskip(NEXT) | instid1(VALU_DEP_3)
	v_dual_lshrrev_b32 v16, 29, v9 :: v_dual_bitop2_b32 v10, v10, v16 bitop3:0x14
	v_dual_lshrrev_b32 v9, 30, v9 :: v_dual_sub_nc_u32 v12, 31, v15
	v_lshlrev_b32_e32 v17, 23, v15
	s_delay_alu instid0(VALU_DEP_2) | instskip(NEXT) | instid1(VALU_DEP_4)
	v_alignbit_b32 v14, v14, v11, v12
	v_alignbit_b32 v10, v11, v10, v12
	v_lshlrev_b32_e32 v11, 31, v16
	s_delay_alu instid0(VALU_DEP_2) | instskip(NEXT) | instid1(VALU_DEP_2)
	v_alignbit_b32 v12, v14, v10, 9
	v_dual_lshrrev_b32 v14, 9, v14 :: v_dual_bitop2_b32 v16, 0.5, v11 bitop3:0x54
	v_or_b32_e32 v11, 0x33000000, v11
	s_delay_alu instid0(VALU_DEP_3) | instskip(NEXT) | instid1(VALU_DEP_3)
	v_clz_i32_u32_e32 v18, v12
	v_sub_nc_u32_e32 v16, v16, v17
	s_delay_alu instid0(VALU_DEP_2) | instskip(NEXT) | instid1(VALU_DEP_1)
	v_min_u32_e32 v17, 32, v18
	v_add_lshl_u32 v15, v17, v15, 23
	s_delay_alu instid0(VALU_DEP_1) | instskip(SKIP_1) | instid1(VALU_DEP_1)
	v_dual_sub_nc_u32 v11, v11, v15 :: v_dual_bitop2_b32 v14, v14, v16 bitop3:0x54
	v_not_b32_e32 v16, v17
	v_alignbit_b32 v10, v12, v10, v16
	s_delay_alu instid0(VALU_DEP_1) | instskip(NEXT) | instid1(VALU_DEP_4)
	v_lshrrev_b32_e32 v10, 9, v10
	v_mul_f32_e32 v18, 0x3fc90fda, v14
	s_delay_alu instid0(VALU_DEP_2) | instskip(NEXT) | instid1(VALU_DEP_2)
	v_or_b32_e32 v10, v11, v10
	v_fma_f32 v12, 0x3fc90fda, v14, -v18
	s_delay_alu instid0(VALU_DEP_1) | instskip(NEXT) | instid1(VALU_DEP_1)
	v_dual_fmamk_f32 v12, v14, 0x33a22168, v12 :: v_dual_add_nc_u32 v11, v13, v9
	v_fmac_f32_e32 v12, 0x3fc90fda, v10
	s_delay_alu instid0(VALU_DEP_1)
	v_add_f32_e32 v10, v18, v12
                                        ; implicit-def: $vgpr12
	s_and_not1_saveexec_b32 s2, s4
	s_cbranch_execnz .LBB33_18
	s_branch .LBB33_19
.LBB33_17:
	s_and_not1_saveexec_b32 s2, s4
.LBB33_18:
	v_rndne_f32_e32 v9, v12
	s_delay_alu instid0(VALU_DEP_1) | instskip(SKIP_1) | instid1(VALU_DEP_2)
	v_fma_f32 v10, 0xbfc90fda, v9, |v1|
	v_cvt_i32_f32_e32 v11, v9
	v_fmamk_f32 v10, v9, 0xb3a22168, v10
	s_delay_alu instid0(VALU_DEP_1)
	v_fmamk_f32 v10, v9, 0xa7c234c4, v10
.LBB33_19:
	s_or_b32 exec_lo, exec_lo, s2
	v_mad_u32 v9, v3, s9, v2
	v_mul_lo_u32 v12, v4, s5
	s_load_b128 s[0:3], s[0:1], 0x0
	s_ashr_i32 s5, s17, 31
	s_mov_b32 s4, s17
	v_mad_u32 v2, v3, s16, v2
	s_lshl_b64 s[4:5], s[4:5], 1
	v_dual_lshlrev_b32 v11, 30, v11 :: v_dual_bitop2_b32 v3, 1, v11 bitop3:0x40
	s_delay_alu instid0(VALU_DEP_4) | instskip(NEXT) | instid1(VALU_DEP_4)
	v_mad_u32 v9, v4, s8, v9
	v_sub_nc_u32_e32 v5, v5, v12
	s_delay_alu instid0(VALU_DEP_3) | instskip(SKIP_1) | instid1(VALU_DEP_3)
	v_and_b32_e32 v11, 0x80000000, v11
	v_mad_u32 v2, v4, s11, v2
	v_mad_u32 v12, v5, s7, v9
	s_delay_alu instid0(VALU_DEP_1) | instskip(SKIP_1) | instid1(VALU_DEP_1)
	v_ashrrev_i32_e32 v13, 31, v12
	s_wait_kmcnt 0x0
	v_lshl_add_u64 v[14:15], v[12:13], 1, s[0:1]
	s_delay_alu instid0(VALU_DEP_1)
	v_add_nc_u64_e32 v[14:15], s[4:5], v[14:15]
	s_clause 0x1
	global_load_u16 v9, v[14:15], off
	global_load_u16 v13, v12, s[0:1] scale_offset
	s_wait_xcnt 0x0
	v_dual_mul_f32 v12, v7, v7 :: v_dual_bitop2_b32 v14, 1, v8 bitop3:0x40
	v_dual_mul_f32 v15, v10, v10 :: v_dual_lshlrev_b32 v8, 30, v8
	s_mov_b32 s0, 0xb94c1982
	s_mov_b32 s1, 0x37d75334
	s_delay_alu instid0(VALU_DEP_2) | instskip(SKIP_3) | instid1(VALU_DEP_3)
	v_cmp_eq_u32_e32 vcc_lo, 0, v14
	v_fmaak_f32 v17, s1, v12, 0xbab64f3b
	v_fmaak_f32 v18, s0, v15, 0x3c0881c4
	v_xor_b32_e32 v20, v0, v1
	v_fmaak_f32 v17, v12, v17, 0x3d2aabf7
	s_delay_alu instid0(VALU_DEP_3) | instskip(SKIP_1) | instid1(VALU_DEP_1)
	v_fmaak_f32 v18, v15, v18, 0xbe2aaa9d
	v_fmaak_f32 v16, s0, v12, 0x3c0881c4
	;; [unrolled: 1-line block ×3, first 2 shown]
	s_delay_alu instid0(VALU_DEP_1) | instskip(NEXT) | instid1(VALU_DEP_4)
	v_dual_fmaak_f32 v19, s1, v15, 0xbab64f3b :: v_dual_mul_f32 v0, v12, v16
	v_dual_fmaak_f32 v16, v12, v17, 0xbf000004 :: v_dual_mul_f32 v17, v15, v18
	s_delay_alu instid0(VALU_DEP_2) | instskip(NEXT) | instid1(VALU_DEP_3)
	v_fmaak_f32 v19, v15, v19, 0x3d2aabf7
	v_fmac_f32_e32 v7, v7, v0
	s_delay_alu instid0(VALU_DEP_3) | instskip(NEXT) | instid1(VALU_DEP_1)
	v_fma_f32 v0, v12, v16, 1.0
	v_dual_fmac_f32 v10, v10, v17 :: v_dual_cndmask_b32 v7, -v7, v0, vcc_lo
	v_cmp_eq_u32_e32 vcc_lo, 0, v3
	v_fmaak_f32 v18, v15, v19, 0xbf000004
	v_mad_u32 v0, v5, s10, v2
	s_delay_alu instid0(VALU_DEP_4) | instskip(NEXT) | instid1(VALU_DEP_3)
	v_bitop3_b32 v2, v8, v7, 0x80000000 bitop3:0x6c
	v_fma_f32 v4, v15, v18, 1.0
	s_delay_alu instid0(VALU_DEP_1) | instskip(SKIP_2) | instid1(VALU_DEP_3)
	v_cndmask_b32_e32 v3, v4, v10, vcc_lo
	v_cmp_class_f32_e64 vcc_lo, v1, 0x1f8
	v_ashrrev_i32_e32 v1, 31, v0
	v_xor3_b32 v3, v20, v11, v3
	s_wait_loadcnt 0x1
	v_cvt_f32_f16_e32 v7, v9
	s_wait_loadcnt 0x0
	v_cvt_f32_f16_e32 v8, v13
	v_cndmask_b32_e32 v4, 0x7fc00000, v2, vcc_lo
	v_cndmask_b32_e32 v2, 0x7fc00000, v3, vcc_lo
	s_delay_alu instid0(VALU_DEP_1) | instskip(SKIP_1) | instid1(VALU_DEP_2)
	v_mul_f32_e64 v5, v2, -v6
	v_lshl_add_u64 v[2:3], v[0:1], 1, s[2:3]
	v_dual_mul_f32 v1, v6, v4 :: v_dual_mul_f32 v4, v5, v7
	v_mul_f32_e32 v5, v5, v8
	s_delay_alu instid0(VALU_DEP_3) | instskip(NEXT) | instid1(VALU_DEP_3)
	v_add_nc_u64_e32 v[2:3], s[4:5], v[2:3]
	v_fma_mixlo_f16 v4, v1, v13, -v4 op_sel_hi:[0,1,0]
	s_delay_alu instid0(VALU_DEP_3)
	v_fma_mixlo_f16 v1, v1, v9, v5 op_sel_hi:[0,1,0]
	s_clause 0x1
	global_store_b16 v0, v4, s[2:3] scale_offset
	global_store_b16 v[2:3], v1, off
.LBB33_20:
	s_endpgm
	.section	.rodata,"a",@progbits
	.p2align	6, 0x0
	.amdhsa_kernel _ZL11rope_visionILb0ELb1E6__halfEvPKT1_PS1_iiiiiiiiiiPKifff14rope_corr_dimsfPKf14mrope_sections
		.amdhsa_group_segment_fixed_size 0
		.amdhsa_private_segment_fixed_size 0
		.amdhsa_kernarg_size 368
		.amdhsa_user_sgpr_count 2
		.amdhsa_user_sgpr_dispatch_ptr 0
		.amdhsa_user_sgpr_queue_ptr 0
		.amdhsa_user_sgpr_kernarg_segment_ptr 1
		.amdhsa_user_sgpr_dispatch_id 0
		.amdhsa_user_sgpr_kernarg_preload_length 0
		.amdhsa_user_sgpr_kernarg_preload_offset 0
		.amdhsa_user_sgpr_private_segment_size 0
		.amdhsa_wavefront_size32 1
		.amdhsa_uses_dynamic_stack 0
		.amdhsa_enable_private_segment 0
		.amdhsa_system_sgpr_workgroup_id_x 1
		.amdhsa_system_sgpr_workgroup_id_y 1
		.amdhsa_system_sgpr_workgroup_id_z 0
		.amdhsa_system_sgpr_workgroup_info 0
		.amdhsa_system_vgpr_workitem_id 1
		.amdhsa_next_free_vgpr 26
		.amdhsa_next_free_sgpr 21
		.amdhsa_named_barrier_count 0
		.amdhsa_reserve_vcc 1
		.amdhsa_float_round_mode_32 0
		.amdhsa_float_round_mode_16_64 0
		.amdhsa_float_denorm_mode_32 3
		.amdhsa_float_denorm_mode_16_64 3
		.amdhsa_fp16_overflow 0
		.amdhsa_memory_ordered 1
		.amdhsa_forward_progress 1
		.amdhsa_inst_pref_size 38
		.amdhsa_round_robin_scheduling 0
		.amdhsa_exception_fp_ieee_invalid_op 0
		.amdhsa_exception_fp_denorm_src 0
		.amdhsa_exception_fp_ieee_div_zero 0
		.amdhsa_exception_fp_ieee_overflow 0
		.amdhsa_exception_fp_ieee_underflow 0
		.amdhsa_exception_fp_ieee_inexact 0
		.amdhsa_exception_int_div_zero 0
	.end_amdhsa_kernel
	.section	.text._ZL11rope_visionILb0ELb1E6__halfEvPKT1_PS1_iiiiiiiiiiPKifff14rope_corr_dimsfPKf14mrope_sections,"axG",@progbits,_ZL11rope_visionILb0ELb1E6__halfEvPKT1_PS1_iiiiiiiiiiPKifff14rope_corr_dimsfPKf14mrope_sections,comdat
.Lfunc_end33:
	.size	_ZL11rope_visionILb0ELb1E6__halfEvPKT1_PS1_iiiiiiiiiiPKifff14rope_corr_dimsfPKf14mrope_sections, .Lfunc_end33-_ZL11rope_visionILb0ELb1E6__halfEvPKT1_PS1_iiiiiiiiiiPKifff14rope_corr_dimsfPKf14mrope_sections
                                        ; -- End function
	.set _ZL11rope_visionILb0ELb1E6__halfEvPKT1_PS1_iiiiiiiiiiPKifff14rope_corr_dimsfPKf14mrope_sections.num_vgpr, 26
	.set _ZL11rope_visionILb0ELb1E6__halfEvPKT1_PS1_iiiiiiiiiiPKifff14rope_corr_dimsfPKf14mrope_sections.num_agpr, 0
	.set _ZL11rope_visionILb0ELb1E6__halfEvPKT1_PS1_iiiiiiiiiiPKifff14rope_corr_dimsfPKf14mrope_sections.numbered_sgpr, 21
	.set _ZL11rope_visionILb0ELb1E6__halfEvPKT1_PS1_iiiiiiiiiiPKifff14rope_corr_dimsfPKf14mrope_sections.num_named_barrier, 0
	.set _ZL11rope_visionILb0ELb1E6__halfEvPKT1_PS1_iiiiiiiiiiPKifff14rope_corr_dimsfPKf14mrope_sections.private_seg_size, 0
	.set _ZL11rope_visionILb0ELb1E6__halfEvPKT1_PS1_iiiiiiiiiiPKifff14rope_corr_dimsfPKf14mrope_sections.uses_vcc, 1
	.set _ZL11rope_visionILb0ELb1E6__halfEvPKT1_PS1_iiiiiiiiiiPKifff14rope_corr_dimsfPKf14mrope_sections.uses_flat_scratch, 0
	.set _ZL11rope_visionILb0ELb1E6__halfEvPKT1_PS1_iiiiiiiiiiPKifff14rope_corr_dimsfPKf14mrope_sections.has_dyn_sized_stack, 0
	.set _ZL11rope_visionILb0ELb1E6__halfEvPKT1_PS1_iiiiiiiiiiPKifff14rope_corr_dimsfPKf14mrope_sections.has_recursion, 0
	.set _ZL11rope_visionILb0ELb1E6__halfEvPKT1_PS1_iiiiiiiiiiPKifff14rope_corr_dimsfPKf14mrope_sections.has_indirect_call, 0
	.section	.AMDGPU.csdata,"",@progbits
; Kernel info:
; codeLenInByte = 4776
; TotalNumSgprs: 23
; NumVgprs: 26
; ScratchSize: 0
; MemoryBound: 0
; FloatMode: 240
; IeeeMode: 1
; LDSByteSize: 0 bytes/workgroup (compile time only)
; SGPRBlocks: 0
; VGPRBlocks: 1
; NumSGPRsForWavesPerEU: 23
; NumVGPRsForWavesPerEU: 26
; NamedBarCnt: 0
; Occupancy: 16
; WaveLimiterHint : 0
; COMPUTE_PGM_RSRC2:SCRATCH_EN: 0
; COMPUTE_PGM_RSRC2:USER_SGPR: 2
; COMPUTE_PGM_RSRC2:TRAP_HANDLER: 0
; COMPUTE_PGM_RSRC2:TGID_X_EN: 1
; COMPUTE_PGM_RSRC2:TGID_Y_EN: 1
; COMPUTE_PGM_RSRC2:TGID_Z_EN: 0
; COMPUTE_PGM_RSRC2:TIDIG_COMP_CNT: 1
	.section	.text._ZL9rope_normILb0ELb0EffEvPKT1_PT2_iiiiiiiiiiPKifff14rope_corr_dimsfPKfPKli,"axG",@progbits,_ZL9rope_normILb0ELb0EffEvPKT1_PT2_iiiiiiiiiiPKifff14rope_corr_dimsfPKfPKli,comdat
	.globl	_ZL9rope_normILb0ELb0EffEvPKT1_PT2_iiiiiiiiiiPKifff14rope_corr_dimsfPKfPKli ; -- Begin function _ZL9rope_normILb0ELb0EffEvPKT1_PT2_iiiiiiiiiiPKifff14rope_corr_dimsfPKfPKli
	.p2align	8
	.type	_ZL9rope_normILb0ELb0EffEvPKT1_PT2_iiiiiiiiiiPKifff14rope_corr_dimsfPKfPKli,@function
_ZL9rope_normILb0ELb0EffEvPKT1_PT2_iiiiiiiiiiPKifff14rope_corr_dimsfPKfPKli: ; @_ZL9rope_normILb0ELb0EffEvPKT1_PT2_iiiiiiiiiiPKifff14rope_corr_dimsfPKfPKli
; %bb.0:
	s_clause 0x1
	s_load_u16 s3, s[0:1], 0x7e
	s_load_b256 s[4:11], s[0:1], 0x10
	s_bfe_u32 s2, ttmp6, 0x40010
	s_bfe_u32 s13, ttmp6, 0x40004
	s_add_co_i32 s2, s2, 1
	v_bfe_u32 v1, v0, 10, 10
	s_mul_i32 s12, ttmp7, s2
	s_getreg_b32 s2, hwreg(HW_REG_IB_STS2, 6, 4)
	s_add_co_i32 s13, s13, s12
	s_cmp_eq_u32 s2, 0
	s_cselect_b32 s12, ttmp7, s13
	s_wait_kmcnt 0x0
	s_mul_i32 s12, s12, s3
	s_mov_b32 s3, exec_lo
	v_add_lshl_u32 v7, s12, v1, 1
	s_delay_alu instid0(VALU_DEP_1)
	v_cmpx_gt_i32_e64 s4, v7
	s_cbranch_execz .LBB34_19
; %bb.1:
	s_add_nc_u64 s[12:13], s[0:1], 0x70
	s_bfe_u32 s4, ttmp6, 0x4000c
	s_load_b32 s3, s[12:13], 0xc
	s_add_co_i32 s4, s4, 1
	s_wait_xcnt 0x0
	s_and_b32 s12, ttmp6, 15
	s_mul_i32 s4, ttmp9, s4
	v_and_b32_e32 v0, 0x3ff, v0
	s_add_co_i32 s12, s12, s4
	s_wait_kmcnt 0x0
	s_and_b32 s3, s3, 0xffff
	s_cmp_eq_u32 s2, 0
	s_mul_i32 s2, s6, s5
	s_cselect_b32 s4, ttmp9, s12
	s_abs_i32 s6, s2
	v_mad_u32 v2, s4, s3, v0
	s_cvt_f32_u32 s12, s6
	s_sub_co_i32 s4, 0, s6
	s_delay_alu instid0(SALU_CYCLE_2) | instskip(NEXT) | instid1(VALU_DEP_1)
	v_rcp_iflag_f32_e32 v1, s12
	v_sub_nc_u32_e32 v0, 0, v2
	s_delay_alu instid0(TRANS32_DEP_1) | instskip(NEXT) | instid1(VALU_DEP_2)
	v_readfirstlane_b32 s3, v1
	v_max_i32_e32 v0, v2, v0
	s_mul_f32 s3, s3, 0x4f7ffffe
	s_delay_alu instid0(SALU_CYCLE_3) | instskip(NEXT) | instid1(SALU_CYCLE_3)
	s_cvt_u32_f32 s3, s3
	s_mul_i32 s4, s4, s3
	s_delay_alu instid0(SALU_CYCLE_1) | instskip(NEXT) | instid1(SALU_CYCLE_1)
	s_mul_hi_u32 s4, s3, s4
	s_add_co_i32 s3, s3, s4
	s_load_b32 s4, s[0:1], 0x68
	v_mul_hi_u32 v1, v0, s3
	s_cvt_f32_u32 s3, s5
	s_delay_alu instid0(VALU_DEP_1) | instskip(NEXT) | instid1(VALU_DEP_1)
	v_mul_lo_u32 v3, v1, s6
	v_dual_sub_nc_u32 v0, v0, v3 :: v_dual_add_nc_u32 v3, 1, v1
	s_delay_alu instid0(VALU_DEP_1) | instskip(NEXT) | instid1(VALU_DEP_2)
	v_cmp_le_u32_e32 vcc_lo, s6, v0
	v_dual_cndmask_b32 v1, v1, v3, vcc_lo :: v_dual_bitop2_b32 v3, s2, v2 bitop3:0x14
	v_subrev_nc_u32_e32 v4, s6, v0
	s_delay_alu instid0(VALU_DEP_1) | instskip(NEXT) | instid1(VALU_DEP_1)
	v_dual_cndmask_b32 v0, v0, v4, vcc_lo :: v_dual_add_nc_u32 v4, 1, v1
	v_cmp_le_u32_e32 vcc_lo, s6, v0
	s_delay_alu instid0(VALU_DEP_2) | instskip(SKIP_1) | instid1(VALU_DEP_1)
	v_dual_cndmask_b32 v0, v1, v4 :: v_dual_ashrrev_i32 v3, 31, v3
	v_rcp_iflag_f32_e32 v1, s3
	v_xor_b32_e32 v0, v0, v3
	s_delay_alu instid0(TRANS32_DEP_1) | instskip(NEXT) | instid1(VALU_DEP_2)
	v_readfirstlane_b32 s3, v1
	v_sub_nc_u32_e32 v0, v0, v3
	s_delay_alu instid0(VALU_DEP_1) | instskip(SKIP_2) | instid1(SALU_CYCLE_2)
	v_mul_lo_u32 v1, s2, v0
	s_mul_f32 s2, s3, 0x4f7ffffe
	s_sub_co_i32 s3, 0, s5
	s_cvt_u32_f32 s2, s2
	s_delay_alu instid0(SALU_CYCLE_3) | instskip(NEXT) | instid1(VALU_DEP_1)
	s_mul_i32 s3, s3, s2
	v_sub_nc_u32_e32 v1, v2, v1
	s_mul_hi_u32 s3, s2, s3
	s_delay_alu instid0(SALU_CYCLE_1)
	s_add_co_i32 s2, s2, s3
	s_delay_alu instid0(VALU_DEP_1) | instid1(SALU_CYCLE_1)
	v_mul_hi_u32 v2, v1, s2
	s_load_b64 s[2:3], s[0:1], 0x30
	s_wait_kmcnt 0x0
	s_cmp_eq_u32 s4, 0
	s_delay_alu instid0(VALU_DEP_1) | instskip(NEXT) | instid1(VALU_DEP_1)
	v_mul_lo_u32 v3, v2, s5
	v_sub_nc_u32_e32 v3, v1, v3
	s_delay_alu instid0(VALU_DEP_1) | instskip(SKIP_1) | instid1(VALU_DEP_2)
	v_subrev_nc_u32_e32 v5, s5, v3
	v_cmp_le_u32_e32 vcc_lo, s5, v3
	v_dual_cndmask_b32 v3, v3, v5 :: v_dual_add_nc_u32 v4, 1, v2
	s_delay_alu instid0(VALU_DEP_1) | instskip(NEXT) | instid1(VALU_DEP_2)
	v_cndmask_b32_e32 v2, v2, v4, vcc_lo
	v_cmp_le_u32_e32 vcc_lo, s5, v3
	s_delay_alu instid0(VALU_DEP_2) | instskip(NEXT) | instid1(VALU_DEP_1)
	v_add_nc_u32_e32 v4, 1, v2
	v_cndmask_b32_e32 v4, v2, v4, vcc_lo
	s_cbranch_scc1 .LBB34_3
; %bb.2:
	s_load_b64 s[12:13], s[0:1], 0x60
	v_mov_b32_e32 v5, 0
	s_wait_kmcnt 0x0
	s_delay_alu instid0(VALU_DEP_1)
	v_lshl_add_u64 v[2:3], v[4:5], 3, s[12:13]
	global_load_b32 v2, v[2:3], off
	s_wait_loadcnt 0x0
	v_mul_lo_u32 v3, s4, v2
	s_branch .LBB34_4
.LBB34_3:
	v_mul_lo_u32 v2, v0, s2
	s_delay_alu instid0(VALU_DEP_1)
	v_mad_u32 v3, v4, s11, v2
.LBB34_4:
	v_mad_u32 v0, v0, s9, v7
	v_mul_lo_u32 v2, v4, s5
	s_mov_b32 s2, exec_lo
	s_delay_alu instid0(VALU_DEP_2) | instskip(NEXT) | instid1(VALU_DEP_2)
	v_mad_u32 v0, v4, s8, v0
	v_sub_nc_u32_e32 v1, v1, v2
	s_delay_alu instid0(VALU_DEP_1) | instskip(SKIP_1) | instid1(VALU_DEP_3)
	v_mul_lo_u32 v5, v1, s10
	s_load_b128 s[8:11], s[0:1], 0x0
	v_mad_u32 v2, v1, s7, v0
	s_delay_alu instid0(VALU_DEP_2) | instskip(NEXT) | instid1(VALU_DEP_1)
	v_add3_u32 v0, v5, v7, v3
	v_dual_ashrrev_i32 v1, 31, v0 :: v_dual_ashrrev_i32 v3, 31, v2
	v_cmpx_le_i32_e64 s3, v7
	s_xor_b32 s2, exec_lo, s2
	s_cbranch_execz .LBB34_6
; %bb.5:
	s_wait_kmcnt 0x0
	v_lshl_add_u64 v[2:3], v[2:3], 2, s[8:9]
	v_lshl_add_u64 v[0:1], v[0:1], 2, s[10:11]
                                        ; implicit-def: $vgpr4
                                        ; implicit-def: $vgpr7
	global_load_b64 v[2:3], v[2:3], off
	s_wait_loadcnt 0x0
	global_store_b64 v[0:1], v[2:3], off
                                        ; implicit-def: $vgpr2
                                        ; implicit-def: $vgpr0
.LBB34_6:
	s_wait_xcnt 0x0
	s_and_not1_saveexec_b32 s2, s2
	s_cbranch_execz .LBB34_19
; %bb.7:
	s_load_b64 s[6:7], s[0:1], 0x50
	v_cvt_f32_i32_e32 v5, v7
	s_mov_b32 s4, 0x3e76c4e1
	s_clause 0x1
	s_load_b64 s[2:3], s[0:1], 0x38
	s_load_b128 s[12:15], s[0:1], 0x40
	v_mul_f32_e32 v5, 0.5, v5
	s_wait_kmcnt 0x0
	s_cmp_neq_f32 s7, 1.0
	global_load_b32 v24, v4, s[2:3] scale_offset
	s_cselect_b32 vcc_lo, -1, 0
	v_cndmask_b32_e32 v6, 1.0, v5, vcc_lo
	s_delay_alu instid0(VALU_DEP_1) | instskip(SKIP_1) | instid1(VALU_DEP_1)
	v_cmp_neq_f32_e32 vcc_lo, 0, v6
	v_cndmask_b32_e64 v5, 1.0, s7, vcc_lo
	v_frexp_mant_f32_e64 v8, |v5|
	v_cmp_lt_f32_e64 s7, |v5|, 1.0
	v_cmp_class_f32_e64 s0, v5, 0x204
	s_delay_alu instid0(VALU_DEP_3) | instskip(SKIP_1) | instid1(VALU_DEP_1)
	v_cmp_gt_f32_e32 vcc_lo, 0x3f2aaaab, v8
	v_cndmask_b32_e64 v9, 1.0, 2.0, vcc_lo
	v_mul_f32_e32 v8, v8, v9
	s_delay_alu instid0(VALU_DEP_1) | instskip(SKIP_1) | instid1(VALU_DEP_2)
	v_dual_add_f32 v11, 1.0, v8 :: v_dual_add_f32 v9, -1.0, v8
	v_cmp_neq_f32_e64 s5, v6, |v6|
	v_rcp_f32_e32 v14, v11
	v_add_f32_e32 v12, -1.0, v11
	s_xor_b32 s5, s5, s7
	s_delay_alu instid0(TRANS32_DEP_1) | instid1(VALU_DEP_1)
	v_dual_mul_f32 v15, v9, v14 :: v_dual_sub_f32 v8, v8, v12
	s_delay_alu instid0(VALU_DEP_1) | instskip(NEXT) | instid1(VALU_DEP_1)
	v_mul_f32_e32 v10, v11, v15
	v_fma_f32 v12, v15, v11, -v10
	s_delay_alu instid0(VALU_DEP_1) | instskip(NEXT) | instid1(VALU_DEP_1)
	v_fmac_f32_e32 v12, v15, v8
	v_add_f32_e32 v8, v10, v12
	s_delay_alu instid0(VALU_DEP_1) | instskip(NEXT) | instid1(VALU_DEP_1)
	v_dual_sub_f32 v11, v9, v8 :: v_dual_mov_b32 v13, v8
	v_pk_add_f32 v[8:9], v[8:9], v[10:11] neg_lo:[0,1] neg_hi:[0,1]
	s_delay_alu instid0(VALU_DEP_1) | instskip(NEXT) | instid1(VALU_DEP_1)
	v_pk_add_f32 v[8:9], v[8:9], v[12:13] neg_lo:[0,1] neg_hi:[0,1]
	v_add_f32_e32 v8, v8, v9
	s_delay_alu instid0(VALU_DEP_1) | instskip(NEXT) | instid1(VALU_DEP_1)
	v_add_f32_e32 v8, v11, v8
	v_mul_f32_e32 v9, v14, v8
	s_delay_alu instid0(VALU_DEP_1) | instskip(NEXT) | instid1(VALU_DEP_1)
	v_add_f32_e32 v8, v15, v9
	v_sub_f32_e32 v10, v8, v15
	s_delay_alu instid0(VALU_DEP_1) | instskip(NEXT) | instid1(VALU_DEP_1)
	v_sub_f32_e32 v20, v9, v10
	v_add_f32_e32 v10, v20, v20
	v_mul_f32_e32 v11, v8, v8
	s_delay_alu instid0(VALU_DEP_1) | instskip(NEXT) | instid1(VALU_DEP_1)
	v_fma_f32 v9, v8, v8, -v11
	v_fmac_f32_e32 v9, v8, v10
	s_delay_alu instid0(VALU_DEP_1) | instskip(NEXT) | instid1(VALU_DEP_1)
	v_add_f32_e32 v10, v11, v9
	v_dual_fmaak_f32 v12, s4, v10, 0x3e91f4c4 :: v_dual_sub_f32 v11, v10, v11
	v_cmp_eq_f32_e64 s4, 0, v5
	s_delay_alu instid0(VALU_DEP_2) | instskip(SKIP_1) | instid1(VALU_DEP_2)
	v_fmaak_f32 v14, v10, v12, 0x3ecccdef
	v_cvt_f64_f32_e64 v[12:13], |v5|
	v_dual_sub_f32 v18, v9, v11 :: v_dual_mul_f32 v15, v10, v14
	s_delay_alu instid0(VALU_DEP_1) | instskip(NEXT) | instid1(VALU_DEP_1)
	v_fma_f32 v9, v10, v14, -v15
	v_fmac_f32_e32 v9, v18, v14
	s_wait_xcnt 0x0
	s_delay_alu instid0(VALU_DEP_1) | instskip(NEXT) | instid1(VALU_DEP_1)
	v_add_f32_e32 v4, v15, v9
	v_sub_f32_e32 v11, v4, v15
	v_add_f32_e32 v15, 0x3f2aaaaa, v4
	s_delay_alu instid0(VALU_DEP_2) | instskip(NEXT) | instid1(VALU_DEP_2)
	v_sub_f32_e32 v9, v9, v11
	v_add_f32_e32 v11, 0xbf2aaaaa, v15
	v_frexp_exp_i32_f64_e32 v19, v[12:13]
	s_delay_alu instid0(VALU_DEP_3) | instskip(NEXT) | instid1(VALU_DEP_3)
	v_add_f32_e32 v9, 0x31739010, v9
	v_sub_f32_e32 v11, v4, v11
	s_delay_alu instid0(VALU_DEP_1) | instskip(NEXT) | instid1(VALU_DEP_1)
	v_pk_mul_f32 v[12:13], v[8:9], v[10:11]
	v_fma_f32 v14, v10, v8, -v12
	s_delay_alu instid0(VALU_DEP_1) | instskip(SKIP_1) | instid1(VALU_DEP_1)
	v_fmac_f32_e32 v14, v10, v20
	v_pk_add_f32 v[16:17], v[8:9], v[10:11]
	v_dual_fmac_f32 v14, v18, v8 :: v_dual_mov_b32 v13, v17
	s_delay_alu instid0(VALU_DEP_1) | instskip(SKIP_1) | instid1(VALU_DEP_2)
	v_pk_add_f32 v[10:11], v[12:13], v[14:15]
	v_subrev_co_ci_u32_e64 v9, null, 0, v19, vcc_lo
	v_mov_b32_e32 v4, v11
	v_sub_f32_e32 v13, v15, v11
	s_delay_alu instid0(VALU_DEP_2) | instskip(NEXT) | instid1(VALU_DEP_4)
	v_pk_mul_f32 v[18:19], v[10:11], v[4:5]
	v_cvt_f32_i32_e32 v4, v9
	s_delay_alu instid0(VALU_DEP_3) | instskip(NEXT) | instid1(VALU_DEP_3)
	v_dual_sub_f32 v9, v10, v12 :: v_dual_add_f32 v13, v17, v13
	v_fma_f32 v12, v10, v11, -v18
	s_delay_alu instid0(VALU_DEP_2) | instskip(NEXT) | instid1(VALU_DEP_2)
	v_dual_mul_f32 v16, 0x3f317218, v4 :: v_dual_sub_f32 v9, v14, v9
	v_fmac_f32_e32 v12, v10, v13
	s_delay_alu instid0(VALU_DEP_2) | instskip(NEXT) | instid1(VALU_DEP_2)
	v_fma_f32 v10, 0x3f317218, v4, -v16
	v_fmac_f32_e32 v12, v9, v11
	s_delay_alu instid0(VALU_DEP_2) | instskip(SKIP_2) | instid1(VALU_DEP_2)
	v_fmamk_f32 v10, v4, 0xb102e308, v10
	v_ldexp_f32 v11, v8, 1
	v_ldexp_f32 v4, v20, 1
	v_dual_add_f32 v17, v18, v12 :: v_dual_mov_b32 v19, v11
	s_delay_alu instid0(VALU_DEP_1) | instskip(SKIP_1) | instid1(VALU_DEP_2)
	v_pk_add_f32 v[8:9], v[16:17], v[10:11]
	v_dual_mov_b32 v14, v17 :: v_dual_mov_b32 v13, v17
	v_dual_mov_b32 v15, v9 :: v_dual_mov_b32 v11, v8
	v_mov_b32_e32 v22, v9
	s_delay_alu instid0(VALU_DEP_2) | instskip(NEXT) | instid1(VALU_DEP_1)
	v_pk_add_f32 v[14:15], v[14:15], v[18:19] neg_lo:[0,1] neg_hi:[0,1]
	v_pk_add_f32 v[12:13], v[12:13], v[14:15] neg_lo:[0,1] neg_hi:[0,1]
	s_delay_alu instid0(VALU_DEP_1) | instskip(NEXT) | instid1(VALU_DEP_1)
	v_add_f32_e32 v4, v4, v12
	v_add_f32_e32 v17, v4, v13
	s_delay_alu instid0(VALU_DEP_1) | instskip(SKIP_1) | instid1(VALU_DEP_2)
	v_pk_add_f32 v[12:13], v[8:9], v[16:17]
	v_pk_add_f32 v[14:15], v[8:9], v[16:17] neg_lo:[0,1] neg_hi:[0,1]
	v_mov_b32_e32 v15, v13
	s_delay_alu instid0(VALU_DEP_1) | instskip(SKIP_1) | instid1(VALU_DEP_2)
	v_pk_add_f32 v[18:19], v[10:11], v[14:15]
	v_pk_add_f32 v[10:11], v[10:11], v[14:15] neg_lo:[0,1] neg_hi:[0,1]
	v_dual_mov_b32 v4, v19 :: v_dual_mov_b32 v11, v19
	s_delay_alu instid0(VALU_DEP_1) | instskip(SKIP_1) | instid1(VALU_DEP_2)
	v_pk_add_f32 v[20:21], v[4:5], v[8:9] neg_lo:[0,1] neg_hi:[0,1]
	v_dual_mov_b32 v18, v13 :: v_dual_mov_b32 v9, v8
	v_dual_mov_b32 v8, v17 :: v_dual_mov_b32 v23, v20
	v_mov_b32_e32 v17, v20
	s_delay_alu instid0(VALU_DEP_2) | instskip(NEXT) | instid1(VALU_DEP_2)
	v_pk_add_f32 v[14:15], v[18:19], v[22:23] neg_lo:[0,1] neg_hi:[0,1]
	v_pk_add_f32 v[12:13], v[12:13], v[16:17] neg_lo:[0,1] neg_hi:[0,1]
	v_mov_b32_e32 v12, v10
	s_delay_alu instid0(VALU_DEP_3) | instskip(NEXT) | instid1(VALU_DEP_1)
	v_pk_add_f32 v[8:9], v[8:9], v[14:15] neg_lo:[0,1] neg_hi:[0,1]
	v_pk_add_f32 v[12:13], v[12:13], v[8:9]
	s_delay_alu instid0(VALU_DEP_1) | instskip(NEXT) | instid1(VALU_DEP_1)
	v_mov_b32_e32 v14, v13
	v_pk_add_f32 v[14:15], v[12:13], v[14:15]
	s_delay_alu instid0(VALU_DEP_1) | instskip(NEXT) | instid1(VALU_DEP_1)
	v_pk_add_f32 v[16:17], v[4:5], v[14:15]
	v_dual_mov_b32 v9, v14 :: v_dual_mov_b32 v13, v16
	s_delay_alu instid0(VALU_DEP_1) | instskip(NEXT) | instid1(VALU_DEP_1)
	v_pk_add_f32 v[18:19], v[12:13], v[10:11] neg_lo:[0,1] neg_hi:[0,1]
	v_sub_f32_e32 v4, v12, v18
	s_delay_alu instid0(VALU_DEP_2) | instskip(NEXT) | instid1(VALU_DEP_2)
	v_pk_add_f32 v[8:9], v[8:9], v[18:19] neg_lo:[0,1] neg_hi:[0,1]
	v_sub_f32_e32 v4, v10, v4
	s_delay_alu instid0(VALU_DEP_1) | instskip(NEXT) | instid1(VALU_DEP_1)
	v_add_f32_e32 v4, v8, v4
	v_add_f32_e32 v4, v4, v9
	s_delay_alu instid0(VALU_DEP_1) | instskip(NEXT) | instid1(VALU_DEP_1)
	v_add_f32_e32 v8, v16, v4
	v_sub_f32_e32 v9, v8, v16
	v_mul_f32_e32 v10, v6, v8
	s_delay_alu instid0(VALU_DEP_1) | instskip(SKIP_1) | instid1(VALU_DEP_2)
	v_dual_fma_f32 v8, v6, v8, -v10 :: v_dual_sub_f32 v4, v4, v9
	v_cmp_class_f32_e64 vcc_lo, v10, 0x204
	v_fmac_f32_e32 v8, v6, v4
	s_delay_alu instid0(VALU_DEP_1) | instskip(NEXT) | instid1(VALU_DEP_1)
	v_add_f32_e32 v4, v10, v8
	v_dual_cndmask_b32 v9, v4, v10 :: v_dual_sub_f32 v4, v4, v10
	s_delay_alu instid0(VALU_DEP_1) | instskip(NEXT) | instid1(VALU_DEP_2)
	v_cmp_eq_f32_e32 vcc_lo, 0x42b17218, v9
	v_sub_f32_e32 v4, v8, v4
	v_cndmask_b32_e64 v11, 0, 0x37000000, vcc_lo
	v_cmp_neq_f32_e64 vcc_lo, 0x7f800000, |v9|
	s_delay_alu instid0(VALU_DEP_1) | instskip(SKIP_1) | instid1(VALU_DEP_2)
	v_dual_sub_f32 v12, v9, v11 :: v_dual_cndmask_b32 v4, 0, v4, vcc_lo
	v_trunc_f32_e32 v9, v6
	v_mul_f32_e32 v13, 0x3fb8aa3b, v12
	v_cmp_ngt_f32_e32 vcc_lo, 0xc2ce8ed0, v12
	s_delay_alu instid0(VALU_DEP_4) | instskip(NEXT) | instid1(VALU_DEP_3)
	v_add_f32_e32 v4, v11, v4
	v_fma_f32 v14, 0x3fb8aa3b, v12, -v13
	v_rndne_f32_e32 v15, v13
	s_delay_alu instid0(VALU_DEP_1) | instskip(NEXT) | instid1(VALU_DEP_1)
	v_dual_fmamk_f32 v14, v12, 0x32a5705f, v14 :: v_dual_sub_f32 v13, v13, v15
	v_add_f32_e32 v13, v13, v14
	s_delay_alu instid0(VALU_DEP_1)
	v_exp_f32_e32 v10, v13
	v_nop
	v_cvt_i32_f32_e32 v13, v15
	s_delay_alu instid0(TRANS32_DEP_1) | instid1(VALU_DEP_1)
	v_ldexp_f32 v8, v10, v13
	s_delay_alu instid0(VALU_DEP_1) | instskip(SKIP_1) | instid1(VALU_DEP_2)
	v_dual_mul_f32 v10, 0.5, v6 :: v_dual_cndmask_b32 v8, 0, v8, vcc_lo
	v_cmp_nlt_f32_e32 vcc_lo, 0x42b17218, v12
	v_trunc_f32_e32 v13, v10
	s_delay_alu instid0(VALU_DEP_3) | instskip(SKIP_1) | instid1(VALU_DEP_3)
	v_cndmask_b32_e32 v8, 0x7f800000, v8, vcc_lo
	v_cmp_eq_f32_e32 vcc_lo, v9, v6
	v_cmp_neq_f32_e64 s2, v13, v10
	s_delay_alu instid0(VALU_DEP_3) | instskip(SKIP_2) | instid1(SALU_CYCLE_1)
	v_fma_f32 v4, v8, v4, v8
	v_cmp_class_f32_e64 s3, v8, 0x204
	s_and_b32 s2, vcc_lo, s2
	v_dual_cndmask_b32 v9, 1.0, v5, s2 :: v_dual_cndmask_b32 v11, 0, v5, s2
	v_cndmask_b32_e64 v4, v4, v8, s3
	v_cndmask_b32_e64 v8, 0x7f800000, 0, s5
	v_cmp_gt_f32_e64 s3, 0, v6
	s_delay_alu instid0(VALU_DEP_3) | instskip(SKIP_1) | instid1(SALU_CYCLE_1)
	v_bfi_b32 v4, 0x7fffffff, v4, v9
	s_xor_b32 s3, s3, s4
	v_cndmask_b32_e64 v9, 0x7f800000, 0, s3
	s_delay_alu instid0(VALU_DEP_2) | instskip(SKIP_1) | instid1(VALU_DEP_3)
	v_cndmask_b32_e32 v10, 0x7fc00000, v4, vcc_lo
	v_cmp_neq_f32_e64 vcc_lo, |v5|, 1.0
	v_bfi_b32 v9, 0x7fffffff, v9, v11
	v_cndmask_b32_e32 v8, 1.0, v8, vcc_lo
	v_cmp_gt_f32_e32 vcc_lo, 0, v5
	v_cndmask_b32_e32 v4, v4, v10, vcc_lo
	v_cmp_class_f32_e64 vcc_lo, v6, 0x204
	s_wait_loadcnt 0x0
	v_cvt_f32_i32_e32 v6, v24
	s_delay_alu instid0(VALU_DEP_3) | instskip(SKIP_2) | instid1(VALU_DEP_1)
	v_cndmask_b32_e32 v4, v4, v8, vcc_lo
	s_or_b32 vcc_lo, s4, s0
	s_cmp_eq_f32 s13, 0
	v_cndmask_b32_e32 v4, v4, v9, vcc_lo
	v_cmp_o_f32_e32 vcc_lo, v5, v5
	s_delay_alu instid0(VALU_DEP_2) | instskip(NEXT) | instid1(VALU_DEP_1)
	v_cndmask_b32_e32 v4, 0x7fc00000, v4, vcc_lo
	v_mul_f32_e32 v4, v4, v6
	s_delay_alu instid0(VALU_DEP_1)
	v_mul_f32_e32 v5, s12, v4
	s_cbranch_scc1 .LBB34_9
; %bb.8:
	v_ashrrev_i32_e32 v6, 1, v7
	s_sub_f32 s0, s6, s15
	v_div_scale_f32 v8, null, s12, s12, 1.0
	s_delay_alu instid0(SALU_CYCLE_2) | instskip(SKIP_4) | instid1(VALU_DEP_3)
	s_max_num_f32 s1, s0, 0x3a83126f
	v_cvt_f32_i32_e32 v6, v6
	v_rcp_f32_e32 v10, v8
	v_nop
	v_xor_b32_e32 v8, 0x80000000, v8
	v_subrev_f32_e32 v6, s15, v6
	s_delay_alu instid0(TRANS32_DEP_1) | instid1(VALU_DEP_2)
	v_fma_f32 v12, v8, v10, 1.0
	s_delay_alu instid0(VALU_DEP_2) | instskip(SKIP_1) | instid1(VALU_DEP_3)
	v_div_scale_f32 v7, null, s1, s1, v6
	v_div_scale_f32 v13, vcc_lo, v6, s1, v6
	v_fmac_f32_e32 v10, v12, v10
	s_delay_alu instid0(VALU_DEP_3) | instskip(SKIP_1) | instid1(TRANS32_DEP_1)
	v_rcp_f32_e32 v9, v7
	v_nop
	v_fma_f32 v11, -v7, v9, 1.0
	s_delay_alu instid0(VALU_DEP_1) | instskip(SKIP_1) | instid1(VALU_DEP_2)
	v_fmac_f32_e32 v9, v11, v9
	v_div_scale_f32 v11, s0, 1.0, s12, 1.0
	v_mul_f32_e32 v12, v13, v9
	s_delay_alu instid0(VALU_DEP_1) | instskip(NEXT) | instid1(VALU_DEP_3)
	v_fma_f32 v15, -v7, v12, v13
	v_mul_f32_e32 v14, v11, v10
	s_delay_alu instid0(VALU_DEP_1) | instskip(NEXT) | instid1(VALU_DEP_1)
	v_dual_fmac_f32 v12, v15, v9 :: v_dual_fma_f32 v16, v8, v14, v11
	v_dual_fma_f32 v7, -v7, v12, v13 :: v_dual_fmac_f32 v14, v16, v10
	s_delay_alu instid0(VALU_DEP_1) | instskip(NEXT) | instid1(VALU_DEP_2)
	v_div_fmas_f32 v7, v7, v9, v12
	v_fmac_f32_e32 v11, v8, v14
	s_mov_b32 vcc_lo, s0
	s_delay_alu instid0(VALU_DEP_2) | instskip(NEXT) | instid1(VALU_DEP_2)
	v_div_fixup_f32 v6, v7, s1, v6 clamp
	v_div_fmas_f32 v8, v11, v10, v14
	s_delay_alu instid0(VALU_DEP_2) | instskip(NEXT) | instid1(VALU_DEP_2)
	v_sub_f32_e32 v10, 1.0, v6
	v_div_fixup_f32 v8, v8, s12, 1.0
	s_delay_alu instid0(VALU_DEP_2) | instskip(NEXT) | instid1(VALU_DEP_2)
	v_mul_f32_e32 v6, s13, v10
	v_readfirstlane_b32 s0, v8
	s_cmp_lt_f32 s0, 0x800000
	s_cselect_b32 s0, 0x4f800000, 1.0
	s_delay_alu instid0(SALU_CYCLE_1) | instskip(SKIP_1) | instid1(VALU_DEP_1)
	v_mul_f32_e32 v8, s0, v8
	s_cselect_b32 s0, 0x41b17218, 0
	v_log_f32_e32 v8, v8
	v_nop
	s_delay_alu instid0(TRANS32_DEP_1) | instskip(SKIP_1) | instid1(VALU_DEP_2)
	v_mul_f32_e32 v9, 0x3f317217, v8
	v_and_b32_e32 v7, 0x7fffffff, v8
	v_xor_b32_e32 v9, 0x80000000, v9
	s_delay_alu instid0(VALU_DEP_2) | instskip(SKIP_1) | instid1(VALU_DEP_3)
	v_cmp_gt_f32_e32 vcc_lo, 0x7f800000, v7
	v_fma_f32 v7, -s13, v10, 1.0
	v_fmac_f32_e32 v9, 0x3f317217, v8
	s_delay_alu instid0(VALU_DEP_2) | instskip(NEXT) | instid1(VALU_DEP_2)
	v_pk_mul_f32 v[4:5], v[6:7], v[4:5]
	v_fmamk_f32 v9, v8, 0x3377d1cf, v9
	s_delay_alu instid0(VALU_DEP_2) | instskip(NEXT) | instid1(VALU_DEP_2)
	v_add_f32_e32 v5, v4, v5
	v_fmac_f32_e32 v9, 0x3f317217, v8
	s_delay_alu instid0(VALU_DEP_1) | instskip(NEXT) | instid1(VALU_DEP_1)
	v_dual_cndmask_b32 v8, v8, v9 :: v_dual_mov_b32 v9, 1.0
	v_subrev_f32_e32 v8, s0, v8
	s_delay_alu instid0(VALU_DEP_1) | instskip(NEXT) | instid1(VALU_DEP_1)
	v_fmamk_f32 v6, v8, 0x3dcccccd, v9
	v_mul_f32_e32 v6, s14, v6
	s_branch .LBB34_10
.LBB34_9:
	v_mov_b32_e32 v6, s14
.LBB34_10:
	s_delay_alu instid0(VALU_DEP_2) | instskip(SKIP_1) | instid1(VALU_DEP_2)
	v_and_b32_e32 v4, 0x7fffffff, v5
	v_cmp_ngt_f32_e64 s2, 0x48000000, |v5|
                                        ; implicit-def: $vgpr8
                                        ; implicit-def: $vgpr7
	v_lshrrev_b32_e32 v9, 23, v4
	s_and_saveexec_b32 s0, s2
	s_delay_alu instid0(SALU_CYCLE_1)
	s_xor_b32 s3, exec_lo, s0
	s_cbranch_execz .LBB34_12
; %bb.11:
	s_mov_b32 s0, 0x7fffff
	v_mov_b32_e32 v11, 0
	v_and_or_b32 v10, v4, s0, 0x800000
	s_mov_b64 s[0:1], 0xfe5163ab
	v_add_nc_u32_e32 v7, 0xffffff88, v9
	s_delay_alu instid0(VALU_DEP_2) | instskip(NEXT) | instid1(VALU_DEP_2)
	v_mul_u64_e32 v[12:13], s[0:1], v[10:11]
	v_cmp_lt_u32_e32 vcc_lo, 63, v7
	v_cndmask_b32_e64 v8, 0, 0xffffffc0, vcc_lo
	s_delay_alu instid0(VALU_DEP_3) | instskip(SKIP_2) | instid1(VALU_DEP_3)
	v_dual_mov_b32 v14, v13 :: v_dual_mov_b32 v15, v11
	v_dual_mov_b32 v17, v11 :: v_dual_mov_b32 v19, v11
	v_dual_mov_b32 v21, v11 :: v_dual_mov_b32 v23, v11
	v_mad_nc_u64_u32 v[14:15], 0x3c439041, v10, v[14:15]
	v_dual_add_nc_u32 v7, v8, v7 :: v_dual_mov_b32 v25, v11
	s_delay_alu instid0(VALU_DEP_1) | instskip(NEXT) | instid1(VALU_DEP_3)
	v_cmp_lt_u32_e64 s0, 31, v7
	v_mov_b32_e32 v16, v15
	s_delay_alu instid0(VALU_DEP_2) | instskip(NEXT) | instid1(VALU_DEP_2)
	v_cndmask_b32_e64 v8, 0, 0xffffffe0, s0
	v_mad_nc_u64_u32 v[16:17], 0xdb629599, v10, v[16:17]
	s_delay_alu instid0(VALU_DEP_2) | instskip(NEXT) | instid1(VALU_DEP_1)
	v_add_nc_u32_e32 v7, v8, v7
	v_cmp_lt_u32_e64 s1, 31, v7
	s_delay_alu instid0(VALU_DEP_3) | instskip(NEXT) | instid1(VALU_DEP_2)
	v_mov_b32_e32 v18, v17
	v_cndmask_b32_e64 v8, 0, 0xffffffe0, s1
	v_cndmask_b32_e32 v12, v16, v12, vcc_lo
	s_delay_alu instid0(VALU_DEP_3) | instskip(NEXT) | instid1(VALU_DEP_1)
	v_mad_nc_u64_u32 v[18:19], 0xf534ddc0, v10, v[18:19]
	v_dual_cndmask_b32 v8, v18, v14 :: v_dual_add_nc_u32 v7, v8, v7
	s_delay_alu instid0(VALU_DEP_2) | instskip(NEXT) | instid1(VALU_DEP_1)
	v_mov_b32_e32 v20, v19
	v_mad_nc_u64_u32 v[20:21], 0xfc2757d1, v10, v[20:21]
	s_delay_alu instid0(VALU_DEP_1) | instskip(NEXT) | instid1(VALU_DEP_1)
	v_dual_mov_b32 v22, v21 :: v_dual_cndmask_b32 v15, v20, v16
	v_mad_nc_u64_u32 v[22:23], 0x4e441529, v10, v[22:23]
	s_delay_alu instid0(VALU_DEP_1) | instskip(NEXT) | instid1(VALU_DEP_1)
	v_dual_mov_b32 v24, v23 :: v_dual_cndmask_b32 v13, v22, v18
	v_mad_nc_u64_u32 v[10:11], 0xa2f9836e, v10, v[24:25]
	s_delay_alu instid0(VALU_DEP_1) | instskip(SKIP_1) | instid1(VALU_DEP_2)
	v_dual_cndmask_b32 v10, v10, v20 :: v_dual_cndmask_b32 v11, v11, v22
	v_cmp_eq_u32_e32 vcc_lo, 0, v7
	v_dual_cndmask_b32 v14, v10, v13, s0 :: v_dual_cndmask_b32 v10, v11, v10, s0
	v_dual_cndmask_b32 v11, v13, v15, s0 :: v_dual_cndmask_b32 v15, v15, v8, s0
	v_dual_sub_nc_u32 v13, 32, v7 :: v_dual_cndmask_b32 v8, v8, v12, s0
	s_delay_alu instid0(VALU_DEP_3) | instskip(NEXT) | instid1(VALU_DEP_2)
	v_cndmask_b32_e64 v10, v10, v14, s1
	v_dual_cndmask_b32 v14, v14, v11, s1 :: v_dual_cndmask_b32 v8, v15, v8, s1
	s_delay_alu instid0(VALU_DEP_1) | instskip(NEXT) | instid1(VALU_DEP_1)
	v_alignbit_b32 v17, v10, v14, v13
	v_dual_cndmask_b32 v11, v11, v15, s1 :: v_dual_cndmask_b32 v7, v17, v10, vcc_lo
	s_delay_alu instid0(VALU_DEP_1) | instskip(NEXT) | instid1(VALU_DEP_4)
	v_alignbit_b32 v16, v14, v11, v13
	v_alignbit_b32 v13, v11, v8, v13
	s_delay_alu instid0(VALU_DEP_3) | instskip(NEXT) | instid1(VALU_DEP_2)
	v_bfe_u32 v12, v7, 29, 1
	v_dual_cndmask_b32 v10, v16, v14 :: v_dual_cndmask_b32 v11, v13, v11
	s_delay_alu instid0(VALU_DEP_2) | instskip(NEXT) | instid1(VALU_DEP_2)
	v_sub_nc_u32_e32 v15, 0, v12
	v_alignbit_b32 v14, v7, v10, 30
	s_delay_alu instid0(VALU_DEP_3) | instskip(SKIP_1) | instid1(VALU_DEP_3)
	v_alignbit_b32 v10, v10, v11, 30
	v_alignbit_b32 v8, v11, v8, 30
	v_xor_b32_e32 v14, v14, v15
	s_delay_alu instid0(VALU_DEP_2) | instskip(NEXT) | instid1(VALU_DEP_2)
	v_xor_b32_e32 v8, v8, v15
	v_clz_i32_u32_e32 v13, v14
	s_delay_alu instid0(VALU_DEP_1) | instskip(NEXT) | instid1(VALU_DEP_1)
	v_min_u32_e32 v13, 32, v13
	v_dual_lshlrev_b32 v16, 23, v13 :: v_dual_bitop2_b32 v10, v10, v15 bitop3:0x14
	v_sub_nc_u32_e32 v11, 31, v13
	s_delay_alu instid0(VALU_DEP_1) | instskip(SKIP_2) | instid1(VALU_DEP_1)
	v_alignbit_b32 v14, v14, v10, v11
	v_lshrrev_b32_e32 v15, 29, v7
	v_alignbit_b32 v8, v10, v8, v11
	v_alignbit_b32 v11, v14, v8, 9
	s_delay_alu instid0(VALU_DEP_3) | instskip(NEXT) | instid1(VALU_DEP_2)
	v_dual_lshrrev_b32 v14, 9, v14 :: v_dual_lshlrev_b32 v10, 31, v15
	v_clz_i32_u32_e32 v17, v11
	s_delay_alu instid0(VALU_DEP_2) | instskip(SKIP_1) | instid1(VALU_DEP_2)
	v_or_b32_e32 v15, 0.5, v10
	v_or_b32_e32 v10, 0x33000000, v10
	v_sub_nc_u32_e32 v15, v15, v16
	s_delay_alu instid0(VALU_DEP_4) | instskip(NEXT) | instid1(VALU_DEP_1)
	v_min_u32_e32 v16, 32, v17
	v_add_lshl_u32 v13, v16, v13, 23
	s_delay_alu instid0(VALU_DEP_1) | instskip(NEXT) | instid1(VALU_DEP_4)
	v_sub_nc_u32_e32 v10, v10, v13
	v_or_b32_e32 v14, v14, v15
	v_not_b32_e32 v15, v16
	s_delay_alu instid0(VALU_DEP_1) | instskip(NEXT) | instid1(VALU_DEP_1)
	v_alignbit_b32 v8, v11, v8, v15
	v_dual_mul_f32 v17, 0x3fc90fda, v14 :: v_dual_lshrrev_b32 v8, 9, v8
	s_delay_alu instid0(VALU_DEP_1) | instskip(NEXT) | instid1(VALU_DEP_2)
	v_or_b32_e32 v8, v10, v8
	v_fma_f32 v11, 0x3fc90fda, v14, -v17
	s_delay_alu instid0(VALU_DEP_1) | instskip(NEXT) | instid1(VALU_DEP_1)
	v_fmamk_f32 v11, v14, 0x33a22168, v11
	v_dual_fmac_f32 v11, 0x3fc90fda, v8 :: v_dual_lshrrev_b32 v8, 30, v7
	s_delay_alu instid0(VALU_DEP_1)
	v_dual_add_f32 v7, v17, v11 :: v_dual_add_nc_u32 v8, v12, v8
	s_or_saveexec_b32 s0, s3
	v_mul_f32_e64 v12, 0x3f22f983, |v5|
	s_xor_b32 exec_lo, exec_lo, s0
	s_branch .LBB34_13
.LBB34_12:
	s_or_saveexec_b32 s0, s3
	v_mul_f32_e64 v12, 0x3f22f983, |v5|
	s_xor_b32 exec_lo, exec_lo, s0
.LBB34_13:
	s_delay_alu instid0(VALU_DEP_1) | instskip(NEXT) | instid1(VALU_DEP_1)
	v_rndne_f32_e32 v8, v12
	v_fma_f32 v7, 0xbfc90fda, v8, |v5|
	s_delay_alu instid0(VALU_DEP_1) | instskip(NEXT) | instid1(VALU_DEP_1)
	v_fmamk_f32 v7, v8, 0xb3a22168, v7
	v_fmamk_f32 v7, v8, 0xa7c234c4, v7
	v_cvt_i32_f32_e32 v8, v8
; %bb.14:
	s_or_b32 exec_lo, exec_lo, s0
                                        ; implicit-def: $vgpr11
                                        ; implicit-def: $vgpr10
	s_and_saveexec_b32 s0, s2
	s_delay_alu instid0(SALU_CYCLE_1)
	s_xor_b32 s2, exec_lo, s0
	s_cbranch_execz .LBB34_16
; %bb.15:
	s_mov_b32 s0, 0x7fffff
	v_mov_b32_e32 v11, 0
	v_and_or_b32 v10, v4, s0, 0x800000
	s_mov_b64 s[0:1], 0xfe5163ab
	v_add_nc_u32_e32 v9, 0xffffff88, v9
	s_delay_alu instid0(VALU_DEP_2) | instskip(NEXT) | instid1(VALU_DEP_2)
	v_mul_u64_e32 v[12:13], s[0:1], v[10:11]
	v_cmp_lt_u32_e32 vcc_lo, 63, v9
	s_delay_alu instid0(VALU_DEP_2) | instskip(SKIP_2) | instid1(VALU_DEP_3)
	v_dual_mov_b32 v14, v13 :: v_dual_mov_b32 v15, v11
	v_dual_mov_b32 v17, v11 :: v_dual_mov_b32 v19, v11
	;; [unrolled: 1-line block ×3, first 2 shown]
	v_mad_nc_u64_u32 v[14:15], 0x3c439041, v10, v[14:15]
	v_cndmask_b32_e64 v13, 0, 0xffffffc0, vcc_lo
	s_delay_alu instid0(VALU_DEP_1) | instskip(NEXT) | instid1(VALU_DEP_3)
	v_dual_mov_b32 v25, v11 :: v_dual_add_nc_u32 v9, v13, v9
	v_mov_b32_e32 v16, v15
	s_delay_alu instid0(VALU_DEP_2) | instskip(NEXT) | instid1(VALU_DEP_2)
	v_cmp_lt_u32_e64 s0, 31, v9
	v_mad_nc_u64_u32 v[16:17], 0xdb629599, v10, v[16:17]
	s_delay_alu instid0(VALU_DEP_2) | instskip(NEXT) | instid1(VALU_DEP_1)
	v_cndmask_b32_e64 v13, 0, 0xffffffe0, s0
	v_add_nc_u32_e32 v9, v13, v9
	s_delay_alu instid0(VALU_DEP_3) | instskip(NEXT) | instid1(VALU_DEP_2)
	v_mov_b32_e32 v18, v17
	v_cmp_lt_u32_e64 s1, 31, v9
	v_cndmask_b32_e32 v12, v16, v12, vcc_lo
	s_delay_alu instid0(VALU_DEP_3) | instskip(NEXT) | instid1(VALU_DEP_3)
	v_mad_nc_u64_u32 v[18:19], 0xf534ddc0, v10, v[18:19]
	v_cndmask_b32_e64 v13, 0, 0xffffffe0, s1
	s_delay_alu instid0(VALU_DEP_1) | instskip(NEXT) | instid1(VALU_DEP_3)
	v_dual_add_nc_u32 v9, v13, v9 :: v_dual_cndmask_b32 v13, v18, v14, vcc_lo
	v_mov_b32_e32 v20, v19
	s_delay_alu instid0(VALU_DEP_1) | instskip(NEXT) | instid1(VALU_DEP_1)
	v_mad_nc_u64_u32 v[20:21], 0xfc2757d1, v10, v[20:21]
	v_dual_mov_b32 v22, v21 :: v_dual_cndmask_b32 v17, v20, v16
	s_delay_alu instid0(VALU_DEP_1) | instskip(NEXT) | instid1(VALU_DEP_1)
	v_mad_nc_u64_u32 v[22:23], 0x4e441529, v10, v[22:23]
	v_dual_mov_b32 v24, v23 :: v_dual_cndmask_b32 v15, v22, v18
	s_delay_alu instid0(VALU_DEP_1) | instskip(NEXT) | instid1(VALU_DEP_1)
	v_mad_nc_u64_u32 v[10:11], 0xa2f9836e, v10, v[24:25]
	v_dual_cndmask_b32 v10, v10, v20 :: v_dual_cndmask_b32 v11, v11, v22
	v_cmp_eq_u32_e32 vcc_lo, 0, v9
	s_delay_alu instid0(VALU_DEP_2) | instskip(SKIP_2) | instid1(VALU_DEP_3)
	v_dual_cndmask_b32 v14, v10, v15, s0 :: v_dual_cndmask_b32 v10, v11, v10, s0
	v_cndmask_b32_e64 v11, v15, v17, s0
	v_sub_nc_u32_e32 v15, 32, v9
	v_dual_cndmask_b32 v17, v17, v13, s0 :: v_dual_cndmask_b32 v10, v10, v14, s1
	s_delay_alu instid0(VALU_DEP_3) | instskip(NEXT) | instid1(VALU_DEP_1)
	v_cndmask_b32_e64 v14, v14, v11, s1
	v_alignbit_b32 v18, v10, v14, v15
	s_delay_alu instid0(VALU_DEP_1) | instskip(NEXT) | instid1(VALU_DEP_1)
	v_dual_cndmask_b32 v11, v11, v17, s1 :: v_dual_cndmask_b32 v9, v18, v10, vcc_lo
	v_alignbit_b32 v16, v14, v11, v15
	v_cndmask_b32_e64 v10, v13, v12, s0
	s_delay_alu instid0(VALU_DEP_3) | instskip(NEXT) | instid1(VALU_DEP_3)
	v_bfe_u32 v13, v9, 29, 1
	v_cndmask_b32_e32 v12, v16, v14, vcc_lo
	s_delay_alu instid0(VALU_DEP_2) | instskip(NEXT) | instid1(VALU_DEP_2)
	v_dual_cndmask_b32 v10, v17, v10, s1 :: v_dual_sub_nc_u32 v16, 0, v13
	v_alignbit_b32 v14, v9, v12, 30
	s_delay_alu instid0(VALU_DEP_2) | instskip(NEXT) | instid1(VALU_DEP_1)
	v_alignbit_b32 v15, v11, v10, v15
	v_dual_cndmask_b32 v11, v15, v11, vcc_lo :: v_dual_bitop2_b32 v14, v14, v16 bitop3:0x14
	s_delay_alu instid0(VALU_DEP_1) | instskip(NEXT) | instid1(VALU_DEP_2)
	v_clz_i32_u32_e32 v15, v14
	v_alignbit_b32 v12, v12, v11, 30
	v_alignbit_b32 v10, v11, v10, 30
	s_delay_alu instid0(VALU_DEP_3) | instskip(NEXT) | instid1(VALU_DEP_3)
	v_min_u32_e32 v15, 32, v15
	v_xor_b32_e32 v11, v12, v16
	s_delay_alu instid0(VALU_DEP_3) | instskip(NEXT) | instid1(VALU_DEP_3)
	v_dual_lshrrev_b32 v16, 29, v9 :: v_dual_bitop2_b32 v10, v10, v16 bitop3:0x14
	v_dual_lshrrev_b32 v9, 30, v9 :: v_dual_sub_nc_u32 v12, 31, v15
	v_lshlrev_b32_e32 v17, 23, v15
	s_delay_alu instid0(VALU_DEP_2) | instskip(NEXT) | instid1(VALU_DEP_4)
	v_alignbit_b32 v14, v14, v11, v12
	v_alignbit_b32 v10, v11, v10, v12
	v_lshlrev_b32_e32 v11, 31, v16
	s_delay_alu instid0(VALU_DEP_2) | instskip(NEXT) | instid1(VALU_DEP_2)
	v_alignbit_b32 v12, v14, v10, 9
	v_dual_lshrrev_b32 v14, 9, v14 :: v_dual_bitop2_b32 v16, 0.5, v11 bitop3:0x54
	v_or_b32_e32 v11, 0x33000000, v11
	s_delay_alu instid0(VALU_DEP_3) | instskip(NEXT) | instid1(VALU_DEP_3)
	v_clz_i32_u32_e32 v18, v12
	v_sub_nc_u32_e32 v16, v16, v17
	s_delay_alu instid0(VALU_DEP_2) | instskip(NEXT) | instid1(VALU_DEP_1)
	v_min_u32_e32 v17, 32, v18
	v_add_lshl_u32 v15, v17, v15, 23
	s_delay_alu instid0(VALU_DEP_1) | instskip(SKIP_1) | instid1(VALU_DEP_1)
	v_dual_sub_nc_u32 v11, v11, v15 :: v_dual_bitop2_b32 v14, v14, v16 bitop3:0x54
	v_not_b32_e32 v16, v17
	v_alignbit_b32 v10, v12, v10, v16
	s_delay_alu instid0(VALU_DEP_1) | instskip(NEXT) | instid1(VALU_DEP_4)
	v_lshrrev_b32_e32 v10, 9, v10
	v_mul_f32_e32 v18, 0x3fc90fda, v14
	s_delay_alu instid0(VALU_DEP_2) | instskip(NEXT) | instid1(VALU_DEP_2)
	v_or_b32_e32 v10, v11, v10
	v_fma_f32 v12, 0x3fc90fda, v14, -v18
	s_delay_alu instid0(VALU_DEP_1) | instskip(NEXT) | instid1(VALU_DEP_1)
	v_dual_fmamk_f32 v12, v14, 0x33a22168, v12 :: v_dual_add_nc_u32 v11, v13, v9
	v_fmac_f32_e32 v12, 0x3fc90fda, v10
	s_delay_alu instid0(VALU_DEP_1)
	v_add_f32_e32 v10, v18, v12
                                        ; implicit-def: $vgpr12
	s_and_not1_saveexec_b32 s0, s2
	s_cbranch_execnz .LBB34_17
	s_branch .LBB34_18
.LBB34_16:
	s_and_not1_saveexec_b32 s0, s2
.LBB34_17:
	v_rndne_f32_e32 v9, v12
	s_delay_alu instid0(VALU_DEP_1) | instskip(SKIP_1) | instid1(VALU_DEP_2)
	v_fma_f32 v10, 0xbfc90fda, v9, |v5|
	v_cvt_i32_f32_e32 v11, v9
	v_fmamk_f32 v10, v9, 0xb3a22168, v10
	s_delay_alu instid0(VALU_DEP_1)
	v_fmamk_f32 v10, v9, 0xa7c234c4, v10
.LBB34_18:
	s_or_b32 exec_lo, exec_lo, s0
	v_lshl_add_u64 v[2:3], v[2:3], 2, s[8:9]
	s_delay_alu instid0(VALU_DEP_2)
	v_dual_mul_f32 v9, v7, v7 :: v_dual_mul_f32 v12, v10, v10
	s_mov_b32 s0, 0xb94c1982
	s_mov_b32 s1, 0x37d75334
	global_load_b64 v[2:3], v[2:3], off
	v_xor_b32_e32 v4, v4, v5
	v_fmaak_f32 v15, s0, v12, 0x3c0881c4
	v_lshl_add_u64 v[0:1], v[0:1], 2, s[10:11]
	s_delay_alu instid0(VALU_DEP_2) | instskip(NEXT) | instid1(VALU_DEP_1)
	v_fmaak_f32 v15, v12, v15, 0xbe2aaa9d
	v_dual_fmaak_f32 v14, s1, v9, 0xbab64f3b :: v_dual_mul_f32 v15, v12, v15
	s_delay_alu instid0(VALU_DEP_1) | instskip(NEXT) | instid1(VALU_DEP_1)
	v_dual_fmaak_f32 v13, s0, v9, 0x3c0881c4 :: v_dual_fmac_f32 v10, v10, v15
	v_fmaak_f32 v13, v9, v13, 0xbe2aaa9d
	s_delay_alu instid0(VALU_DEP_1) | instskip(NEXT) | instid1(VALU_DEP_4)
	v_dual_fmaak_f32 v16, s1, v12, 0xbab64f3b :: v_dual_mul_f32 v13, v9, v13
	v_fmaak_f32 v14, v9, v14, 0x3d2aabf7
	s_delay_alu instid0(VALU_DEP_2) | instskip(NEXT) | instid1(VALU_DEP_2)
	v_dual_fmaak_f32 v16, v12, v16, 0x3d2aabf7 :: v_dual_fmac_f32 v7, v7, v13
	v_fmaak_f32 v14, v9, v14, 0xbf000004
	s_delay_alu instid0(VALU_DEP_1) | instskip(SKIP_3) | instid1(VALU_DEP_3)
	v_fma_f32 v9, v9, v14, 1.0
	v_and_b32_e32 v13, 1, v8
	v_dual_lshlrev_b32 v11, 30, v11 :: v_dual_bitop2_b32 v14, 1, v11 bitop3:0x40
	v_lshlrev_b32_e32 v8, 30, v8
	v_cmp_eq_u32_e32 vcc_lo, 0, v13
	v_cndmask_b32_e64 v7, -v7, v9, vcc_lo
	s_delay_alu instid0(VALU_DEP_4) | instskip(SKIP_1) | instid1(VALU_DEP_3)
	v_cmp_eq_u32_e32 vcc_lo, 0, v14
	v_fmaak_f32 v16, v12, v16, 0xbf000004
	v_bitop3_b32 v7, v8, v7, 0x80000000 bitop3:0x6c
	s_delay_alu instid0(VALU_DEP_2) | instskip(NEXT) | instid1(VALU_DEP_1)
	v_fma_f32 v12, v12, v16, 1.0
	v_cndmask_b32_e32 v9, v12, v10, vcc_lo
	v_and_b32_e32 v10, 0x80000000, v11
	v_cmp_class_f32_e64 vcc_lo, v5, 0x1f8
	s_delay_alu instid0(VALU_DEP_2) | instskip(SKIP_1) | instid1(VALU_DEP_2)
	v_xor3_b32 v4, v4, v10, v9
	v_cndmask_b32_e32 v7, 0x7fc00000, v7, vcc_lo
	v_cndmask_b32_e32 v4, 0x7fc00000, v4, vcc_lo
	s_delay_alu instid0(VALU_DEP_1) | instskip(NEXT) | instid1(VALU_DEP_1)
	v_dual_mul_f32 v5, v4, -v6 :: v_dual_mul_f32 v4, v6, v7
	v_dual_mov_b32 v6, v5 :: v_dual_mov_b32 v7, v4
	s_wait_loadcnt 0x0
	v_dual_mul_f32 v8, v4, v3 :: v_dual_mul_f32 v10, v5, v3
	s_delay_alu instid0(VALU_DEP_1) | instskip(SKIP_1) | instid1(VALU_DEP_2)
	v_pk_fma_f32 v[6:7], v[6:7], v[2:3], v[8:9] op_sel_hi:[1,1,0]
	s_wait_xcnt 0x0
	v_pk_fma_f32 v[2:3], v[4:5], v[2:3], v[10:11] op_sel_hi:[1,1,0] neg_lo:[0,0,1] neg_hi:[0,0,1]
	s_delay_alu instid0(VALU_DEP_2)
	v_mov_b32_e32 v3, v6
	global_store_b64 v[0:1], v[2:3], off
.LBB34_19:
	s_endpgm
	.section	.rodata,"a",@progbits
	.p2align	6, 0x0
	.amdhsa_kernel _ZL9rope_normILb0ELb0EffEvPKT1_PT2_iiiiiiiiiiPKifff14rope_corr_dimsfPKfPKli
		.amdhsa_group_segment_fixed_size 0
		.amdhsa_private_segment_fixed_size 0
		.amdhsa_kernarg_size 368
		.amdhsa_user_sgpr_count 2
		.amdhsa_user_sgpr_dispatch_ptr 0
		.amdhsa_user_sgpr_queue_ptr 0
		.amdhsa_user_sgpr_kernarg_segment_ptr 1
		.amdhsa_user_sgpr_dispatch_id 0
		.amdhsa_user_sgpr_kernarg_preload_length 0
		.amdhsa_user_sgpr_kernarg_preload_offset 0
		.amdhsa_user_sgpr_private_segment_size 0
		.amdhsa_wavefront_size32 1
		.amdhsa_uses_dynamic_stack 0
		.amdhsa_enable_private_segment 0
		.amdhsa_system_sgpr_workgroup_id_x 1
		.amdhsa_system_sgpr_workgroup_id_y 1
		.amdhsa_system_sgpr_workgroup_id_z 0
		.amdhsa_system_sgpr_workgroup_info 0
		.amdhsa_system_vgpr_workitem_id 1
		.amdhsa_next_free_vgpr 26
		.amdhsa_next_free_sgpr 16
		.amdhsa_named_barrier_count 0
		.amdhsa_reserve_vcc 1
		.amdhsa_float_round_mode_32 0
		.amdhsa_float_round_mode_16_64 0
		.amdhsa_float_denorm_mode_32 3
		.amdhsa_float_denorm_mode_16_64 3
		.amdhsa_fp16_overflow 0
		.amdhsa_memory_ordered 1
		.amdhsa_forward_progress 1
		.amdhsa_inst_pref_size 36
		.amdhsa_round_robin_scheduling 0
		.amdhsa_exception_fp_ieee_invalid_op 0
		.amdhsa_exception_fp_denorm_src 0
		.amdhsa_exception_fp_ieee_div_zero 0
		.amdhsa_exception_fp_ieee_overflow 0
		.amdhsa_exception_fp_ieee_underflow 0
		.amdhsa_exception_fp_ieee_inexact 0
		.amdhsa_exception_int_div_zero 0
	.end_amdhsa_kernel
	.section	.text._ZL9rope_normILb0ELb0EffEvPKT1_PT2_iiiiiiiiiiPKifff14rope_corr_dimsfPKfPKli,"axG",@progbits,_ZL9rope_normILb0ELb0EffEvPKT1_PT2_iiiiiiiiiiPKifff14rope_corr_dimsfPKfPKli,comdat
.Lfunc_end34:
	.size	_ZL9rope_normILb0ELb0EffEvPKT1_PT2_iiiiiiiiiiPKifff14rope_corr_dimsfPKfPKli, .Lfunc_end34-_ZL9rope_normILb0ELb0EffEvPKT1_PT2_iiiiiiiiiiPKifff14rope_corr_dimsfPKfPKli
                                        ; -- End function
	.set _ZL9rope_normILb0ELb0EffEvPKT1_PT2_iiiiiiiiiiPKifff14rope_corr_dimsfPKfPKli.num_vgpr, 26
	.set _ZL9rope_normILb0ELb0EffEvPKT1_PT2_iiiiiiiiiiPKifff14rope_corr_dimsfPKfPKli.num_agpr, 0
	.set _ZL9rope_normILb0ELb0EffEvPKT1_PT2_iiiiiiiiiiPKifff14rope_corr_dimsfPKfPKli.numbered_sgpr, 16
	.set _ZL9rope_normILb0ELb0EffEvPKT1_PT2_iiiiiiiiiiPKifff14rope_corr_dimsfPKfPKli.num_named_barrier, 0
	.set _ZL9rope_normILb0ELb0EffEvPKT1_PT2_iiiiiiiiiiPKifff14rope_corr_dimsfPKfPKli.private_seg_size, 0
	.set _ZL9rope_normILb0ELb0EffEvPKT1_PT2_iiiiiiiiiiPKifff14rope_corr_dimsfPKfPKli.uses_vcc, 1
	.set _ZL9rope_normILb0ELb0EffEvPKT1_PT2_iiiiiiiiiiPKifff14rope_corr_dimsfPKfPKli.uses_flat_scratch, 0
	.set _ZL9rope_normILb0ELb0EffEvPKT1_PT2_iiiiiiiiiiPKifff14rope_corr_dimsfPKfPKli.has_dyn_sized_stack, 0
	.set _ZL9rope_normILb0ELb0EffEvPKT1_PT2_iiiiiiiiiiPKifff14rope_corr_dimsfPKfPKli.has_recursion, 0
	.set _ZL9rope_normILb0ELb0EffEvPKT1_PT2_iiiiiiiiiiPKifff14rope_corr_dimsfPKfPKli.has_indirect_call, 0
	.section	.AMDGPU.csdata,"",@progbits
; Kernel info:
; codeLenInByte = 4596
; TotalNumSgprs: 18
; NumVgprs: 26
; ScratchSize: 0
; MemoryBound: 0
; FloatMode: 240
; IeeeMode: 1
; LDSByteSize: 0 bytes/workgroup (compile time only)
; SGPRBlocks: 0
; VGPRBlocks: 1
; NumSGPRsForWavesPerEU: 18
; NumVGPRsForWavesPerEU: 26
; NamedBarCnt: 0
; Occupancy: 16
; WaveLimiterHint : 0
; COMPUTE_PGM_RSRC2:SCRATCH_EN: 0
; COMPUTE_PGM_RSRC2:USER_SGPR: 2
; COMPUTE_PGM_RSRC2:TRAP_HANDLER: 0
; COMPUTE_PGM_RSRC2:TGID_X_EN: 1
; COMPUTE_PGM_RSRC2:TGID_Y_EN: 1
; COMPUTE_PGM_RSRC2:TGID_Z_EN: 0
; COMPUTE_PGM_RSRC2:TIDIG_COMP_CNT: 1
	.section	.text._ZL9rope_normILb0ELb1EffEvPKT1_PT2_iiiiiiiiiiPKifff14rope_corr_dimsfPKfPKli,"axG",@progbits,_ZL9rope_normILb0ELb1EffEvPKT1_PT2_iiiiiiiiiiPKifff14rope_corr_dimsfPKfPKli,comdat
	.globl	_ZL9rope_normILb0ELb1EffEvPKT1_PT2_iiiiiiiiiiPKifff14rope_corr_dimsfPKfPKli ; -- Begin function _ZL9rope_normILb0ELb1EffEvPKT1_PT2_iiiiiiiiiiPKifff14rope_corr_dimsfPKfPKli
	.p2align	8
	.type	_ZL9rope_normILb0ELb1EffEvPKT1_PT2_iiiiiiiiiiPKifff14rope_corr_dimsfPKfPKli,@function
_ZL9rope_normILb0ELb1EffEvPKT1_PT2_iiiiiiiiiiPKifff14rope_corr_dimsfPKfPKli: ; @_ZL9rope_normILb0ELb1EffEvPKT1_PT2_iiiiiiiiiiPKifff14rope_corr_dimsfPKfPKli
; %bb.0:
	s_clause 0x1
	s_load_u16 s3, s[0:1], 0x7e
	s_load_b256 s[4:11], s[0:1], 0x10
	s_bfe_u32 s2, ttmp6, 0x40010
	s_bfe_u32 s13, ttmp6, 0x40004
	s_add_co_i32 s2, s2, 1
	v_bfe_u32 v1, v0, 10, 10
	s_mul_i32 s12, ttmp7, s2
	s_getreg_b32 s2, hwreg(HW_REG_IB_STS2, 6, 4)
	s_add_co_i32 s13, s13, s12
	s_cmp_eq_u32 s2, 0
	s_cselect_b32 s12, ttmp7, s13
	s_wait_kmcnt 0x0
	s_mul_i32 s12, s12, s3
	s_mov_b32 s3, exec_lo
	v_add_lshl_u32 v5, s12, v1, 1
	s_delay_alu instid0(VALU_DEP_1)
	v_cmpx_gt_i32_e64 s4, v5
	s_cbranch_execz .LBB35_19
; %bb.1:
	s_add_nc_u64 s[12:13], s[0:1], 0x70
	s_bfe_u32 s4, ttmp6, 0x4000c
	s_load_b32 s3, s[12:13], 0xc
	s_add_co_i32 s4, s4, 1
	s_wait_xcnt 0x0
	s_and_b32 s12, ttmp6, 15
	s_mul_i32 s4, ttmp9, s4
	v_and_b32_e32 v0, 0x3ff, v0
	s_add_co_i32 s12, s12, s4
	s_wait_kmcnt 0x0
	s_and_b32 s3, s3, 0xffff
	s_cmp_eq_u32 s2, 0
	s_mul_i32 s2, s6, s5
	s_cselect_b32 s4, ttmp9, s12
	s_abs_i32 s6, s2
	v_mad_u32 v2, s4, s3, v0
	s_cvt_f32_u32 s12, s6
	s_sub_co_i32 s4, 0, s6
	s_delay_alu instid0(SALU_CYCLE_2) | instskip(NEXT) | instid1(VALU_DEP_1)
	v_rcp_iflag_f32_e32 v1, s12
	v_sub_nc_u32_e32 v0, 0, v2
	s_delay_alu instid0(TRANS32_DEP_1) | instskip(NEXT) | instid1(VALU_DEP_2)
	v_readfirstlane_b32 s3, v1
	v_max_i32_e32 v0, v2, v0
	s_mul_f32 s3, s3, 0x4f7ffffe
	s_delay_alu instid0(SALU_CYCLE_3) | instskip(NEXT) | instid1(SALU_CYCLE_3)
	s_cvt_u32_f32 s3, s3
	s_mul_i32 s4, s4, s3
	s_delay_alu instid0(SALU_CYCLE_1) | instskip(NEXT) | instid1(SALU_CYCLE_1)
	s_mul_hi_u32 s4, s3, s4
	s_add_co_i32 s3, s3, s4
	s_load_b32 s4, s[0:1], 0x68
	v_mul_hi_u32 v1, v0, s3
	s_cvt_f32_u32 s3, s5
	s_delay_alu instid0(VALU_DEP_1) | instskip(NEXT) | instid1(VALU_DEP_1)
	v_mul_lo_u32 v3, v1, s6
	v_dual_sub_nc_u32 v0, v0, v3 :: v_dual_add_nc_u32 v3, 1, v1
	s_delay_alu instid0(VALU_DEP_1) | instskip(NEXT) | instid1(VALU_DEP_2)
	v_cmp_le_u32_e32 vcc_lo, s6, v0
	v_dual_cndmask_b32 v1, v1, v3, vcc_lo :: v_dual_bitop2_b32 v3, s2, v2 bitop3:0x14
	v_subrev_nc_u32_e32 v4, s6, v0
	s_delay_alu instid0(VALU_DEP_1) | instskip(NEXT) | instid1(VALU_DEP_1)
	v_dual_cndmask_b32 v0, v0, v4, vcc_lo :: v_dual_add_nc_u32 v4, 1, v1
	v_cmp_le_u32_e32 vcc_lo, s6, v0
	s_delay_alu instid0(VALU_DEP_2) | instskip(SKIP_1) | instid1(VALU_DEP_1)
	v_dual_cndmask_b32 v0, v1, v4 :: v_dual_ashrrev_i32 v3, 31, v3
	v_rcp_iflag_f32_e32 v1, s3
	v_xor_b32_e32 v0, v0, v3
	s_delay_alu instid0(TRANS32_DEP_1) | instskip(NEXT) | instid1(VALU_DEP_2)
	v_readfirstlane_b32 s3, v1
	v_sub_nc_u32_e32 v0, v0, v3
	s_delay_alu instid0(VALU_DEP_1) | instskip(SKIP_2) | instid1(SALU_CYCLE_2)
	v_mul_lo_u32 v1, s2, v0
	s_mul_f32 s2, s3, 0x4f7ffffe
	s_sub_co_i32 s3, 0, s5
	s_cvt_u32_f32 s2, s2
	s_delay_alu instid0(SALU_CYCLE_3) | instskip(NEXT) | instid1(VALU_DEP_1)
	s_mul_i32 s3, s3, s2
	v_sub_nc_u32_e32 v1, v2, v1
	s_mul_hi_u32 s3, s2, s3
	s_delay_alu instid0(SALU_CYCLE_1)
	s_add_co_i32 s2, s2, s3
	s_wait_kmcnt 0x0
	s_cmp_eq_u32 s4, 0
	v_mul_hi_u32 v2, v1, s2
	s_clause 0x1
	s_load_b64 s[2:3], s[0:1], 0x30
	s_load_b128 s[12:15], s[0:1], 0x58
	s_delay_alu instid0(VALU_DEP_1) | instskip(NEXT) | instid1(VALU_DEP_1)
	v_mul_lo_u32 v3, v2, s5
	v_dual_add_nc_u32 v4, 1, v2 :: v_dual_sub_nc_u32 v3, v1, v3
	s_delay_alu instid0(VALU_DEP_1) | instskip(SKIP_1) | instid1(VALU_DEP_2)
	v_subrev_nc_u32_e32 v6, s5, v3
	v_cmp_le_u32_e32 vcc_lo, s5, v3
	v_dual_cndmask_b32 v2, v2, v4 :: v_dual_cndmask_b32 v3, v3, v6
	s_delay_alu instid0(VALU_DEP_1) | instskip(NEXT) | instid1(VALU_DEP_2)
	v_add_nc_u32_e32 v4, 1, v2
	v_cmp_le_u32_e32 vcc_lo, s5, v3
	s_delay_alu instid0(VALU_DEP_2)
	v_cndmask_b32_e32 v8, v2, v4, vcc_lo
	s_cbranch_scc1 .LBB35_3
; %bb.2:
	v_mov_b32_e32 v9, 0
	s_wait_kmcnt 0x0
	s_delay_alu instid0(VALU_DEP_1)
	v_lshl_add_u64 v[2:3], v[8:9], 3, s[14:15]
	global_load_b32 v2, v[2:3], off
	s_wait_loadcnt 0x0
	v_mul_lo_u32 v3, s4, v2
	s_branch .LBB35_4
.LBB35_3:
	s_wait_kmcnt 0x0
	v_mul_lo_u32 v2, v0, s2
	s_delay_alu instid0(VALU_DEP_1)
	v_mad_u32 v3, v8, s11, v2
.LBB35_4:
	v_mad_u32 v0, v0, s9, v5
	v_mul_lo_u32 v2, v8, s5
	s_mov_b32 s2, exec_lo
	s_delay_alu instid0(VALU_DEP_2) | instskip(NEXT) | instid1(VALU_DEP_2)
	v_mad_u32 v0, v8, s8, v0
	v_sub_nc_u32_e32 v1, v1, v2
	s_delay_alu instid0(VALU_DEP_1) | instskip(SKIP_1) | instid1(VALU_DEP_3)
	v_mul_lo_u32 v4, v1, s10
	s_load_b128 s[8:11], s[0:1], 0x0
	v_mad_u32 v2, v1, s7, v0
	s_delay_alu instid0(VALU_DEP_2) | instskip(NEXT) | instid1(VALU_DEP_1)
	v_add3_u32 v0, v4, v5, v3
	v_dual_ashrrev_i32 v1, 31, v0 :: v_dual_ashrrev_i32 v3, 31, v2
	v_cmpx_le_i32_e64 s3, v5
	s_xor_b32 s2, exec_lo, s2
	s_cbranch_execz .LBB35_6
; %bb.5:
	s_wait_kmcnt 0x0
	v_lshl_add_u64 v[2:3], v[2:3], 2, s[8:9]
	v_lshl_add_u64 v[0:1], v[0:1], 2, s[10:11]
                                        ; implicit-def: $vgpr8
                                        ; implicit-def: $vgpr5
	global_load_b64 v[2:3], v[2:3], off
	s_wait_loadcnt 0x0
	global_store_b64 v[0:1], v[2:3], off
                                        ; implicit-def: $vgpr2
                                        ; implicit-def: $vgpr0
.LBB35_6:
	s_wait_xcnt 0x0
	s_and_not1_saveexec_b32 s2, s2
	s_cbranch_execz .LBB35_19
; %bb.7:
	s_clause 0x1
	s_load_b64 s[14:15], s[0:1], 0x50
	s_load_b64 s[2:3], s[0:1], 0x38
	v_cvt_f32_i32_e32 v4, v5
	s_mov_b32 s4, 0x3e76c4e1
	s_delay_alu instid0(VALU_DEP_1)
	v_mul_f32_e32 v4, 0.5, v4
	s_wait_kmcnt 0x0
	s_cmp_neq_f32 s15, 1.0
	global_load_b32 v8, v8, s[2:3] scale_offset
	s_cselect_b32 vcc_lo, -1, 0
	v_cndmask_b32_e32 v12, 1.0, v4, vcc_lo
	s_delay_alu instid0(VALU_DEP_1) | instskip(SKIP_1) | instid1(VALU_DEP_1)
	v_cmp_neq_f32_e32 vcc_lo, 0, v12
	v_cndmask_b32_e64 v9, 1.0, s15, vcc_lo
	v_frexp_mant_f32_e64 v4, |v9|
	v_cmp_lt_f32_e64 s6, |v9|, 1.0
	s_delay_alu instid0(VALU_DEP_2) | instskip(SKIP_1) | instid1(VALU_DEP_1)
	v_cmp_gt_f32_e32 vcc_lo, 0x3f2aaaab, v4
	v_cndmask_b32_e64 v6, 1.0, 2.0, vcc_lo
	v_mul_f32_e32 v4, v4, v6
	v_cmp_neq_f32_e64 s5, v12, |v12|
	s_delay_alu instid0(VALU_DEP_2) | instskip(SKIP_1) | instid1(VALU_DEP_1)
	v_dual_add_f32 v6, 1.0, v4 :: v_dual_add_f32 v7, -1.0, v4
	s_xor_b32 s5, s5, s6
	v_rcp_f32_e32 v13, v6
	v_nop
	s_delay_alu instid0(TRANS32_DEP_1) | instskip(NEXT) | instid1(VALU_DEP_1)
	v_dual_mul_f32 v16, v7, v13 :: v_dual_add_f32 v11, -1.0, v6
	v_dual_mul_f32 v10, v6, v16 :: v_dual_sub_f32 v4, v4, v11
	s_delay_alu instid0(VALU_DEP_1) | instskip(NEXT) | instid1(VALU_DEP_1)
	v_fma_f32 v14, v16, v6, -v10
	v_fmac_f32_e32 v14, v16, v4
	s_delay_alu instid0(VALU_DEP_1) | instskip(NEXT) | instid1(VALU_DEP_1)
	v_add_f32_e32 v6, v10, v14
	v_dual_sub_f32 v11, v7, v6 :: v_dual_mov_b32 v15, v6
	s_delay_alu instid0(VALU_DEP_1) | instskip(NEXT) | instid1(VALU_DEP_1)
	v_pk_add_f32 v[6:7], v[6:7], v[10:11] neg_lo:[0,1] neg_hi:[0,1]
	v_pk_add_f32 v[6:7], v[6:7], v[14:15] neg_lo:[0,1] neg_hi:[0,1]
	s_delay_alu instid0(VALU_DEP_1) | instskip(NEXT) | instid1(VALU_DEP_1)
	v_add_f32_e32 v4, v6, v7
	v_add_f32_e32 v4, v11, v4
	s_delay_alu instid0(VALU_DEP_1) | instskip(NEXT) | instid1(VALU_DEP_1)
	v_mul_f32_e32 v6, v13, v4
	v_add_f32_e32 v4, v16, v6
	s_delay_alu instid0(VALU_DEP_1) | instskip(NEXT) | instid1(VALU_DEP_1)
	v_sub_f32_e32 v7, v4, v16
	v_dual_mul_f32 v13, v4, v4 :: v_dual_sub_f32 v20, v6, v7
	s_delay_alu instid0(VALU_DEP_1) | instskip(NEXT) | instid1(VALU_DEP_2)
	v_fma_f32 v7, v4, v4, -v13
	v_add_f32_e32 v6, v20, v20
	s_delay_alu instid0(VALU_DEP_1) | instskip(NEXT) | instid1(VALU_DEP_1)
	v_fmac_f32_e32 v7, v4, v6
	v_add_f32_e32 v6, v13, v7
	s_delay_alu instid0(VALU_DEP_1) | instskip(SKIP_1) | instid1(VALU_DEP_2)
	v_dual_fmaak_f32 v10, s4, v6, 0x3e91f4c4 :: v_dual_sub_f32 v13, v6, v13
	v_cmp_eq_f32_e64 s4, 0, v9
	v_fmaak_f32 v14, v6, v10, 0x3ecccdef
	s_delay_alu instid0(VALU_DEP_3) | instskip(SKIP_1) | instid1(VALU_DEP_3)
	v_sub_f32_e32 v18, v7, v13
	v_cvt_f64_f32_e64 v[10:11], |v9|
	v_dual_ashrrev_i32 v13, 1, v5 :: v_dual_mul_f32 v15, v6, v14
	global_load_b32 v24, v13, s[12:13] scale_offset
	v_fma_f32 v7, v6, v14, -v15
	s_delay_alu instid0(VALU_DEP_1) | instskip(NEXT) | instid1(VALU_DEP_1)
	v_fmac_f32_e32 v7, v18, v14
	v_add_f32_e32 v14, v15, v7
	s_delay_alu instid0(VALU_DEP_1) | instskip(NEXT) | instid1(VALU_DEP_1)
	v_sub_f32_e32 v5, v14, v15
	v_sub_f32_e32 v5, v7, v5
	v_frexp_exp_i32_f64_e32 v19, v[10:11]
	s_delay_alu instid0(VALU_DEP_2) | instskip(SKIP_1) | instid1(VALU_DEP_1)
	v_add_f32_e32 v5, 0x31739010, v5
	v_add_f32_e32 v15, 0x3f2aaaaa, v14
	;; [unrolled: 1-line block ×3, first 2 shown]
	s_delay_alu instid0(VALU_DEP_1) | instskip(NEXT) | instid1(VALU_DEP_1)
	v_sub_f32_e32 v7, v14, v7
	v_pk_mul_f32 v[10:11], v[4:5], v[6:7]
	v_pk_add_f32 v[16:17], v[4:5], v[6:7]
	s_delay_alu instid0(VALU_DEP_1) | instskip(NEXT) | instid1(VALU_DEP_1)
	v_dual_fma_f32 v14, v6, v4, -v10 :: v_dual_mov_b32 v11, v17
	v_fmac_f32_e32 v14, v6, v20
	v_subrev_co_ci_u32_e64 v5, null, 0, v19, vcc_lo
	s_delay_alu instid0(VALU_DEP_2) | instskip(NEXT) | instid1(VALU_DEP_2)
	v_fmac_f32_e32 v14, v18, v4
	v_cvt_f32_i32_e32 v5, v5
	s_delay_alu instid0(VALU_DEP_2) | instskip(NEXT) | instid1(VALU_DEP_1)
	v_pk_add_f32 v[6:7], v[10:11], v[14:15]
	v_mov_b32_e32 v16, v7
	s_delay_alu instid0(VALU_DEP_2) | instskip(NEXT) | instid1(VALU_DEP_2)
	v_dual_sub_f32 v11, v15, v7 :: v_dual_sub_f32 v15, v6, v10
	v_pk_mul_f32 v[18:19], v[6:7], v[16:17]
	s_delay_alu instid0(VALU_DEP_2) | instskip(NEXT) | instid1(VALU_DEP_3)
	v_dual_add_f32 v11, v17, v11 :: v_dual_mul_f32 v16, 0x3f317218, v5
	v_sub_f32_e32 v14, v14, v15
	s_delay_alu instid0(VALU_DEP_3) | instskip(NEXT) | instid1(VALU_DEP_1)
	v_fma_f32 v10, v6, v7, -v18
	v_fmac_f32_e32 v10, v6, v11
	s_delay_alu instid0(VALU_DEP_4) | instskip(NEXT) | instid1(VALU_DEP_2)
	v_fma_f32 v6, 0x3f317218, v5, -v16
	v_fmac_f32_e32 v10, v14, v7
	s_delay_alu instid0(VALU_DEP_2) | instskip(SKIP_1) | instid1(VALU_DEP_1)
	v_fmamk_f32 v6, v5, 0xb102e308, v6
	v_ldexp_f32 v7, v4, 1
	v_dual_add_f32 v17, v18, v10 :: v_dual_mov_b32 v19, v7
	s_delay_alu instid0(VALU_DEP_1) | instskip(SKIP_2) | instid1(VALU_DEP_3)
	v_pk_add_f32 v[4:5], v[16:17], v[6:7]
	v_dual_mov_b32 v14, v17 :: v_dual_mov_b32 v11, v17
	v_ldexp_f32 v7, v20, 1
	v_mov_b32_e32 v15, v5
	s_delay_alu instid0(VALU_DEP_1) | instskip(NEXT) | instid1(VALU_DEP_1)
	v_pk_add_f32 v[14:15], v[14:15], v[18:19] neg_lo:[0,1] neg_hi:[0,1]
	v_pk_add_f32 v[10:11], v[10:11], v[14:15] neg_lo:[0,1] neg_hi:[0,1]
	s_delay_alu instid0(VALU_DEP_1) | instskip(NEXT) | instid1(VALU_DEP_1)
	v_add_f32_e32 v7, v7, v10
	v_dual_add_f32 v17, v7, v11 :: v_dual_mov_b32 v7, v4
	s_delay_alu instid0(VALU_DEP_1) | instskip(SKIP_1) | instid1(VALU_DEP_2)
	v_pk_add_f32 v[10:11], v[4:5], v[16:17]
	v_pk_add_f32 v[14:15], v[4:5], v[16:17] neg_lo:[0,1] neg_hi:[0,1]
	v_dual_mov_b32 v22, v5 :: v_dual_mov_b32 v15, v11
	s_delay_alu instid0(VALU_DEP_1) | instskip(NEXT) | instid1(VALU_DEP_1)
	v_pk_add_f32 v[18:19], v[6:7], v[14:15]
	v_dual_mov_b32 v18, v11 :: v_dual_mov_b32 v16, v19
	v_pk_add_f32 v[6:7], v[6:7], v[14:15] neg_lo:[0,1] neg_hi:[0,1]
	s_delay_alu instid0(VALU_DEP_2) | instskip(SKIP_1) | instid1(VALU_DEP_2)
	v_pk_add_f32 v[20:21], v[16:17], v[4:5] neg_lo:[0,1] neg_hi:[0,1]
	v_dual_mov_b32 v5, v4 :: v_dual_mov_b32 v4, v17
	v_dual_mov_b32 v17, v20 :: v_dual_mov_b32 v23, v20
	s_delay_alu instid0(VALU_DEP_1) | instskip(NEXT) | instid1(VALU_DEP_2)
	v_pk_add_f32 v[10:11], v[10:11], v[16:17] neg_lo:[0,1] neg_hi:[0,1]
	v_pk_add_f32 v[14:15], v[18:19], v[22:23] neg_lo:[0,1] neg_hi:[0,1]
	v_mov_b32_e32 v10, v6
	s_delay_alu instid0(VALU_DEP_2) | instskip(NEXT) | instid1(VALU_DEP_1)
	v_pk_add_f32 v[4:5], v[4:5], v[14:15] neg_lo:[0,1] neg_hi:[0,1]
	v_pk_add_f32 v[10:11], v[10:11], v[4:5]
	s_delay_alu instid0(VALU_DEP_1) | instskip(NEXT) | instid1(VALU_DEP_1)
	v_mov_b32_e32 v14, v11
	v_pk_add_f32 v[14:15], v[10:11], v[14:15]
	s_delay_alu instid0(VALU_DEP_1) | instskip(NEXT) | instid1(VALU_DEP_1)
	v_pk_add_f32 v[16:17], v[16:17], v[14:15]
	v_dual_mov_b32 v7, v19 :: v_dual_mov_b32 v11, v16
	s_delay_alu instid0(VALU_DEP_1) | instskip(NEXT) | instid1(VALU_DEP_1)
	v_pk_add_f32 v[18:19], v[10:11], v[6:7] neg_lo:[0,1] neg_hi:[0,1]
	v_sub_f32_e32 v7, v10, v18
	s_delay_alu instid0(VALU_DEP_1) | instskip(SKIP_1) | instid1(VALU_DEP_1)
	v_sub_f32_e32 v6, v6, v7
	v_mov_b32_e32 v5, v14
	v_pk_add_f32 v[4:5], v[4:5], v[18:19] neg_lo:[0,1] neg_hi:[0,1]
	s_delay_alu instid0(VALU_DEP_1) | instskip(NEXT) | instid1(VALU_DEP_1)
	v_add_f32_e32 v4, v4, v6
	v_add_f32_e32 v4, v4, v5
	s_delay_alu instid0(VALU_DEP_1) | instskip(NEXT) | instid1(VALU_DEP_1)
	v_add_f32_e32 v5, v16, v4
	v_dual_sub_f32 v6, v5, v16 :: v_dual_mul_f32 v7, v12, v5
	s_delay_alu instid0(VALU_DEP_1) | instskip(NEXT) | instid1(VALU_DEP_2)
	v_sub_f32_e32 v4, v4, v6
	v_fma_f32 v5, v12, v5, -v7
	v_cmp_class_f32_e64 vcc_lo, v7, 0x204
	s_delay_alu instid0(VALU_DEP_2) | instskip(NEXT) | instid1(VALU_DEP_1)
	v_fmac_f32_e32 v5, v12, v4
	v_add_f32_e32 v4, v7, v5
	s_delay_alu instid0(VALU_DEP_1) | instskip(NEXT) | instid1(VALU_DEP_1)
	v_cndmask_b32_e32 v6, v4, v7, vcc_lo
	v_cmp_eq_f32_e32 vcc_lo, 0x42b17218, v6
	v_cndmask_b32_e64 v10, 0, 0x37000000, vcc_lo
	s_delay_alu instid0(VALU_DEP_1) | instskip(NEXT) | instid1(VALU_DEP_1)
	v_sub_f32_e32 v11, v6, v10
	v_mul_f32_e32 v14, 0x3fb8aa3b, v11
	s_delay_alu instid0(VALU_DEP_1) | instskip(SKIP_1) | instid1(VALU_DEP_1)
	v_fma_f32 v15, 0x3fb8aa3b, v11, -v14
	v_rndne_f32_e32 v16, v14
	v_dual_fmamk_f32 v15, v11, 0x32a5705f, v15 :: v_dual_sub_f32 v14, v14, v16
	v_sub_f32_e32 v4, v4, v7
	v_cmp_neq_f32_e64 vcc_lo, 0x7f800000, |v6|
	v_trunc_f32_e32 v6, v12
	s_delay_alu instid0(VALU_DEP_3) | instskip(NEXT) | instid1(VALU_DEP_1)
	v_dual_add_f32 v14, v14, v15 :: v_dual_sub_f32 v4, v5, v4
	v_exp_f32_e32 v7, v14
	v_nop
	v_cvt_i32_f32_e32 v14, v16
	s_delay_alu instid0(VALU_DEP_3)
	v_cndmask_b32_e32 v4, 0, v4, vcc_lo
	v_cmp_ngt_f32_e32 vcc_lo, 0xc2ce8ed0, v11
	s_delay_alu instid0(TRANS32_DEP_1) | instid1(VALU_DEP_3)
	v_ldexp_f32 v5, v7, v14
	s_delay_alu instid0(VALU_DEP_1) | instskip(NEXT) | instid1(VALU_DEP_1)
	v_dual_mul_f32 v7, 0.5, v12 :: v_dual_cndmask_b32 v5, 0, v5, vcc_lo
	v_trunc_f32_e32 v14, v7
	v_cmp_nlt_f32_e32 vcc_lo, 0x42b17218, v11
	s_wait_xcnt 0x1
	s_delay_alu instid0(VALU_DEP_2) | instskip(SKIP_2) | instid1(VALU_DEP_2)
	v_cmp_neq_f32_e64 s2, v14, v7
	v_cndmask_b32_e32 v5, 0x7f800000, v5, vcc_lo
	v_cmp_eq_f32_e32 vcc_lo, v6, v12
	v_cmp_class_f32_e64 s3, v5, 0x204
	s_and_b32 s2, vcc_lo, s2
	s_delay_alu instid0(SALU_CYCLE_1) | instskip(SKIP_2) | instid1(VALU_DEP_3)
	v_dual_cndmask_b32 v6, 1.0, v9, s2 :: v_dual_add_f32 v4, v10, v4
	v_cndmask_b32_e64 v10, 0, v9, s2
	v_cmp_class_f32_e64 s2, v9, 0x204
	v_fma_f32 v4, v5, v4, v5
	s_delay_alu instid0(VALU_DEP_1) | instskip(SKIP_2) | instid1(VALU_DEP_3)
	v_cndmask_b32_e64 v4, v4, v5, s3
	v_cndmask_b32_e64 v5, 0x7f800000, 0, s5
	v_cmp_gt_f32_e64 s3, 0, v12
	v_bfi_b32 v4, 0x7fffffff, v4, v6
	s_xor_b32 s3, s3, s4
	s_delay_alu instid0(SALU_CYCLE_1) | instskip(NEXT) | instid1(VALU_DEP_2)
	v_cndmask_b32_e64 v6, 0x7f800000, 0, s3
	v_cndmask_b32_e32 v7, 0x7fc00000, v4, vcc_lo
	v_cmp_neq_f32_e64 vcc_lo, |v9|, 1.0
	s_delay_alu instid0(VALU_DEP_3) | instskip(SKIP_4) | instid1(VALU_DEP_2)
	v_bfi_b32 v6, 0x7fffffff, v6, v10
	v_cndmask_b32_e32 v5, 1.0, v5, vcc_lo
	v_cmp_gt_f32_e32 vcc_lo, 0, v9
	v_cndmask_b32_e32 v4, v4, v7, vcc_lo
	v_cmp_class_f32_e64 vcc_lo, v12, 0x204
	v_cndmask_b32_e32 v4, v4, v5, vcc_lo
	s_or_b32 vcc_lo, s4, s2
	s_wait_loadcnt 0x1
	v_cvt_f32_i32_e32 v5, v8
	s_load_b128 s[4:7], s[0:1], 0x40
	v_cndmask_b32_e32 v4, v4, v6, vcc_lo
	v_cmp_o_f32_e32 vcc_lo, v9, v9
	s_delay_alu instid0(VALU_DEP_2) | instskip(NEXT) | instid1(VALU_DEP_1)
	v_cndmask_b32_e32 v4, 0x7fc00000, v4, vcc_lo
	v_mul_f32_e32 v4, v4, v5
	s_wait_loadcnt 0x0
	s_delay_alu instid0(VALU_DEP_1) | instskip(SKIP_3) | instid1(VALU_DEP_2)
	v_div_scale_f32 v5, null, v24, v24, v4
	v_div_scale_f32 v8, vcc_lo, v4, v24, v4
	s_wait_kmcnt 0x0
	s_cmp_eq_f32 s5, 0
	v_rcp_f32_e32 v6, v5
	v_nop
	s_delay_alu instid0(TRANS32_DEP_1) | instskip(NEXT) | instid1(VALU_DEP_1)
	v_fma_f32 v7, -v5, v6, 1.0
	v_fmac_f32_e32 v6, v7, v6
	s_delay_alu instid0(VALU_DEP_1) | instskip(NEXT) | instid1(VALU_DEP_1)
	v_mul_f32_e32 v7, v8, v6
	v_fma_f32 v9, -v5, v7, v8
	s_delay_alu instid0(VALU_DEP_1) | instskip(NEXT) | instid1(VALU_DEP_1)
	v_fmac_f32_e32 v7, v9, v6
	v_fma_f32 v5, -v5, v7, v8
	s_delay_alu instid0(VALU_DEP_1) | instskip(NEXT) | instid1(VALU_DEP_1)
	v_div_fmas_f32 v5, v5, v6, v7
	v_div_fixup_f32 v4, v5, v24, v4
	s_delay_alu instid0(VALU_DEP_1)
	v_mul_f32_e32 v5, s4, v4
	s_cbranch_scc1 .LBB35_9
; %bb.8:
	v_cvt_f32_i32_e32 v6, v13
	s_sub_f32 s0, s14, s7
	v_div_scale_f32 v8, null, s4, s4, 1.0
	s_delay_alu instid0(SALU_CYCLE_2) | instskip(SKIP_4) | instid1(VALU_DEP_3)
	s_max_num_f32 s1, s0, 0x3a83126f
	v_subrev_f32_e32 v6, s7, v6
	v_rcp_f32_e32 v10, v8
	v_nop
	v_xor_b32_e32 v8, 0x80000000, v8
	v_div_scale_f32 v7, null, s1, s1, v6
	s_delay_alu instid0(TRANS32_DEP_1) | instid1(VALU_DEP_2)
	v_fma_f32 v12, v8, v10, 1.0
	s_delay_alu instid0(VALU_DEP_2) | instskip(SKIP_1) | instid1(TRANS32_DEP_1)
	v_rcp_f32_e32 v9, v7
	v_nop
	v_fma_f32 v11, -v7, v9, 1.0
	s_delay_alu instid0(VALU_DEP_1) | instskip(SKIP_2) | instid1(VALU_DEP_2)
	v_fmac_f32_e32 v9, v11, v9
	v_div_scale_f32 v13, vcc_lo, v6, s1, v6
	v_div_scale_f32 v11, s0, 1.0, s4, 1.0
	v_dual_fmac_f32 v10, v12, v10 :: v_dual_mul_f32 v12, v13, v9
	s_delay_alu instid0(VALU_DEP_1) | instskip(NEXT) | instid1(VALU_DEP_1)
	v_mul_f32_e32 v14, v11, v10
	v_dual_fma_f32 v15, -v7, v12, v13 :: v_dual_fma_f32 v16, v8, v14, v11
	s_delay_alu instid0(VALU_DEP_1) | instskip(NEXT) | instid1(VALU_DEP_1)
	v_dual_fmac_f32 v12, v15, v9 :: v_dual_fmac_f32 v14, v16, v10
	v_dual_fma_f32 v7, -v7, v12, v13 :: v_dual_fmac_f32 v11, v8, v14
	s_delay_alu instid0(VALU_DEP_1) | instskip(SKIP_1) | instid1(VALU_DEP_2)
	v_div_fmas_f32 v7, v7, v9, v12
	s_mov_b32 vcc_lo, s0
	v_div_fmas_f32 v8, v11, v10, v14
	s_delay_alu instid0(VALU_DEP_2) | instskip(NEXT) | instid1(VALU_DEP_2)
	v_div_fixup_f32 v6, v7, s1, v6 clamp
	v_div_fixup_f32 v8, v8, s4, 1.0
	s_delay_alu instid0(VALU_DEP_2) | instskip(NEXT) | instid1(VALU_DEP_2)
	v_sub_f32_e32 v10, 1.0, v6
	v_readfirstlane_b32 s0, v8
	s_delay_alu instid0(VALU_DEP_2) | instskip(SKIP_2) | instid1(SALU_CYCLE_1)
	v_mul_f32_e32 v6, s5, v10
	s_cmp_lt_f32 s0, 0x800000
	s_cselect_b32 s0, 0x4f800000, 1.0
	v_mul_f32_e32 v8, s0, v8
	s_cselect_b32 s0, 0x41b17218, 0
	s_delay_alu instid0(VALU_DEP_1) | instskip(SKIP_1) | instid1(TRANS32_DEP_1)
	v_log_f32_e32 v8, v8
	v_nop
	v_mul_f32_e32 v9, 0x3f317217, v8
	v_and_b32_e32 v7, 0x7fffffff, v8
	s_delay_alu instid0(VALU_DEP_2) | instskip(NEXT) | instid1(VALU_DEP_2)
	v_xor_b32_e32 v9, 0x80000000, v9
	v_cmp_gt_f32_e32 vcc_lo, 0x7f800000, v7
	v_fma_f32 v7, -s5, v10, 1.0
	s_delay_alu instid0(VALU_DEP_3) | instskip(NEXT) | instid1(VALU_DEP_2)
	v_fmac_f32_e32 v9, 0x3f317217, v8
	v_pk_mul_f32 v[4:5], v[6:7], v[4:5]
	s_delay_alu instid0(VALU_DEP_2) | instskip(NEXT) | instid1(VALU_DEP_2)
	v_fmamk_f32 v9, v8, 0x3377d1cf, v9
	v_add_f32_e32 v5, v4, v5
	s_delay_alu instid0(VALU_DEP_2) | instskip(NEXT) | instid1(VALU_DEP_1)
	v_fmac_f32_e32 v9, 0x3f317217, v8
	v_dual_cndmask_b32 v8, v8, v9 :: v_dual_mov_b32 v9, 1.0
	s_delay_alu instid0(VALU_DEP_1) | instskip(NEXT) | instid1(VALU_DEP_1)
	v_subrev_f32_e32 v8, s0, v8
	v_fmamk_f32 v6, v8, 0x3dcccccd, v9
	s_delay_alu instid0(VALU_DEP_1)
	v_mul_f32_e32 v6, s6, v6
	s_branch .LBB35_10
.LBB35_9:
	v_mov_b32_e32 v6, s6
.LBB35_10:
	s_delay_alu instid0(VALU_DEP_2) | instskip(SKIP_1) | instid1(VALU_DEP_2)
	v_and_b32_e32 v4, 0x7fffffff, v5
	v_cmp_ngt_f32_e64 s2, 0x48000000, |v5|
                                        ; implicit-def: $vgpr8
                                        ; implicit-def: $vgpr7
	v_lshrrev_b32_e32 v9, 23, v4
	s_and_saveexec_b32 s0, s2
	s_delay_alu instid0(SALU_CYCLE_1)
	s_xor_b32 s3, exec_lo, s0
	s_cbranch_execz .LBB35_12
; %bb.11:
	s_mov_b32 s0, 0x7fffff
	v_mov_b32_e32 v11, 0
	v_and_or_b32 v10, v4, s0, 0x800000
	s_mov_b64 s[0:1], 0xfe5163ab
	v_add_nc_u32_e32 v7, 0xffffff88, v9
	s_delay_alu instid0(VALU_DEP_2) | instskip(NEXT) | instid1(VALU_DEP_2)
	v_mul_u64_e32 v[12:13], s[0:1], v[10:11]
	v_cmp_lt_u32_e32 vcc_lo, 63, v7
	v_cndmask_b32_e64 v8, 0, 0xffffffc0, vcc_lo
	s_delay_alu instid0(VALU_DEP_3) | instskip(SKIP_2) | instid1(VALU_DEP_3)
	v_dual_mov_b32 v14, v13 :: v_dual_mov_b32 v15, v11
	v_dual_mov_b32 v17, v11 :: v_dual_mov_b32 v19, v11
	;; [unrolled: 1-line block ×3, first 2 shown]
	v_mad_nc_u64_u32 v[14:15], 0x3c439041, v10, v[14:15]
	v_dual_add_nc_u32 v7, v8, v7 :: v_dual_mov_b32 v25, v11
	s_delay_alu instid0(VALU_DEP_1) | instskip(NEXT) | instid1(VALU_DEP_3)
	v_cmp_lt_u32_e64 s0, 31, v7
	v_mov_b32_e32 v16, v15
	s_delay_alu instid0(VALU_DEP_2) | instskip(NEXT) | instid1(VALU_DEP_2)
	v_cndmask_b32_e64 v8, 0, 0xffffffe0, s0
	v_mad_nc_u64_u32 v[16:17], 0xdb629599, v10, v[16:17]
	s_delay_alu instid0(VALU_DEP_2) | instskip(NEXT) | instid1(VALU_DEP_1)
	v_add_nc_u32_e32 v7, v8, v7
	v_cmp_lt_u32_e64 s1, 31, v7
	s_delay_alu instid0(VALU_DEP_3) | instskip(NEXT) | instid1(VALU_DEP_2)
	v_mov_b32_e32 v18, v17
	v_cndmask_b32_e64 v8, 0, 0xffffffe0, s1
	v_cndmask_b32_e32 v12, v16, v12, vcc_lo
	s_delay_alu instid0(VALU_DEP_3) | instskip(NEXT) | instid1(VALU_DEP_1)
	v_mad_nc_u64_u32 v[18:19], 0xf534ddc0, v10, v[18:19]
	v_dual_cndmask_b32 v8, v18, v14 :: v_dual_add_nc_u32 v7, v8, v7
	s_delay_alu instid0(VALU_DEP_2) | instskip(NEXT) | instid1(VALU_DEP_1)
	v_mov_b32_e32 v20, v19
	v_mad_nc_u64_u32 v[20:21], 0xfc2757d1, v10, v[20:21]
	s_delay_alu instid0(VALU_DEP_1) | instskip(NEXT) | instid1(VALU_DEP_1)
	v_dual_mov_b32 v22, v21 :: v_dual_cndmask_b32 v15, v20, v16
	v_mad_nc_u64_u32 v[22:23], 0x4e441529, v10, v[22:23]
	s_delay_alu instid0(VALU_DEP_1) | instskip(NEXT) | instid1(VALU_DEP_1)
	v_dual_mov_b32 v24, v23 :: v_dual_cndmask_b32 v13, v22, v18
	v_mad_nc_u64_u32 v[10:11], 0xa2f9836e, v10, v[24:25]
	s_delay_alu instid0(VALU_DEP_1) | instskip(SKIP_1) | instid1(VALU_DEP_2)
	v_dual_cndmask_b32 v10, v10, v20 :: v_dual_cndmask_b32 v11, v11, v22
	v_cmp_eq_u32_e32 vcc_lo, 0, v7
	v_dual_cndmask_b32 v14, v10, v13, s0 :: v_dual_cndmask_b32 v10, v11, v10, s0
	v_dual_cndmask_b32 v11, v13, v15, s0 :: v_dual_cndmask_b32 v15, v15, v8, s0
	v_dual_sub_nc_u32 v13, 32, v7 :: v_dual_cndmask_b32 v8, v8, v12, s0
	s_delay_alu instid0(VALU_DEP_3) | instskip(NEXT) | instid1(VALU_DEP_2)
	v_cndmask_b32_e64 v10, v10, v14, s1
	v_dual_cndmask_b32 v14, v14, v11, s1 :: v_dual_cndmask_b32 v8, v15, v8, s1
	s_delay_alu instid0(VALU_DEP_1) | instskip(NEXT) | instid1(VALU_DEP_1)
	v_alignbit_b32 v17, v10, v14, v13
	v_dual_cndmask_b32 v11, v11, v15, s1 :: v_dual_cndmask_b32 v7, v17, v10, vcc_lo
	s_delay_alu instid0(VALU_DEP_1) | instskip(NEXT) | instid1(VALU_DEP_4)
	v_alignbit_b32 v16, v14, v11, v13
	v_alignbit_b32 v13, v11, v8, v13
	s_delay_alu instid0(VALU_DEP_3) | instskip(NEXT) | instid1(VALU_DEP_2)
	v_bfe_u32 v12, v7, 29, 1
	v_dual_cndmask_b32 v10, v16, v14 :: v_dual_cndmask_b32 v11, v13, v11
	s_delay_alu instid0(VALU_DEP_2) | instskip(NEXT) | instid1(VALU_DEP_2)
	v_sub_nc_u32_e32 v15, 0, v12
	v_alignbit_b32 v14, v7, v10, 30
	s_delay_alu instid0(VALU_DEP_3) | instskip(SKIP_1) | instid1(VALU_DEP_3)
	v_alignbit_b32 v10, v10, v11, 30
	v_alignbit_b32 v8, v11, v8, 30
	v_xor_b32_e32 v14, v14, v15
	s_delay_alu instid0(VALU_DEP_2) | instskip(NEXT) | instid1(VALU_DEP_2)
	v_xor_b32_e32 v8, v8, v15
	v_clz_i32_u32_e32 v13, v14
	s_delay_alu instid0(VALU_DEP_1) | instskip(NEXT) | instid1(VALU_DEP_1)
	v_min_u32_e32 v13, 32, v13
	v_dual_lshlrev_b32 v16, 23, v13 :: v_dual_bitop2_b32 v10, v10, v15 bitop3:0x14
	v_sub_nc_u32_e32 v11, 31, v13
	s_delay_alu instid0(VALU_DEP_1) | instskip(SKIP_2) | instid1(VALU_DEP_1)
	v_alignbit_b32 v14, v14, v10, v11
	v_lshrrev_b32_e32 v15, 29, v7
	v_alignbit_b32 v8, v10, v8, v11
	v_alignbit_b32 v11, v14, v8, 9
	s_delay_alu instid0(VALU_DEP_3) | instskip(NEXT) | instid1(VALU_DEP_2)
	v_dual_lshrrev_b32 v14, 9, v14 :: v_dual_lshlrev_b32 v10, 31, v15
	v_clz_i32_u32_e32 v17, v11
	s_delay_alu instid0(VALU_DEP_2) | instskip(SKIP_1) | instid1(VALU_DEP_2)
	v_or_b32_e32 v15, 0.5, v10
	v_or_b32_e32 v10, 0x33000000, v10
	v_sub_nc_u32_e32 v15, v15, v16
	s_delay_alu instid0(VALU_DEP_4) | instskip(NEXT) | instid1(VALU_DEP_1)
	v_min_u32_e32 v16, 32, v17
	v_add_lshl_u32 v13, v16, v13, 23
	s_delay_alu instid0(VALU_DEP_1) | instskip(NEXT) | instid1(VALU_DEP_4)
	v_sub_nc_u32_e32 v10, v10, v13
	v_or_b32_e32 v14, v14, v15
	v_not_b32_e32 v15, v16
	s_delay_alu instid0(VALU_DEP_1) | instskip(NEXT) | instid1(VALU_DEP_1)
	v_alignbit_b32 v8, v11, v8, v15
	v_dual_mul_f32 v17, 0x3fc90fda, v14 :: v_dual_lshrrev_b32 v8, 9, v8
	s_delay_alu instid0(VALU_DEP_1) | instskip(NEXT) | instid1(VALU_DEP_2)
	v_or_b32_e32 v8, v10, v8
	v_fma_f32 v11, 0x3fc90fda, v14, -v17
	s_delay_alu instid0(VALU_DEP_1) | instskip(NEXT) | instid1(VALU_DEP_1)
	v_fmamk_f32 v11, v14, 0x33a22168, v11
	v_dual_fmac_f32 v11, 0x3fc90fda, v8 :: v_dual_lshrrev_b32 v8, 30, v7
	s_delay_alu instid0(VALU_DEP_1)
	v_dual_add_f32 v7, v17, v11 :: v_dual_add_nc_u32 v8, v12, v8
	s_or_saveexec_b32 s0, s3
	v_mul_f32_e64 v12, 0x3f22f983, |v5|
	s_xor_b32 exec_lo, exec_lo, s0
	s_branch .LBB35_13
.LBB35_12:
	s_or_saveexec_b32 s0, s3
	v_mul_f32_e64 v12, 0x3f22f983, |v5|
	s_xor_b32 exec_lo, exec_lo, s0
.LBB35_13:
	s_delay_alu instid0(VALU_DEP_1) | instskip(NEXT) | instid1(VALU_DEP_1)
	v_rndne_f32_e32 v8, v12
	v_fma_f32 v7, 0xbfc90fda, v8, |v5|
	s_delay_alu instid0(VALU_DEP_1) | instskip(NEXT) | instid1(VALU_DEP_1)
	v_fmamk_f32 v7, v8, 0xb3a22168, v7
	v_fmamk_f32 v7, v8, 0xa7c234c4, v7
	v_cvt_i32_f32_e32 v8, v8
; %bb.14:
	s_or_b32 exec_lo, exec_lo, s0
                                        ; implicit-def: $vgpr11
                                        ; implicit-def: $vgpr10
	s_and_saveexec_b32 s0, s2
	s_delay_alu instid0(SALU_CYCLE_1)
	s_xor_b32 s2, exec_lo, s0
	s_cbranch_execz .LBB35_16
; %bb.15:
	s_mov_b32 s0, 0x7fffff
	v_mov_b32_e32 v11, 0
	v_and_or_b32 v10, v4, s0, 0x800000
	s_mov_b64 s[0:1], 0xfe5163ab
	v_add_nc_u32_e32 v9, 0xffffff88, v9
	s_delay_alu instid0(VALU_DEP_2) | instskip(NEXT) | instid1(VALU_DEP_2)
	v_mul_u64_e32 v[12:13], s[0:1], v[10:11]
	v_cmp_lt_u32_e32 vcc_lo, 63, v9
	s_delay_alu instid0(VALU_DEP_2) | instskip(SKIP_2) | instid1(VALU_DEP_3)
	v_dual_mov_b32 v14, v13 :: v_dual_mov_b32 v15, v11
	v_dual_mov_b32 v17, v11 :: v_dual_mov_b32 v19, v11
	;; [unrolled: 1-line block ×3, first 2 shown]
	v_mad_nc_u64_u32 v[14:15], 0x3c439041, v10, v[14:15]
	v_cndmask_b32_e64 v13, 0, 0xffffffc0, vcc_lo
	s_delay_alu instid0(VALU_DEP_1) | instskip(NEXT) | instid1(VALU_DEP_3)
	v_dual_mov_b32 v25, v11 :: v_dual_add_nc_u32 v9, v13, v9
	v_mov_b32_e32 v16, v15
	s_delay_alu instid0(VALU_DEP_2) | instskip(NEXT) | instid1(VALU_DEP_2)
	v_cmp_lt_u32_e64 s0, 31, v9
	v_mad_nc_u64_u32 v[16:17], 0xdb629599, v10, v[16:17]
	s_delay_alu instid0(VALU_DEP_2) | instskip(NEXT) | instid1(VALU_DEP_1)
	v_cndmask_b32_e64 v13, 0, 0xffffffe0, s0
	v_add_nc_u32_e32 v9, v13, v9
	s_delay_alu instid0(VALU_DEP_3) | instskip(NEXT) | instid1(VALU_DEP_2)
	v_mov_b32_e32 v18, v17
	v_cmp_lt_u32_e64 s1, 31, v9
	v_cndmask_b32_e32 v12, v16, v12, vcc_lo
	s_delay_alu instid0(VALU_DEP_3) | instskip(NEXT) | instid1(VALU_DEP_3)
	v_mad_nc_u64_u32 v[18:19], 0xf534ddc0, v10, v[18:19]
	v_cndmask_b32_e64 v13, 0, 0xffffffe0, s1
	s_delay_alu instid0(VALU_DEP_1) | instskip(NEXT) | instid1(VALU_DEP_3)
	v_dual_add_nc_u32 v9, v13, v9 :: v_dual_cndmask_b32 v13, v18, v14, vcc_lo
	v_mov_b32_e32 v20, v19
	s_delay_alu instid0(VALU_DEP_1) | instskip(NEXT) | instid1(VALU_DEP_1)
	v_mad_nc_u64_u32 v[20:21], 0xfc2757d1, v10, v[20:21]
	v_dual_mov_b32 v22, v21 :: v_dual_cndmask_b32 v17, v20, v16
	s_delay_alu instid0(VALU_DEP_1) | instskip(NEXT) | instid1(VALU_DEP_1)
	v_mad_nc_u64_u32 v[22:23], 0x4e441529, v10, v[22:23]
	v_dual_mov_b32 v24, v23 :: v_dual_cndmask_b32 v15, v22, v18
	s_delay_alu instid0(VALU_DEP_1) | instskip(NEXT) | instid1(VALU_DEP_1)
	v_mad_nc_u64_u32 v[10:11], 0xa2f9836e, v10, v[24:25]
	v_dual_cndmask_b32 v10, v10, v20 :: v_dual_cndmask_b32 v11, v11, v22
	v_cmp_eq_u32_e32 vcc_lo, 0, v9
	s_delay_alu instid0(VALU_DEP_2) | instskip(SKIP_2) | instid1(VALU_DEP_3)
	v_dual_cndmask_b32 v14, v10, v15, s0 :: v_dual_cndmask_b32 v10, v11, v10, s0
	v_cndmask_b32_e64 v11, v15, v17, s0
	v_sub_nc_u32_e32 v15, 32, v9
	v_dual_cndmask_b32 v17, v17, v13, s0 :: v_dual_cndmask_b32 v10, v10, v14, s1
	s_delay_alu instid0(VALU_DEP_3) | instskip(NEXT) | instid1(VALU_DEP_1)
	v_cndmask_b32_e64 v14, v14, v11, s1
	v_alignbit_b32 v18, v10, v14, v15
	s_delay_alu instid0(VALU_DEP_1) | instskip(NEXT) | instid1(VALU_DEP_1)
	v_dual_cndmask_b32 v11, v11, v17, s1 :: v_dual_cndmask_b32 v9, v18, v10, vcc_lo
	v_alignbit_b32 v16, v14, v11, v15
	v_cndmask_b32_e64 v10, v13, v12, s0
	s_delay_alu instid0(VALU_DEP_3) | instskip(NEXT) | instid1(VALU_DEP_3)
	v_bfe_u32 v13, v9, 29, 1
	v_cndmask_b32_e32 v12, v16, v14, vcc_lo
	s_delay_alu instid0(VALU_DEP_2) | instskip(NEXT) | instid1(VALU_DEP_2)
	v_dual_cndmask_b32 v10, v17, v10, s1 :: v_dual_sub_nc_u32 v16, 0, v13
	v_alignbit_b32 v14, v9, v12, 30
	s_delay_alu instid0(VALU_DEP_2) | instskip(NEXT) | instid1(VALU_DEP_1)
	v_alignbit_b32 v15, v11, v10, v15
	v_dual_cndmask_b32 v11, v15, v11, vcc_lo :: v_dual_bitop2_b32 v14, v14, v16 bitop3:0x14
	s_delay_alu instid0(VALU_DEP_1) | instskip(NEXT) | instid1(VALU_DEP_2)
	v_clz_i32_u32_e32 v15, v14
	v_alignbit_b32 v12, v12, v11, 30
	v_alignbit_b32 v10, v11, v10, 30
	s_delay_alu instid0(VALU_DEP_3) | instskip(NEXT) | instid1(VALU_DEP_3)
	v_min_u32_e32 v15, 32, v15
	v_xor_b32_e32 v11, v12, v16
	s_delay_alu instid0(VALU_DEP_3) | instskip(NEXT) | instid1(VALU_DEP_3)
	v_dual_lshrrev_b32 v16, 29, v9 :: v_dual_bitop2_b32 v10, v10, v16 bitop3:0x14
	v_dual_lshrrev_b32 v9, 30, v9 :: v_dual_sub_nc_u32 v12, 31, v15
	v_lshlrev_b32_e32 v17, 23, v15
	s_delay_alu instid0(VALU_DEP_2) | instskip(NEXT) | instid1(VALU_DEP_4)
	v_alignbit_b32 v14, v14, v11, v12
	v_alignbit_b32 v10, v11, v10, v12
	v_lshlrev_b32_e32 v11, 31, v16
	s_delay_alu instid0(VALU_DEP_2) | instskip(NEXT) | instid1(VALU_DEP_2)
	v_alignbit_b32 v12, v14, v10, 9
	v_dual_lshrrev_b32 v14, 9, v14 :: v_dual_bitop2_b32 v16, 0.5, v11 bitop3:0x54
	v_or_b32_e32 v11, 0x33000000, v11
	s_delay_alu instid0(VALU_DEP_3) | instskip(NEXT) | instid1(VALU_DEP_3)
	v_clz_i32_u32_e32 v18, v12
	v_sub_nc_u32_e32 v16, v16, v17
	s_delay_alu instid0(VALU_DEP_2) | instskip(NEXT) | instid1(VALU_DEP_1)
	v_min_u32_e32 v17, 32, v18
	v_add_lshl_u32 v15, v17, v15, 23
	s_delay_alu instid0(VALU_DEP_1) | instskip(SKIP_1) | instid1(VALU_DEP_1)
	v_dual_sub_nc_u32 v11, v11, v15 :: v_dual_bitop2_b32 v14, v14, v16 bitop3:0x54
	v_not_b32_e32 v16, v17
	v_alignbit_b32 v10, v12, v10, v16
	s_delay_alu instid0(VALU_DEP_1) | instskip(NEXT) | instid1(VALU_DEP_4)
	v_lshrrev_b32_e32 v10, 9, v10
	v_mul_f32_e32 v18, 0x3fc90fda, v14
	s_delay_alu instid0(VALU_DEP_2) | instskip(NEXT) | instid1(VALU_DEP_2)
	v_or_b32_e32 v10, v11, v10
	v_fma_f32 v12, 0x3fc90fda, v14, -v18
	s_delay_alu instid0(VALU_DEP_1) | instskip(NEXT) | instid1(VALU_DEP_1)
	v_dual_fmamk_f32 v12, v14, 0x33a22168, v12 :: v_dual_add_nc_u32 v11, v13, v9
	v_fmac_f32_e32 v12, 0x3fc90fda, v10
	s_delay_alu instid0(VALU_DEP_1)
	v_add_f32_e32 v10, v18, v12
                                        ; implicit-def: $vgpr12
	s_and_not1_saveexec_b32 s0, s2
	s_cbranch_execnz .LBB35_17
	s_branch .LBB35_18
.LBB35_16:
	s_and_not1_saveexec_b32 s0, s2
.LBB35_17:
	v_rndne_f32_e32 v9, v12
	s_delay_alu instid0(VALU_DEP_1) | instskip(SKIP_1) | instid1(VALU_DEP_2)
	v_fma_f32 v10, 0xbfc90fda, v9, |v5|
	v_cvt_i32_f32_e32 v11, v9
	v_fmamk_f32 v10, v9, 0xb3a22168, v10
	s_delay_alu instid0(VALU_DEP_1)
	v_fmamk_f32 v10, v9, 0xa7c234c4, v10
.LBB35_18:
	s_or_b32 exec_lo, exec_lo, s0
	v_lshl_add_u64 v[2:3], v[2:3], 2, s[8:9]
	s_delay_alu instid0(VALU_DEP_2)
	v_dual_mul_f32 v9, v7, v7 :: v_dual_mul_f32 v12, v10, v10
	s_mov_b32 s0, 0xb94c1982
	s_mov_b32 s1, 0x37d75334
	global_load_b64 v[2:3], v[2:3], off
	v_xor_b32_e32 v4, v4, v5
	v_fmaak_f32 v15, s0, v12, 0x3c0881c4
	v_lshl_add_u64 v[0:1], v[0:1], 2, s[10:11]
	s_delay_alu instid0(VALU_DEP_2) | instskip(NEXT) | instid1(VALU_DEP_1)
	v_fmaak_f32 v15, v12, v15, 0xbe2aaa9d
	v_dual_fmaak_f32 v14, s1, v9, 0xbab64f3b :: v_dual_mul_f32 v15, v12, v15
	s_delay_alu instid0(VALU_DEP_1) | instskip(NEXT) | instid1(VALU_DEP_1)
	v_dual_fmaak_f32 v13, s0, v9, 0x3c0881c4 :: v_dual_fmac_f32 v10, v10, v15
	v_fmaak_f32 v13, v9, v13, 0xbe2aaa9d
	s_delay_alu instid0(VALU_DEP_1) | instskip(NEXT) | instid1(VALU_DEP_4)
	v_dual_fmaak_f32 v16, s1, v12, 0xbab64f3b :: v_dual_mul_f32 v13, v9, v13
	v_fmaak_f32 v14, v9, v14, 0x3d2aabf7
	s_delay_alu instid0(VALU_DEP_2) | instskip(NEXT) | instid1(VALU_DEP_2)
	v_dual_fmaak_f32 v16, v12, v16, 0x3d2aabf7 :: v_dual_fmac_f32 v7, v7, v13
	v_fmaak_f32 v14, v9, v14, 0xbf000004
	s_delay_alu instid0(VALU_DEP_1) | instskip(SKIP_3) | instid1(VALU_DEP_3)
	v_fma_f32 v9, v9, v14, 1.0
	v_and_b32_e32 v13, 1, v8
	v_dual_lshlrev_b32 v11, 30, v11 :: v_dual_bitop2_b32 v14, 1, v11 bitop3:0x40
	v_lshlrev_b32_e32 v8, 30, v8
	v_cmp_eq_u32_e32 vcc_lo, 0, v13
	v_cndmask_b32_e64 v7, -v7, v9, vcc_lo
	s_delay_alu instid0(VALU_DEP_4) | instskip(SKIP_1) | instid1(VALU_DEP_3)
	v_cmp_eq_u32_e32 vcc_lo, 0, v14
	v_fmaak_f32 v16, v12, v16, 0xbf000004
	v_bitop3_b32 v7, v8, v7, 0x80000000 bitop3:0x6c
	s_delay_alu instid0(VALU_DEP_2) | instskip(NEXT) | instid1(VALU_DEP_1)
	v_fma_f32 v12, v12, v16, 1.0
	v_cndmask_b32_e32 v9, v12, v10, vcc_lo
	v_and_b32_e32 v10, 0x80000000, v11
	v_cmp_class_f32_e64 vcc_lo, v5, 0x1f8
	s_delay_alu instid0(VALU_DEP_2) | instskip(SKIP_1) | instid1(VALU_DEP_2)
	v_xor3_b32 v4, v4, v10, v9
	v_cndmask_b32_e32 v7, 0x7fc00000, v7, vcc_lo
	v_cndmask_b32_e32 v4, 0x7fc00000, v4, vcc_lo
	s_delay_alu instid0(VALU_DEP_1) | instskip(NEXT) | instid1(VALU_DEP_1)
	v_dual_mul_f32 v5, v4, -v6 :: v_dual_mul_f32 v4, v6, v7
	v_dual_mov_b32 v6, v5 :: v_dual_mov_b32 v7, v4
	s_wait_loadcnt 0x0
	v_dual_mul_f32 v8, v4, v3 :: v_dual_mul_f32 v10, v5, v3
	s_delay_alu instid0(VALU_DEP_1) | instskip(SKIP_1) | instid1(VALU_DEP_2)
	v_pk_fma_f32 v[6:7], v[6:7], v[2:3], v[8:9] op_sel_hi:[1,1,0]
	s_wait_xcnt 0x0
	v_pk_fma_f32 v[2:3], v[4:5], v[2:3], v[10:11] op_sel_hi:[1,1,0] neg_lo:[0,0,1] neg_hi:[0,0,1]
	s_delay_alu instid0(VALU_DEP_2)
	v_mov_b32_e32 v3, v6
	global_store_b64 v[0:1], v[2:3], off
.LBB35_19:
	s_endpgm
	.section	.rodata,"a",@progbits
	.p2align	6, 0x0
	.amdhsa_kernel _ZL9rope_normILb0ELb1EffEvPKT1_PT2_iiiiiiiiiiPKifff14rope_corr_dimsfPKfPKli
		.amdhsa_group_segment_fixed_size 0
		.amdhsa_private_segment_fixed_size 0
		.amdhsa_kernarg_size 368
		.amdhsa_user_sgpr_count 2
		.amdhsa_user_sgpr_dispatch_ptr 0
		.amdhsa_user_sgpr_queue_ptr 0
		.amdhsa_user_sgpr_kernarg_segment_ptr 1
		.amdhsa_user_sgpr_dispatch_id 0
		.amdhsa_user_sgpr_kernarg_preload_length 0
		.amdhsa_user_sgpr_kernarg_preload_offset 0
		.amdhsa_user_sgpr_private_segment_size 0
		.amdhsa_wavefront_size32 1
		.amdhsa_uses_dynamic_stack 0
		.amdhsa_enable_private_segment 0
		.amdhsa_system_sgpr_workgroup_id_x 1
		.amdhsa_system_sgpr_workgroup_id_y 1
		.amdhsa_system_sgpr_workgroup_id_z 0
		.amdhsa_system_sgpr_workgroup_info 0
		.amdhsa_system_vgpr_workitem_id 1
		.amdhsa_next_free_vgpr 26
		.amdhsa_next_free_sgpr 16
		.amdhsa_named_barrier_count 0
		.amdhsa_reserve_vcc 1
		.amdhsa_float_round_mode_32 0
		.amdhsa_float_round_mode_16_64 0
		.amdhsa_float_denorm_mode_32 3
		.amdhsa_float_denorm_mode_16_64 3
		.amdhsa_fp16_overflow 0
		.amdhsa_memory_ordered 1
		.amdhsa_forward_progress 1
		.amdhsa_inst_pref_size 38
		.amdhsa_round_robin_scheduling 0
		.amdhsa_exception_fp_ieee_invalid_op 0
		.amdhsa_exception_fp_denorm_src 0
		.amdhsa_exception_fp_ieee_div_zero 0
		.amdhsa_exception_fp_ieee_overflow 0
		.amdhsa_exception_fp_ieee_underflow 0
		.amdhsa_exception_fp_ieee_inexact 0
		.amdhsa_exception_int_div_zero 0
	.end_amdhsa_kernel
	.section	.text._ZL9rope_normILb0ELb1EffEvPKT1_PT2_iiiiiiiiiiPKifff14rope_corr_dimsfPKfPKli,"axG",@progbits,_ZL9rope_normILb0ELb1EffEvPKT1_PT2_iiiiiiiiiiPKifff14rope_corr_dimsfPKfPKli,comdat
.Lfunc_end35:
	.size	_ZL9rope_normILb0ELb1EffEvPKT1_PT2_iiiiiiiiiiPKifff14rope_corr_dimsfPKfPKli, .Lfunc_end35-_ZL9rope_normILb0ELb1EffEvPKT1_PT2_iiiiiiiiiiPKifff14rope_corr_dimsfPKfPKli
                                        ; -- End function
	.set _ZL9rope_normILb0ELb1EffEvPKT1_PT2_iiiiiiiiiiPKifff14rope_corr_dimsfPKfPKli.num_vgpr, 26
	.set _ZL9rope_normILb0ELb1EffEvPKT1_PT2_iiiiiiiiiiPKifff14rope_corr_dimsfPKfPKli.num_agpr, 0
	.set _ZL9rope_normILb0ELb1EffEvPKT1_PT2_iiiiiiiiiiPKifff14rope_corr_dimsfPKfPKli.numbered_sgpr, 16
	.set _ZL9rope_normILb0ELb1EffEvPKT1_PT2_iiiiiiiiiiPKifff14rope_corr_dimsfPKfPKli.num_named_barrier, 0
	.set _ZL9rope_normILb0ELb1EffEvPKT1_PT2_iiiiiiiiiiPKifff14rope_corr_dimsfPKfPKli.private_seg_size, 0
	.set _ZL9rope_normILb0ELb1EffEvPKT1_PT2_iiiiiiiiiiPKifff14rope_corr_dimsfPKfPKli.uses_vcc, 1
	.set _ZL9rope_normILb0ELb1EffEvPKT1_PT2_iiiiiiiiiiPKifff14rope_corr_dimsfPKfPKli.uses_flat_scratch, 0
	.set _ZL9rope_normILb0ELb1EffEvPKT1_PT2_iiiiiiiiiiPKifff14rope_corr_dimsfPKfPKli.has_dyn_sized_stack, 0
	.set _ZL9rope_normILb0ELb1EffEvPKT1_PT2_iiiiiiiiiiPKifff14rope_corr_dimsfPKfPKli.has_recursion, 0
	.set _ZL9rope_normILb0ELb1EffEvPKT1_PT2_iiiiiiiiiiPKifff14rope_corr_dimsfPKfPKli.has_indirect_call, 0
	.section	.AMDGPU.csdata,"",@progbits
; Kernel info:
; codeLenInByte = 4744
; TotalNumSgprs: 18
; NumVgprs: 26
; ScratchSize: 0
; MemoryBound: 0
; FloatMode: 240
; IeeeMode: 1
; LDSByteSize: 0 bytes/workgroup (compile time only)
; SGPRBlocks: 0
; VGPRBlocks: 1
; NumSGPRsForWavesPerEU: 18
; NumVGPRsForWavesPerEU: 26
; NamedBarCnt: 0
; Occupancy: 16
; WaveLimiterHint : 0
; COMPUTE_PGM_RSRC2:SCRATCH_EN: 0
; COMPUTE_PGM_RSRC2:USER_SGPR: 2
; COMPUTE_PGM_RSRC2:TRAP_HANDLER: 0
; COMPUTE_PGM_RSRC2:TGID_X_EN: 1
; COMPUTE_PGM_RSRC2:TGID_Y_EN: 1
; COMPUTE_PGM_RSRC2:TGID_Z_EN: 0
; COMPUTE_PGM_RSRC2:TIDIG_COMP_CNT: 1
	.section	.text._ZL9rope_normILb0ELb0Ef6__halfEvPKT1_PT2_iiiiiiiiiiPKifff14rope_corr_dimsfPKfPKli,"axG",@progbits,_ZL9rope_normILb0ELb0Ef6__halfEvPKT1_PT2_iiiiiiiiiiPKifff14rope_corr_dimsfPKfPKli,comdat
	.globl	_ZL9rope_normILb0ELb0Ef6__halfEvPKT1_PT2_iiiiiiiiiiPKifff14rope_corr_dimsfPKfPKli ; -- Begin function _ZL9rope_normILb0ELb0Ef6__halfEvPKT1_PT2_iiiiiiiiiiPKifff14rope_corr_dimsfPKfPKli
	.p2align	8
	.type	_ZL9rope_normILb0ELb0Ef6__halfEvPKT1_PT2_iiiiiiiiiiPKifff14rope_corr_dimsfPKfPKli,@function
_ZL9rope_normILb0ELb0Ef6__halfEvPKT1_PT2_iiiiiiiiiiPKifff14rope_corr_dimsfPKfPKli: ; @_ZL9rope_normILb0ELb0Ef6__halfEvPKT1_PT2_iiiiiiiiiiPKifff14rope_corr_dimsfPKfPKli
; %bb.0:
	s_clause 0x1
	s_load_u16 s3, s[0:1], 0x7e
	s_load_b256 s[4:11], s[0:1], 0x10
	s_bfe_u32 s2, ttmp6, 0x40010
	s_bfe_u32 s13, ttmp6, 0x40004
	s_add_co_i32 s2, s2, 1
	v_bfe_u32 v1, v0, 10, 10
	s_mul_i32 s12, ttmp7, s2
	s_getreg_b32 s2, hwreg(HW_REG_IB_STS2, 6, 4)
	s_add_co_i32 s13, s13, s12
	s_cmp_eq_u32 s2, 0
	s_cselect_b32 s12, ttmp7, s13
	s_wait_kmcnt 0x0
	s_mul_i32 s12, s12, s3
	s_mov_b32 s3, exec_lo
	v_add_lshl_u32 v6, s12, v1, 1
	s_delay_alu instid0(VALU_DEP_1)
	v_cmpx_gt_i32_e64 s4, v6
	s_cbranch_execz .LBB36_20
; %bb.1:
	s_add_nc_u64 s[12:13], s[0:1], 0x70
	s_bfe_u32 s4, ttmp6, 0x4000c
	s_load_b32 s3, s[12:13], 0xc
	s_add_co_i32 s4, s4, 1
	s_wait_xcnt 0x0
	s_and_b32 s12, ttmp6, 15
	s_mul_i32 s4, ttmp9, s4
	v_and_b32_e32 v0, 0x3ff, v0
	s_add_co_i32 s12, s12, s4
	s_wait_kmcnt 0x0
	s_and_b32 s3, s3, 0xffff
	s_cmp_eq_u32 s2, 0
	s_mul_i32 s2, s6, s5
	s_cselect_b32 s4, ttmp9, s12
	s_abs_i32 s6, s2
	v_mad_u32 v2, s4, s3, v0
	s_cvt_f32_u32 s12, s6
	s_sub_co_i32 s4, 0, s6
	s_delay_alu instid0(SALU_CYCLE_2) | instskip(NEXT) | instid1(VALU_DEP_1)
	v_rcp_iflag_f32_e32 v1, s12
	v_sub_nc_u32_e32 v0, 0, v2
	s_delay_alu instid0(TRANS32_DEP_1) | instskip(NEXT) | instid1(VALU_DEP_2)
	v_readfirstlane_b32 s3, v1
	v_max_i32_e32 v0, v2, v0
	s_mul_f32 s3, s3, 0x4f7ffffe
	s_delay_alu instid0(SALU_CYCLE_3) | instskip(NEXT) | instid1(SALU_CYCLE_3)
	s_cvt_u32_f32 s3, s3
	s_mul_i32 s4, s4, s3
	s_delay_alu instid0(SALU_CYCLE_1) | instskip(NEXT) | instid1(SALU_CYCLE_1)
	s_mul_hi_u32 s4, s3, s4
	s_add_co_i32 s3, s3, s4
	s_load_b32 s4, s[0:1], 0x68
	v_mul_hi_u32 v1, v0, s3
	s_cvt_f32_u32 s3, s5
	s_delay_alu instid0(VALU_DEP_1) | instskip(NEXT) | instid1(VALU_DEP_1)
	v_mul_lo_u32 v3, v1, s6
	v_dual_sub_nc_u32 v0, v0, v3 :: v_dual_add_nc_u32 v3, 1, v1
	s_delay_alu instid0(VALU_DEP_1) | instskip(NEXT) | instid1(VALU_DEP_2)
	v_cmp_le_u32_e32 vcc_lo, s6, v0
	v_dual_cndmask_b32 v1, v1, v3, vcc_lo :: v_dual_bitop2_b32 v3, s2, v2 bitop3:0x14
	v_subrev_nc_u32_e32 v4, s6, v0
	s_delay_alu instid0(VALU_DEP_1) | instskip(NEXT) | instid1(VALU_DEP_1)
	v_dual_cndmask_b32 v0, v0, v4, vcc_lo :: v_dual_add_nc_u32 v4, 1, v1
	v_cmp_le_u32_e32 vcc_lo, s6, v0
	s_delay_alu instid0(VALU_DEP_2) | instskip(SKIP_1) | instid1(VALU_DEP_1)
	v_dual_cndmask_b32 v0, v1, v4 :: v_dual_ashrrev_i32 v3, 31, v3
	v_rcp_iflag_f32_e32 v1, s3
	v_xor_b32_e32 v0, v0, v3
	s_delay_alu instid0(TRANS32_DEP_1) | instskip(NEXT) | instid1(VALU_DEP_2)
	v_readfirstlane_b32 s3, v1
	v_sub_nc_u32_e32 v0, v0, v3
	s_delay_alu instid0(VALU_DEP_1) | instskip(SKIP_2) | instid1(SALU_CYCLE_2)
	v_mul_lo_u32 v1, s2, v0
	s_mul_f32 s2, s3, 0x4f7ffffe
	s_sub_co_i32 s3, 0, s5
	s_cvt_u32_f32 s2, s2
	s_delay_alu instid0(SALU_CYCLE_3) | instskip(NEXT) | instid1(VALU_DEP_1)
	s_mul_i32 s3, s3, s2
	v_sub_nc_u32_e32 v1, v2, v1
	s_mul_hi_u32 s3, s2, s3
	s_delay_alu instid0(SALU_CYCLE_1)
	s_add_co_i32 s2, s2, s3
	s_delay_alu instid0(VALU_DEP_1) | instid1(SALU_CYCLE_1)
	v_mul_hi_u32 v2, v1, s2
	s_load_b64 s[2:3], s[0:1], 0x30
	s_wait_kmcnt 0x0
	s_cmp_eq_u32 s4, 0
	s_delay_alu instid0(VALU_DEP_1) | instskip(NEXT) | instid1(VALU_DEP_1)
	v_mul_lo_u32 v3, v2, s5
	v_sub_nc_u32_e32 v3, v1, v3
	s_delay_alu instid0(VALU_DEP_1) | instskip(SKIP_1) | instid1(VALU_DEP_2)
	v_subrev_nc_u32_e32 v5, s5, v3
	v_cmp_le_u32_e32 vcc_lo, s5, v3
	v_dual_cndmask_b32 v3, v3, v5 :: v_dual_add_nc_u32 v4, 1, v2
	s_delay_alu instid0(VALU_DEP_1) | instskip(NEXT) | instid1(VALU_DEP_2)
	v_cndmask_b32_e32 v2, v2, v4, vcc_lo
	v_cmp_le_u32_e32 vcc_lo, s5, v3
	s_delay_alu instid0(VALU_DEP_2) | instskip(NEXT) | instid1(VALU_DEP_1)
	v_add_nc_u32_e32 v4, 1, v2
	v_cndmask_b32_e32 v2, v2, v4, vcc_lo
	s_cbranch_scc1 .LBB36_3
; %bb.2:
	s_load_b64 s[12:13], s[0:1], 0x60
	v_mov_b32_e32 v3, 0
	s_wait_kmcnt 0x0
	s_delay_alu instid0(VALU_DEP_1)
	v_lshl_add_u64 v[4:5], v[2:3], 3, s[12:13]
	global_load_b32 v3, v[4:5], off
	s_wait_loadcnt 0x0
	v_mul_lo_u32 v7, s4, v3
	s_branch .LBB36_4
.LBB36_3:
	v_mul_lo_u32 v3, v0, s2
	s_delay_alu instid0(VALU_DEP_1)
	v_mad_u32 v7, v2, s11, v3
.LBB36_4:
	v_mad_u32 v0, v0, s9, v6
	v_mul_lo_u32 v3, v2, s5
	s_load_b128 s[12:15], s[0:1], 0x0
	s_mov_b32 s2, exec_lo
                                        ; implicit-def: $vgpr5
	s_delay_alu instid0(VALU_DEP_2) | instskip(NEXT) | instid1(VALU_DEP_2)
	v_mad_u32 v0, v2, s8, v0
	v_sub_nc_u32_e32 v8, v1, v3
	s_delay_alu instid0(VALU_DEP_1) | instskip(NEXT) | instid1(VALU_DEP_1)
	v_mad_u32 v0, v8, s7, v0
	v_ashrrev_i32_e32 v1, 31, v0
	v_cmpx_le_i32_e64 s3, v6
	s_xor_b32 s2, exec_lo, s2
	s_cbranch_execz .LBB36_6
; %bb.5:
	s_wait_kmcnt 0x0
	v_lshl_add_u64 v[0:1], v[0:1], 2, s[12:13]
                                        ; implicit-def: $vgpr2
	global_load_b64 v[4:5], v[0:1], off
                                        ; implicit-def: $vgpr0
.LBB36_6:
	s_wait_xcnt 0x0
	s_and_not1_saveexec_b32 s5, s2
	s_cbranch_execz .LBB36_19
; %bb.7:
	s_load_b64 s[6:7], s[0:1], 0x50
	v_cvt_f32_i32_e32 v3, v6
	s_mov_b32 s4, 0x3e76c4e1
	s_clause 0x1
	s_load_b64 s[2:3], s[0:1], 0x38
	s_load_b128 s[16:19], s[0:1], 0x40
	v_mul_f32_e32 v3, 0.5, v3
	s_wait_kmcnt 0x0
	s_cmp_neq_f32 s7, 1.0
	global_load_b32 v26, v2, s[2:3] scale_offset
	s_cselect_b32 vcc_lo, -1, 0
	s_wait_loadcnt 0x1
	v_cndmask_b32_e32 v4, 1.0, v3, vcc_lo
	s_delay_alu instid0(VALU_DEP_1) | instskip(SKIP_1) | instid1(VALU_DEP_1)
	v_cmp_neq_f32_e32 vcc_lo, 0, v4
	v_cndmask_b32_e64 v3, 1.0, s7, vcc_lo
	v_frexp_mant_f32_e64 v5, |v3|
	v_cmp_lt_f32_e64 s8, |v3|, 1.0
	v_cmp_class_f32_e64 s0, v3, 0x204
	s_delay_alu instid0(VALU_DEP_3) | instskip(SKIP_1) | instid1(VALU_DEP_1)
	v_cmp_gt_f32_e32 vcc_lo, 0x3f2aaaab, v5
	v_cndmask_b32_e64 v9, 1.0, 2.0, vcc_lo
	v_mul_f32_e32 v5, v5, v9
	s_delay_alu instid0(VALU_DEP_1) | instskip(SKIP_1) | instid1(VALU_DEP_2)
	v_add_f32_e32 v9, 1.0, v5
	v_cmp_neq_f32_e64 s7, v4, |v4|
	v_rcp_f32_e32 v16, v9
	v_add_f32_e32 v10, -1.0, v9
	v_add_f32_e32 v11, -1.0, v5
	s_xor_b32 s7, s7, s8
	s_delay_alu instid0(TRANS32_DEP_1) | instid1(VALU_DEP_1)
	v_dual_sub_f32 v5, v5, v10 :: v_dual_mul_f32 v17, v11, v16
	s_delay_alu instid0(VALU_DEP_1) | instskip(NEXT) | instid1(VALU_DEP_1)
	v_mul_f32_e32 v12, v9, v17
	v_fma_f32 v14, v17, v9, -v12
	s_delay_alu instid0(VALU_DEP_1) | instskip(NEXT) | instid1(VALU_DEP_1)
	v_fmac_f32_e32 v14, v17, v5
	v_add_f32_e32 v10, v12, v14
	s_delay_alu instid0(VALU_DEP_1) | instskip(NEXT) | instid1(VALU_DEP_1)
	v_dual_sub_f32 v13, v11, v10 :: v_dual_mov_b32 v15, v10
	v_pk_add_f32 v[10:11], v[10:11], v[12:13] neg_lo:[0,1] neg_hi:[0,1]
	s_delay_alu instid0(VALU_DEP_1) | instskip(SKIP_1) | instid1(VALU_DEP_2)
	v_pk_add_f32 v[10:11], v[10:11], v[14:15] neg_lo:[0,1] neg_hi:[0,1]
	v_cvt_f64_f32_e64 v[14:15], |v3|
	v_add_f32_e32 v5, v10, v11
	s_delay_alu instid0(VALU_DEP_1) | instskip(NEXT) | instid1(VALU_DEP_1)
	v_add_f32_e32 v5, v13, v5
	v_mul_f32_e32 v5, v16, v5
	s_delay_alu instid0(VALU_DEP_1) | instskip(NEXT) | instid1(VALU_DEP_1)
	v_add_f32_e32 v10, v17, v5
	v_dual_sub_f32 v9, v10, v17 :: v_dual_mul_f32 v11, v10, v10
	s_delay_alu instid0(VALU_DEP_1) | instskip(SKIP_1) | instid1(VALU_DEP_2)
	v_dual_sub_f32 v5, v5, v9 :: v_dual_fma_f32 v9, v10, v10, -v11
	v_frexp_exp_i32_f64_e32 v20, v[14:15]
	v_add_f32_e32 v12, v5, v5
	s_delay_alu instid0(VALU_DEP_1) | instskip(NEXT) | instid1(VALU_DEP_1)
	v_fmac_f32_e32 v9, v10, v12
	v_add_f32_e32 v12, v11, v9
	s_delay_alu instid0(VALU_DEP_1) | instskip(NEXT) | instid1(VALU_DEP_1)
	v_sub_f32_e32 v11, v12, v11
	v_sub_f32_e32 v9, v9, v11
	v_fmaak_f32 v13, s4, v12, 0x3e91f4c4
	v_cmp_eq_f32_e64 s4, 0, v3
	s_delay_alu instid0(VALU_DEP_2) | instskip(NEXT) | instid1(VALU_DEP_1)
	v_fmaak_f32 v13, v12, v13, 0x3ecccdef
	v_mul_f32_e32 v16, v12, v13
	s_delay_alu instid0(VALU_DEP_1) | instskip(NEXT) | instid1(VALU_DEP_1)
	v_fma_f32 v11, v12, v13, -v16
	v_fmac_f32_e32 v11, v9, v13
	s_wait_xcnt 0x0
	s_delay_alu instid0(VALU_DEP_1) | instskip(NEXT) | instid1(VALU_DEP_1)
	v_add_f32_e32 v2, v16, v11
	v_sub_f32_e32 v13, v2, v16
	v_add_f32_e32 v17, 0x3f2aaaaa, v2
	s_delay_alu instid0(VALU_DEP_2) | instskip(NEXT) | instid1(VALU_DEP_2)
	v_sub_f32_e32 v11, v11, v13
	v_add_f32_e32 v13, 0xbf2aaaaa, v17
	s_delay_alu instid0(VALU_DEP_2) | instskip(NEXT) | instid1(VALU_DEP_2)
	v_add_f32_e32 v11, 0x31739010, v11
	v_sub_f32_e32 v13, v2, v13
	s_delay_alu instid0(VALU_DEP_1) | instskip(SKIP_1) | instid1(VALU_DEP_2)
	v_pk_mul_f32 v[14:15], v[10:11], v[12:13]
	v_pk_add_f32 v[18:19], v[10:11], v[12:13]
	v_fma_f32 v16, v12, v10, -v14
	s_delay_alu instid0(VALU_DEP_1) | instskip(NEXT) | instid1(VALU_DEP_1)
	v_dual_fmac_f32 v16, v12, v5 :: v_dual_mov_b32 v15, v19
	v_fmac_f32_e32 v16, v9, v10
	v_subrev_co_ci_u32_e64 v9, null, 0, v20, vcc_lo
	s_delay_alu instid0(VALU_DEP_2) | instskip(NEXT) | instid1(VALU_DEP_1)
	v_pk_add_f32 v[12:13], v[14:15], v[16:17]
	v_mov_b32_e32 v2, v13
	v_sub_f32_e32 v11, v17, v13
	s_delay_alu instid0(VALU_DEP_2) | instskip(SKIP_1) | instid1(VALU_DEP_3)
	v_pk_mul_f32 v[20:21], v[12:13], v[2:3]
	v_cvt_f32_i32_e32 v2, v9
	v_dual_sub_f32 v9, v12, v14 :: v_dual_add_f32 v11, v19, v11
	s_delay_alu instid0(VALU_DEP_3) | instskip(NEXT) | instid1(VALU_DEP_2)
	v_fma_f32 v14, v12, v13, -v20
	v_dual_mul_f32 v18, 0x3f317218, v2 :: v_dual_sub_f32 v9, v16, v9
	s_delay_alu instid0(VALU_DEP_2) | instskip(NEXT) | instid1(VALU_DEP_2)
	v_fmac_f32_e32 v14, v12, v11
	v_fma_f32 v11, 0x3f317218, v2, -v18
	s_delay_alu instid0(VALU_DEP_2) | instskip(NEXT) | instid1(VALU_DEP_2)
	v_fmac_f32_e32 v14, v9, v13
	v_fmamk_f32 v12, v2, 0xb102e308, v11
	v_ldexp_f32 v13, v10, 1
	v_ldexp_f32 v2, v5, 1
	s_delay_alu instid0(VALU_DEP_2) | instskip(NEXT) | instid1(VALU_DEP_1)
	v_dual_add_f32 v19, v20, v14 :: v_dual_mov_b32 v21, v13
	v_pk_add_f32 v[10:11], v[18:19], v[12:13]
	v_dual_mov_b32 v16, v19 :: v_dual_mov_b32 v15, v19
	s_delay_alu instid0(VALU_DEP_2) | instskip(SKIP_1) | instid1(VALU_DEP_2)
	v_dual_mov_b32 v17, v11 :: v_dual_mov_b32 v13, v10
	v_mov_b32_e32 v24, v11
	v_pk_add_f32 v[16:17], v[16:17], v[20:21] neg_lo:[0,1] neg_hi:[0,1]
	s_delay_alu instid0(VALU_DEP_1) | instskip(NEXT) | instid1(VALU_DEP_1)
	v_pk_add_f32 v[14:15], v[14:15], v[16:17] neg_lo:[0,1] neg_hi:[0,1]
	v_add_f32_e32 v2, v2, v14
	s_delay_alu instid0(VALU_DEP_1) | instskip(NEXT) | instid1(VALU_DEP_1)
	v_add_f32_e32 v19, v2, v15
	v_pk_add_f32 v[14:15], v[10:11], v[18:19]
	v_pk_add_f32 v[16:17], v[10:11], v[18:19] neg_lo:[0,1] neg_hi:[0,1]
	s_delay_alu instid0(VALU_DEP_2) | instskip(NEXT) | instid1(VALU_DEP_1)
	v_mov_b32_e32 v17, v15
	v_pk_add_f32 v[20:21], v[12:13], v[16:17]
	v_pk_add_f32 v[12:13], v[12:13], v[16:17] neg_lo:[0,1] neg_hi:[0,1]
	s_delay_alu instid0(VALU_DEP_2) | instskip(NEXT) | instid1(VALU_DEP_1)
	v_dual_mov_b32 v2, v21 :: v_dual_mov_b32 v13, v21
	v_pk_add_f32 v[22:23], v[2:3], v[10:11] neg_lo:[0,1] neg_hi:[0,1]
	v_dual_mov_b32 v20, v15 :: v_dual_mov_b32 v11, v10
	s_delay_alu instid0(VALU_DEP_2) | instskip(SKIP_1) | instid1(VALU_DEP_2)
	v_dual_mov_b32 v10, v19 :: v_dual_mov_b32 v25, v22
	v_mov_b32_e32 v5, v22
	v_pk_add_f32 v[16:17], v[20:21], v[24:25] neg_lo:[0,1] neg_hi:[0,1]
	s_delay_alu instid0(VALU_DEP_2) | instskip(SKIP_1) | instid1(VALU_DEP_3)
	v_pk_add_f32 v[14:15], v[14:15], v[4:5] neg_lo:[0,1] neg_hi:[0,1]
	v_mov_b32_e32 v14, v12
	v_pk_add_f32 v[10:11], v[10:11], v[16:17] neg_lo:[0,1] neg_hi:[0,1]
	s_delay_alu instid0(VALU_DEP_1) | instskip(NEXT) | instid1(VALU_DEP_1)
	v_pk_add_f32 v[14:15], v[14:15], v[10:11]
	v_mov_b32_e32 v16, v15
	s_delay_alu instid0(VALU_DEP_1) | instskip(NEXT) | instid1(VALU_DEP_1)
	v_pk_add_f32 v[16:17], v[14:15], v[16:17]
	v_pk_add_f32 v[18:19], v[2:3], v[16:17]
	s_delay_alu instid0(VALU_DEP_1) | instskip(NEXT) | instid1(VALU_DEP_1)
	v_dual_mov_b32 v11, v16 :: v_dual_mov_b32 v15, v18
	v_pk_add_f32 v[20:21], v[14:15], v[12:13] neg_lo:[0,1] neg_hi:[0,1]
	s_delay_alu instid0(VALU_DEP_1) | instskip(NEXT) | instid1(VALU_DEP_2)
	v_sub_f32_e32 v2, v14, v20
	v_pk_add_f32 v[10:11], v[10:11], v[20:21] neg_lo:[0,1] neg_hi:[0,1]
	s_delay_alu instid0(VALU_DEP_2) | instskip(NEXT) | instid1(VALU_DEP_1)
	v_sub_f32_e32 v2, v12, v2
	v_add_f32_e32 v2, v10, v2
	s_delay_alu instid0(VALU_DEP_1) | instskip(NEXT) | instid1(VALU_DEP_1)
	v_add_f32_e32 v2, v2, v11
	v_add_f32_e32 v5, v18, v2
	s_delay_alu instid0(VALU_DEP_1) | instskip(NEXT) | instid1(VALU_DEP_1)
	v_dual_sub_f32 v9, v5, v18 :: v_dual_mul_f32 v10, v4, v5
	v_fma_f32 v5, v4, v5, -v10
	s_delay_alu instid0(VALU_DEP_2) | instskip(SKIP_1) | instid1(VALU_DEP_2)
	v_sub_f32_e32 v2, v2, v9
	v_cmp_class_f32_e64 vcc_lo, v10, 0x204
	v_fmac_f32_e32 v5, v4, v2
	s_delay_alu instid0(VALU_DEP_1) | instskip(NEXT) | instid1(VALU_DEP_1)
	v_add_f32_e32 v2, v10, v5
	v_cndmask_b32_e32 v9, v2, v10, vcc_lo
	s_delay_alu instid0(VALU_DEP_1) | instskip(SKIP_1) | instid1(VALU_DEP_1)
	v_cmp_eq_f32_e32 vcc_lo, 0x42b17218, v9
	v_cndmask_b32_e64 v11, 0, 0x37000000, vcc_lo
	v_sub_f32_e32 v12, v9, v11
	s_delay_alu instid0(VALU_DEP_1) | instskip(NEXT) | instid1(VALU_DEP_1)
	v_mul_f32_e32 v13, 0x3fb8aa3b, v12
	v_fma_f32 v14, 0x3fb8aa3b, v12, -v13
	v_rndne_f32_e32 v15, v13
	s_delay_alu instid0(VALU_DEP_1) | instskip(NEXT) | instid1(VALU_DEP_1)
	v_dual_fmamk_f32 v14, v12, 0x32a5705f, v14 :: v_dual_sub_f32 v13, v13, v15
	v_add_f32_e32 v13, v13, v14
	v_sub_f32_e32 v2, v2, v10
	v_cmp_neq_f32_e64 vcc_lo, 0x7f800000, |v9|
	v_trunc_f32_e32 v9, v4
	s_delay_alu instid0(VALU_DEP_4)
	v_exp_f32_e32 v10, v13
	v_nop
	v_cvt_i32_f32_e32 v13, v15
	v_sub_f32_e32 v2, v5, v2
	s_delay_alu instid0(TRANS32_DEP_1) | instid1(VALU_DEP_2)
	v_ldexp_f32 v5, v10, v13
	s_delay_alu instid0(VALU_DEP_2) | instskip(SKIP_1) | instid1(VALU_DEP_2)
	v_dual_mul_f32 v10, 0.5, v4 :: v_dual_cndmask_b32 v2, 0, v2, vcc_lo
	v_cmp_ngt_f32_e32 vcc_lo, 0xc2ce8ed0, v12
	v_trunc_f32_e32 v13, v10
	s_delay_alu instid0(VALU_DEP_4) | instskip(SKIP_2) | instid1(VALU_DEP_4)
	v_cndmask_b32_e32 v5, 0, v5, vcc_lo
	v_cmp_nlt_f32_e32 vcc_lo, 0x42b17218, v12
	v_add_f32_e32 v2, v11, v2
	v_cmp_neq_f32_e64 s2, v13, v10
	s_delay_alu instid0(VALU_DEP_4) | instskip(SKIP_1) | instid1(VALU_DEP_2)
	v_cndmask_b32_e32 v5, 0x7f800000, v5, vcc_lo
	v_cmp_eq_f32_e32 vcc_lo, v9, v4
	v_cmp_class_f32_e64 s3, v5, 0x204
	s_and_b32 s2, vcc_lo, s2
	s_delay_alu instid0(SALU_CYCLE_1) | instskip(NEXT) | instid1(VALU_DEP_1)
	v_dual_fma_f32 v2, v5, v2, v5 :: v_dual_cndmask_b32 v9, 1.0, v3, s2
	v_cndmask_b32_e64 v2, v2, v5, s3
	v_cndmask_b32_e64 v5, 0x7f800000, 0, s7
	v_cmp_gt_f32_e64 s3, 0, v4
	s_delay_alu instid0(VALU_DEP_3) | instskip(SKIP_1) | instid1(SALU_CYCLE_1)
	v_bfi_b32 v2, 0x7fffffff, v2, v9
	s_xor_b32 s3, s3, s4
	v_cndmask_b32_e64 v9, 0x7f800000, 0, s3
	s_delay_alu instid0(VALU_DEP_2) | instskip(SKIP_3) | instid1(VALU_DEP_3)
	v_cndmask_b32_e32 v10, 0x7fc00000, v2, vcc_lo
	v_cmp_neq_f32_e64 vcc_lo, |v3|, 1.0
	v_cndmask_b32_e32 v5, 1.0, v5, vcc_lo
	v_cmp_gt_f32_e32 vcc_lo, 0, v3
	v_dual_cndmask_b32 v11, 0, v3, s2 :: v_dual_cndmask_b32 v2, v2, v10, vcc_lo
	v_cmp_class_f32_e64 vcc_lo, v4, 0x204
	s_delay_alu instid0(VALU_DEP_2)
	v_bfi_b32 v9, 0x7fffffff, v9, v11
	s_wait_loadcnt 0x0
	v_cvt_f32_i32_e32 v4, v26
	v_cndmask_b32_e32 v2, v2, v5, vcc_lo
	s_or_b32 vcc_lo, s4, s0
	s_cmp_eq_f32 s17, 0
	s_delay_alu instid0(VALU_DEP_1) | instskip(SKIP_1) | instid1(VALU_DEP_2)
	v_cndmask_b32_e32 v2, v2, v9, vcc_lo
	v_cmp_o_f32_e32 vcc_lo, v3, v3
	v_cndmask_b32_e32 v2, 0x7fc00000, v2, vcc_lo
	s_delay_alu instid0(VALU_DEP_1) | instskip(NEXT) | instid1(VALU_DEP_1)
	v_mul_f32_e32 v2, v2, v4
	v_mul_f32_e32 v3, s16, v2
	s_cbranch_scc1 .LBB36_9
; %bb.8:
	v_div_scale_f32 v9, null, s16, s16, 1.0
	s_sub_f32 s0, s6, s19
	v_rcp_f32_e32 v11, v9
	v_nop
	v_xor_b32_e32 v9, 0x80000000, v9
	s_max_num_f32 s1, s0, 0x3a83126f
	s_delay_alu instid0(TRANS32_DEP_1) | instid1(VALU_DEP_1)
	v_fma_f32 v13, v9, v11, 1.0
	s_delay_alu instid0(VALU_DEP_1) | instskip(NEXT) | instid1(VALU_DEP_1)
	v_dual_fmac_f32 v11, v13, v11 :: v_dual_ashrrev_i32 v4, 1, v6
	v_cvt_f32_i32_e32 v4, v4
	s_delay_alu instid0(VALU_DEP_1) | instskip(NEXT) | instid1(VALU_DEP_1)
	v_subrev_f32_e32 v4, s19, v4
	v_div_scale_f32 v5, null, s1, s1, v4
	s_delay_alu instid0(VALU_DEP_1) | instskip(SKIP_1) | instid1(TRANS32_DEP_1)
	v_rcp_f32_e32 v10, v5
	v_nop
	v_fma_f32 v12, -v5, v10, 1.0
	s_delay_alu instid0(VALU_DEP_1) | instskip(SKIP_2) | instid1(VALU_DEP_1)
	v_fmac_f32_e32 v10, v12, v10
	v_div_scale_f32 v14, vcc_lo, v4, s1, v4
	v_div_scale_f32 v12, s0, 1.0, s16, 1.0
	v_dual_mul_f32 v13, v14, v10 :: v_dual_mul_f32 v15, v12, v11
	s_delay_alu instid0(VALU_DEP_1) | instskip(NEXT) | instid1(VALU_DEP_1)
	v_fma_f32 v16, -v5, v13, v14
	v_dual_fma_f32 v17, v9, v15, v12 :: v_dual_fmac_f32 v13, v16, v10
	s_delay_alu instid0(VALU_DEP_1) | instskip(NEXT) | instid1(VALU_DEP_2)
	v_fmac_f32_e32 v15, v17, v11
	v_fma_f32 v5, -v5, v13, v14
	s_delay_alu instid0(VALU_DEP_1) | instskip(SKIP_1) | instid1(VALU_DEP_1)
	v_div_fmas_f32 v5, v5, v10, v13
	s_mov_b32 vcc_lo, s0
	v_div_fixup_f32 v4, v5, s1, v4 clamp
	v_fmac_f32_e32 v12, v9, v15
	s_delay_alu instid0(VALU_DEP_1) | instskip(NEXT) | instid1(VALU_DEP_3)
	v_div_fmas_f32 v9, v12, v11, v15
	v_sub_f32_e32 v11, 1.0, v4
	s_delay_alu instid0(VALU_DEP_2) | instskip(NEXT) | instid1(VALU_DEP_2)
	v_div_fixup_f32 v9, v9, s16, 1.0
	v_mul_f32_e32 v4, s17, v11
	s_delay_alu instid0(VALU_DEP_2) | instskip(SKIP_2) | instid1(SALU_CYCLE_1)
	v_readfirstlane_b32 s0, v9
	s_cmp_lt_f32 s0, 0x800000
	s_cselect_b32 s0, 0x4f800000, 1.0
	v_mul_f32_e32 v9, s0, v9
	s_cselect_b32 s0, 0x41b17218, 0
	s_delay_alu instid0(VALU_DEP_1) | instskip(SKIP_1) | instid1(TRANS32_DEP_1)
	v_log_f32_e32 v9, v9
	v_nop
	v_mul_f32_e32 v10, 0x3f317217, v9
	v_and_b32_e32 v5, 0x7fffffff, v9
	s_delay_alu instid0(VALU_DEP_2) | instskip(NEXT) | instid1(VALU_DEP_2)
	v_xor_b32_e32 v10, 0x80000000, v10
	v_cmp_gt_f32_e32 vcc_lo, 0x7f800000, v5
	v_fma_f32 v5, -s17, v11, 1.0
	s_delay_alu instid0(VALU_DEP_1) | instskip(NEXT) | instid1(VALU_DEP_1)
	v_pk_mul_f32 v[2:3], v[4:5], v[2:3]
	v_dual_fmac_f32 v10, 0x3f317217, v9 :: v_dual_add_f32 v3, v2, v3
	s_delay_alu instid0(VALU_DEP_1) | instskip(NEXT) | instid1(VALU_DEP_1)
	v_fmamk_f32 v10, v9, 0x3377d1cf, v10
	v_fmac_f32_e32 v10, 0x3f317217, v9
	s_delay_alu instid0(VALU_DEP_1) | instskip(NEXT) | instid1(VALU_DEP_1)
	v_dual_cndmask_b32 v9, v9, v10 :: v_dual_mov_b32 v10, 1.0
	v_subrev_f32_e32 v9, s0, v9
	s_delay_alu instid0(VALU_DEP_1) | instskip(NEXT) | instid1(VALU_DEP_1)
	v_fmamk_f32 v4, v9, 0x3dcccccd, v10
	v_mul_f32_e32 v4, s18, v4
	s_branch .LBB36_10
.LBB36_9:
	v_mov_b32_e32 v4, s18
.LBB36_10:
	s_delay_alu instid0(VALU_DEP_2) | instskip(SKIP_1) | instid1(VALU_DEP_2)
	v_and_b32_e32 v2, 0x7fffffff, v3
	v_cmp_ngt_f32_e64 s2, 0x48000000, |v3|
                                        ; implicit-def: $vgpr9
                                        ; implicit-def: $vgpr5
	v_lshrrev_b32_e32 v10, 23, v2
	s_and_saveexec_b32 s0, s2
	s_delay_alu instid0(SALU_CYCLE_1)
	s_xor_b32 s3, exec_lo, s0
	s_cbranch_execz .LBB36_12
; %bb.11:
	s_mov_b32 s0, 0x7fffff
	v_mov_b32_e32 v13, 0
	v_and_or_b32 v12, v2, s0, 0x800000
	s_mov_b64 s[0:1], 0xfe5163ab
	v_add_nc_u32_e32 v5, 0xffffff88, v10
	s_delay_alu instid0(VALU_DEP_2) | instskip(NEXT) | instid1(VALU_DEP_2)
	v_mul_u64_e32 v[14:15], s[0:1], v[12:13]
	v_cmp_lt_u32_e32 vcc_lo, 63, v5
	v_cndmask_b32_e64 v9, 0, 0xffffffc0, vcc_lo
	s_delay_alu instid0(VALU_DEP_3) | instskip(SKIP_2) | instid1(VALU_DEP_3)
	v_dual_mov_b32 v16, v15 :: v_dual_mov_b32 v17, v13
	v_dual_mov_b32 v19, v13 :: v_dual_mov_b32 v21, v13
	;; [unrolled: 1-line block ×3, first 2 shown]
	v_mad_nc_u64_u32 v[16:17], 0x3c439041, v12, v[16:17]
	s_delay_alu instid0(VALU_DEP_1) | instskip(NEXT) | instid1(VALU_DEP_1)
	v_mov_b32_e32 v18, v17
	v_mad_nc_u64_u32 v[18:19], 0xdb629599, v12, v[18:19]
	s_delay_alu instid0(VALU_DEP_1) | instskip(NEXT) | instid1(VALU_DEP_1)
	v_dual_mov_b32 v20, v19 :: v_dual_cndmask_b32 v14, v18, v14, vcc_lo
	v_mad_nc_u64_u32 v[20:21], 0xf534ddc0, v12, v[20:21]
	s_delay_alu instid0(VALU_DEP_1) | instskip(NEXT) | instid1(VALU_DEP_1)
	v_mov_b32_e32 v22, v21
	v_mad_nc_u64_u32 v[22:23], 0xfc2757d1, v12, v[22:23]
	s_delay_alu instid0(VALU_DEP_1) | instskip(NEXT) | instid1(VALU_DEP_1)
	v_dual_mov_b32 v24, v23 :: v_dual_cndmask_b32 v15, v22, v18
	v_mad_nc_u64_u32 v[24:25], 0x4e441529, v12, v[24:25]
	v_add_nc_u32_e32 v5, v9, v5
	s_delay_alu instid0(VALU_DEP_2) | instskip(NEXT) | instid1(VALU_DEP_3)
	v_dual_mov_b32 v27, v13 :: v_dual_mov_b32 v26, v25
	v_cndmask_b32_e32 v11, v24, v20, vcc_lo
	s_delay_alu instid0(VALU_DEP_3) | instskip(NEXT) | instid1(VALU_DEP_3)
	v_cmp_lt_u32_e64 s0, 31, v5
	v_mad_nc_u64_u32 v[12:13], 0xa2f9836e, v12, v[26:27]
	s_delay_alu instid0(VALU_DEP_2) | instskip(NEXT) | instid1(VALU_DEP_1)
	v_cndmask_b32_e64 v9, 0, 0xffffffe0, s0
	v_dual_cndmask_b32 v12, v12, v22 :: v_dual_add_nc_u32 v5, v9, v5
	s_delay_alu instid0(VALU_DEP_1) | instskip(NEXT) | instid1(VALU_DEP_4)
	v_cmp_lt_u32_e64 s1, 31, v5
	v_cndmask_b32_e32 v13, v13, v24, vcc_lo
	s_delay_alu instid0(VALU_DEP_2) | instskip(NEXT) | instid1(VALU_DEP_1)
	v_cndmask_b32_e64 v9, 0, 0xffffffe0, s1
	v_dual_add_nc_u32 v5, v9, v5 :: v_dual_cndmask_b32 v9, v20, v16, vcc_lo
	s_delay_alu instid0(VALU_DEP_3) | instskip(NEXT) | instid1(VALU_DEP_2)
	v_dual_cndmask_b32 v16, v12, v11, s0 :: v_dual_cndmask_b32 v12, v13, v12, s0
	v_dual_cndmask_b32 v11, v11, v15, s0 :: v_dual_sub_nc_u32 v13, 32, v5
	s_delay_alu instid0(VALU_DEP_3) | instskip(SKIP_1) | instid1(VALU_DEP_4)
	v_cndmask_b32_e64 v15, v15, v9, s0
	v_cmp_eq_u32_e32 vcc_lo, 0, v5
	v_cndmask_b32_e64 v12, v12, v16, s1
	s_delay_alu instid0(VALU_DEP_4) | instskip(NEXT) | instid1(VALU_DEP_1)
	v_cndmask_b32_e64 v16, v16, v11, s1
	v_alignbit_b32 v17, v12, v16, v13
	s_delay_alu instid0(VALU_DEP_1) | instskip(NEXT) | instid1(VALU_DEP_1)
	v_dual_cndmask_b32 v11, v11, v15, s1 :: v_dual_cndmask_b32 v5, v17, v12, vcc_lo
	v_alignbit_b32 v18, v16, v11, v13
	v_cndmask_b32_e64 v9, v9, v14, s0
	s_delay_alu instid0(VALU_DEP_3) | instskip(NEXT) | instid1(VALU_DEP_2)
	v_bfe_u32 v14, v5, 29, 1
	v_dual_cndmask_b32 v12, v18, v16, vcc_lo :: v_dual_cndmask_b32 v9, v15, v9, s1
	s_delay_alu instid0(VALU_DEP_2) | instskip(NEXT) | instid1(VALU_DEP_2)
	v_sub_nc_u32_e32 v16, 0, v14
	v_alignbit_b32 v15, v5, v12, 30
	s_delay_alu instid0(VALU_DEP_3) | instskip(NEXT) | instid1(VALU_DEP_1)
	v_alignbit_b32 v13, v11, v9, v13
	v_dual_cndmask_b32 v11, v13, v11, vcc_lo :: v_dual_bitop2_b32 v15, v15, v16 bitop3:0x14
	s_delay_alu instid0(VALU_DEP_1) | instskip(NEXT) | instid1(VALU_DEP_2)
	v_clz_i32_u32_e32 v13, v15
	v_alignbit_b32 v12, v12, v11, 30
	v_alignbit_b32 v9, v11, v9, 30
	s_delay_alu instid0(VALU_DEP_3) | instskip(NEXT) | instid1(VALU_DEP_3)
	v_min_u32_e32 v13, 32, v13
	v_xor_b32_e32 v11, v12, v16
	s_delay_alu instid0(VALU_DEP_3) | instskip(NEXT) | instid1(VALU_DEP_3)
	v_dual_lshrrev_b32 v16, 29, v5 :: v_dual_bitop2_b32 v9, v9, v16 bitop3:0x14
	v_dual_sub_nc_u32 v12, 31, v13 :: v_dual_lshlrev_b32 v17, 23, v13
	s_delay_alu instid0(VALU_DEP_1) | instskip(NEXT) | instid1(VALU_DEP_3)
	v_alignbit_b32 v15, v15, v11, v12
	v_alignbit_b32 v9, v11, v9, v12
	s_delay_alu instid0(VALU_DEP_4) | instskip(NEXT) | instid1(VALU_DEP_2)
	v_lshlrev_b32_e32 v11, 31, v16
	v_alignbit_b32 v12, v15, v9, 9
	s_delay_alu instid0(VALU_DEP_2) | instskip(SKIP_2) | instid1(VALU_DEP_4)
	v_or_b32_e32 v16, 0.5, v11
	v_lshrrev_b32_e32 v15, 9, v15
	v_or_b32_e32 v11, 0x33000000, v11
	v_clz_i32_u32_e32 v18, v12
	s_delay_alu instid0(VALU_DEP_4) | instskip(NEXT) | instid1(VALU_DEP_2)
	v_sub_nc_u32_e32 v16, v16, v17
	v_min_u32_e32 v17, 32, v18
	s_delay_alu instid0(VALU_DEP_2) | instskip(NEXT) | instid1(VALU_DEP_2)
	v_or_b32_e32 v15, v15, v16
	v_not_b32_e32 v16, v17
	v_add_lshl_u32 v13, v17, v13, 23
	s_delay_alu instid0(VALU_DEP_2) | instskip(NEXT) | instid1(VALU_DEP_2)
	v_alignbit_b32 v9, v12, v9, v16
	v_sub_nc_u32_e32 v11, v11, v13
	s_delay_alu instid0(VALU_DEP_2) | instskip(NEXT) | instid1(VALU_DEP_1)
	v_dual_mul_f32 v18, 0x3fc90fda, v15 :: v_dual_lshrrev_b32 v9, 9, v9
	v_or_b32_e32 v9, v11, v9
	s_delay_alu instid0(VALU_DEP_2) | instskip(NEXT) | instid1(VALU_DEP_1)
	v_fma_f32 v12, 0x3fc90fda, v15, -v18
	v_fmamk_f32 v12, v15, 0x33a22168, v12
	s_delay_alu instid0(VALU_DEP_1) | instskip(NEXT) | instid1(VALU_DEP_1)
	v_fmac_f32_e32 v12, 0x3fc90fda, v9
	v_dual_lshrrev_b32 v9, 30, v5 :: v_dual_add_f32 v5, v18, v12
	s_delay_alu instid0(VALU_DEP_1)
	v_add_nc_u32_e32 v9, v14, v9
	s_or_saveexec_b32 s0, s3
	v_mul_f32_e64 v13, 0x3f22f983, |v3|
	s_xor_b32 exec_lo, exec_lo, s0
	s_branch .LBB36_13
.LBB36_12:
	s_or_saveexec_b32 s0, s3
	v_mul_f32_e64 v13, 0x3f22f983, |v3|
	s_xor_b32 exec_lo, exec_lo, s0
.LBB36_13:
	s_delay_alu instid0(VALU_DEP_1) | instskip(NEXT) | instid1(VALU_DEP_1)
	v_rndne_f32_e32 v9, v13
	v_fma_f32 v5, 0xbfc90fda, v9, |v3|
	s_delay_alu instid0(VALU_DEP_1) | instskip(NEXT) | instid1(VALU_DEP_1)
	v_fmamk_f32 v5, v9, 0xb3a22168, v5
	v_fmamk_f32 v5, v9, 0xa7c234c4, v5
	v_cvt_i32_f32_e32 v9, v9
; %bb.14:
	s_or_b32 exec_lo, exec_lo, s0
                                        ; implicit-def: $vgpr12
                                        ; implicit-def: $vgpr11
	s_and_saveexec_b32 s0, s2
	s_delay_alu instid0(SALU_CYCLE_1)
	s_xor_b32 s2, exec_lo, s0
	s_cbranch_execz .LBB36_16
; %bb.15:
	s_mov_b32 s0, 0x7fffff
	v_mov_b32_e32 v13, 0
	v_and_or_b32 v12, v2, s0, 0x800000
	s_mov_b64 s[0:1], 0xfe5163ab
	s_delay_alu instid0(VALU_DEP_1) | instid1(SALU_CYCLE_1)
	v_mul_u64_e32 v[14:15], s[0:1], v[12:13]
	s_delay_alu instid0(VALU_DEP_1) | instskip(SKIP_2) | instid1(VALU_DEP_3)
	v_dual_mov_b32 v16, v15 :: v_dual_mov_b32 v17, v13
	v_dual_mov_b32 v19, v13 :: v_dual_mov_b32 v21, v13
	;; [unrolled: 1-line block ×3, first 2 shown]
	v_mad_nc_u64_u32 v[16:17], 0x3c439041, v12, v[16:17]
	v_add_nc_u32_e32 v15, 0xffffff88, v10
	s_delay_alu instid0(VALU_DEP_1) | instskip(NEXT) | instid1(VALU_DEP_3)
	v_cmp_lt_u32_e32 vcc_lo, 63, v15
	v_mov_b32_e32 v18, v17
	v_cndmask_b32_e64 v17, 0, 0xffffffc0, vcc_lo
	s_delay_alu instid0(VALU_DEP_2) | instskip(NEXT) | instid1(VALU_DEP_1)
	v_mad_nc_u64_u32 v[18:19], 0xdb629599, v12, v[18:19]
	v_dual_mov_b32 v20, v19 :: v_dual_cndmask_b32 v14, v18, v14, vcc_lo
	s_delay_alu instid0(VALU_DEP_1) | instskip(NEXT) | instid1(VALU_DEP_1)
	v_mad_nc_u64_u32 v[20:21], 0xf534ddc0, v12, v[20:21]
	v_mov_b32_e32 v22, v21
	s_delay_alu instid0(VALU_DEP_1) | instskip(NEXT) | instid1(VALU_DEP_1)
	v_mad_nc_u64_u32 v[22:23], 0xfc2757d1, v12, v[22:23]
	v_mov_b32_e32 v24, v23
	s_delay_alu instid0(VALU_DEP_1) | instskip(NEXT) | instid1(VALU_DEP_1)
	v_mad_nc_u64_u32 v[10:11], 0x4e441529, v12, v[24:25]
	v_dual_mov_b32 v24, v11 :: v_dual_add_nc_u32 v15, v17, v15
	s_delay_alu instid0(VALU_DEP_1) | instskip(NEXT) | instid1(VALU_DEP_3)
	v_cmp_lt_u32_e64 s0, 31, v15
	v_cndmask_b32_e32 v17, v10, v20, vcc_lo
	s_delay_alu instid0(VALU_DEP_3) | instskip(NEXT) | instid1(VALU_DEP_3)
	v_mad_nc_u64_u32 v[12:13], 0xa2f9836e, v12, v[24:25]
	v_cndmask_b32_e64 v11, 0, 0xffffffe0, s0
	s_delay_alu instid0(VALU_DEP_1) | instskip(NEXT) | instid1(VALU_DEP_1)
	v_add_nc_u32_e32 v11, v11, v15
	v_cmp_lt_u32_e64 s1, 31, v11
	s_delay_alu instid0(VALU_DEP_4) | instskip(NEXT) | instid1(VALU_DEP_2)
	v_cndmask_b32_e32 v10, v13, v10, vcc_lo
	v_cndmask_b32_e64 v15, 0, 0xffffffe0, s1
	s_delay_alu instid0(VALU_DEP_1) | instskip(SKIP_1) | instid1(VALU_DEP_2)
	v_dual_cndmask_b32 v12, v12, v22 :: v_dual_add_nc_u32 v11, v15, v11
	v_dual_cndmask_b32 v13, v22, v18, vcc_lo :: v_dual_cndmask_b32 v15, v20, v16, vcc_lo
	v_dual_cndmask_b32 v16, v12, v17, s0 :: v_dual_cndmask_b32 v10, v10, v12, s0
	s_delay_alu instid0(VALU_DEP_3) | instskip(NEXT) | instid1(VALU_DEP_3)
	v_cmp_eq_u32_e32 vcc_lo, 0, v11
	v_dual_cndmask_b32 v12, v17, v13, s0 :: v_dual_sub_nc_u32 v17, 32, v11
	s_delay_alu instid0(VALU_DEP_3) | instskip(NEXT) | instid1(VALU_DEP_2)
	v_dual_cndmask_b32 v13, v13, v15, s0 :: v_dual_cndmask_b32 v10, v10, v16, s1
	v_dual_cndmask_b32 v11, v15, v14, s0 :: v_dual_cndmask_b32 v16, v16, v12, s1
	s_delay_alu instid0(VALU_DEP_2) | instskip(NEXT) | instid1(VALU_DEP_2)
	v_cndmask_b32_e64 v12, v12, v13, s1
	v_alignbit_b32 v19, v10, v16, v17
	s_delay_alu instid0(VALU_DEP_2) | instskip(NEXT) | instid1(VALU_DEP_1)
	v_alignbit_b32 v18, v16, v12, v17
	v_dual_cndmask_b32 v10, v19, v10, vcc_lo :: v_dual_cndmask_b32 v14, v18, v16, vcc_lo
	s_delay_alu instid0(VALU_DEP_1) | instskip(NEXT) | instid1(VALU_DEP_1)
	v_bfe_u32 v15, v10, 29, 1
	v_sub_nc_u32_e32 v16, 0, v15
	v_cndmask_b32_e64 v11, v13, v11, s1
	s_delay_alu instid0(VALU_DEP_4) | instskip(NEXT) | instid1(VALU_DEP_1)
	v_alignbit_b32 v13, v10, v14, 30
	v_xor_b32_e32 v13, v13, v16
	s_delay_alu instid0(VALU_DEP_3) | instskip(NEXT) | instid1(VALU_DEP_1)
	v_alignbit_b32 v17, v12, v11, v17
	v_cndmask_b32_e32 v12, v17, v12, vcc_lo
	s_delay_alu instid0(VALU_DEP_3) | instskip(NEXT) | instid1(VALU_DEP_2)
	v_clz_i32_u32_e32 v17, v13
	v_alignbit_b32 v14, v14, v12, 30
	s_delay_alu instid0(VALU_DEP_2) | instskip(SKIP_1) | instid1(VALU_DEP_2)
	v_min_u32_e32 v17, 32, v17
	v_alignbit_b32 v11, v12, v11, 30
	v_dual_sub_nc_u32 v14, 31, v17 :: v_dual_bitop2_b32 v12, v14, v16 bitop3:0x14
	s_delay_alu instid0(VALU_DEP_2) | instskip(SKIP_1) | instid1(VALU_DEP_3)
	v_dual_lshrrev_b32 v16, 29, v10 :: v_dual_bitop2_b32 v11, v11, v16 bitop3:0x14
	v_dual_lshlrev_b32 v18, 23, v17 :: v_dual_lshrrev_b32 v10, 30, v10
	v_alignbit_b32 v13, v13, v12, v14
	s_delay_alu instid0(VALU_DEP_3) | instskip(NEXT) | instid1(VALU_DEP_4)
	v_alignbit_b32 v11, v12, v11, v14
	v_lshlrev_b32_e32 v12, 31, v16
	s_delay_alu instid0(VALU_DEP_2) | instskip(NEXT) | instid1(VALU_DEP_2)
	v_alignbit_b32 v14, v13, v11, 9
	v_dual_lshrrev_b32 v13, 9, v13 :: v_dual_bitop2_b32 v16, 0.5, v12 bitop3:0x54
	v_or_b32_e32 v12, 0x33000000, v12
	s_delay_alu instid0(VALU_DEP_3) | instskip(NEXT) | instid1(VALU_DEP_3)
	v_clz_i32_u32_e32 v19, v14
	v_sub_nc_u32_e32 v16, v16, v18
	s_delay_alu instid0(VALU_DEP_2) | instskip(NEXT) | instid1(VALU_DEP_1)
	v_min_u32_e32 v18, 32, v19
	v_add_lshl_u32 v17, v18, v17, 23
	s_delay_alu instid0(VALU_DEP_3) | instskip(SKIP_1) | instid1(VALU_DEP_3)
	v_or_b32_e32 v13, v13, v16
	v_not_b32_e32 v16, v18
	v_sub_nc_u32_e32 v12, v12, v17
	s_delay_alu instid0(VALU_DEP_3) | instskip(NEXT) | instid1(VALU_DEP_3)
	v_mul_f32_e32 v19, 0x3fc90fda, v13
	v_alignbit_b32 v11, v14, v11, v16
	s_delay_alu instid0(VALU_DEP_2) | instskip(NEXT) | instid1(VALU_DEP_2)
	v_fma_f32 v14, 0x3fc90fda, v13, -v19
	v_lshrrev_b32_e32 v11, 9, v11
	s_delay_alu instid0(VALU_DEP_2) | instskip(NEXT) | instid1(VALU_DEP_2)
	v_fmamk_f32 v13, v13, 0x33a22168, v14
	v_dual_add_nc_u32 v12, v15, v10 :: v_dual_bitop2_b32 v11, v12, v11 bitop3:0x54
	s_delay_alu instid0(VALU_DEP_1) | instskip(NEXT) | instid1(VALU_DEP_1)
	v_fmac_f32_e32 v13, 0x3fc90fda, v11
	v_add_f32_e32 v11, v19, v13
                                        ; implicit-def: $vgpr13
	s_and_not1_saveexec_b32 s0, s2
	s_cbranch_execnz .LBB36_17
	s_branch .LBB36_18
.LBB36_16:
	s_and_not1_saveexec_b32 s0, s2
.LBB36_17:
	v_rndne_f32_e32 v10, v13
	s_delay_alu instid0(VALU_DEP_1) | instskip(SKIP_1) | instid1(VALU_DEP_2)
	v_fma_f32 v11, 0xbfc90fda, v10, |v3|
	v_cvt_i32_f32_e32 v12, v10
	v_fmamk_f32 v11, v10, 0xb3a22168, v11
	s_delay_alu instid0(VALU_DEP_1)
	v_fmamk_f32 v11, v10, 0xa7c234c4, v11
.LBB36_18:
	s_or_b32 exec_lo, exec_lo, s0
	v_lshl_add_u64 v[0:1], v[0:1], 2, s[12:13]
	s_delay_alu instid0(VALU_DEP_2)
	v_dual_mul_f32 v10, v5, v5 :: v_dual_mul_f32 v13, v11, v11
	s_mov_b32 s0, 0xb94c1982
	s_mov_b32 s1, 0x37d75334
	global_load_b64 v[0:1], v[0:1], off
	v_xor_b32_e32 v2, v2, v3
	v_fmaak_f32 v16, s0, v13, 0x3c0881c4
	s_delay_alu instid0(VALU_DEP_1) | instskip(NEXT) | instid1(VALU_DEP_1)
	v_fmaak_f32 v16, v13, v16, 0xbe2aaa9d
	v_dual_fmaak_f32 v15, s1, v10, 0xbab64f3b :: v_dual_mul_f32 v16, v13, v16
	v_fmaak_f32 v14, s0, v10, 0x3c0881c4
	s_delay_alu instid0(VALU_DEP_2) | instskip(NEXT) | instid1(VALU_DEP_2)
	v_fmaak_f32 v15, v10, v15, 0x3d2aabf7
	v_dual_fmac_f32 v11, v11, v16 :: v_dual_fmaak_f32 v14, v10, v14, 0xbe2aaa9d
	v_fmaak_f32 v17, s1, v13, 0xbab64f3b
	s_delay_alu instid0(VALU_DEP_2) | instskip(NEXT) | instid1(VALU_DEP_1)
	v_dual_fmaak_f32 v15, v10, v15, 0xbf000004 :: v_dual_mul_f32 v14, v10, v14
	v_fma_f32 v10, v10, v15, 1.0
	v_dual_lshlrev_b32 v12, 30, v12 :: v_dual_bitop2_b32 v15, 1, v12 bitop3:0x40
	s_delay_alu instid0(VALU_DEP_3) | instskip(SKIP_1) | instid1(VALU_DEP_2)
	v_dual_fmac_f32 v5, v5, v14 :: v_dual_bitop2_b32 v14, 1, v9 bitop3:0x40
	v_lshlrev_b32_e32 v9, 30, v9
	v_cmp_eq_u32_e32 vcc_lo, 0, v14
	s_delay_alu instid0(VALU_DEP_3) | instskip(SKIP_2) | instid1(VALU_DEP_3)
	v_cndmask_b32_e64 v5, -v5, v10, vcc_lo
	v_cmp_eq_u32_e32 vcc_lo, 0, v15
	v_fmaak_f32 v17, v13, v17, 0x3d2aabf7
	v_bitop3_b32 v5, v9, v5, 0x80000000 bitop3:0x6c
	s_delay_alu instid0(VALU_DEP_2) | instskip(NEXT) | instid1(VALU_DEP_1)
	v_fmaak_f32 v17, v13, v17, 0xbf000004
	v_fma_f32 v13, v13, v17, 1.0
	s_delay_alu instid0(VALU_DEP_1) | instskip(SKIP_2) | instid1(VALU_DEP_2)
	v_cndmask_b32_e32 v10, v13, v11, vcc_lo
	v_and_b32_e32 v11, 0x80000000, v12
	v_cmp_class_f32_e64 vcc_lo, v3, 0x1f8
	v_xor3_b32 v2, v2, v11, v10
	v_cndmask_b32_e32 v3, 0x7fc00000, v5, vcc_lo
	s_delay_alu instid0(VALU_DEP_2) | instskip(NEXT) | instid1(VALU_DEP_1)
	v_cndmask_b32_e32 v2, 0x7fc00000, v2, vcc_lo
	v_dual_mul_f32 v2, v2, -v4 :: v_dual_mul_f32 v4, v4, v3
	s_wait_loadcnt 0x0
	s_delay_alu instid0(VALU_DEP_1) | instskip(NEXT) | instid1(VALU_DEP_2)
	v_pk_mul_f32 v[2:3], v[0:1], v[2:3] op_sel:[1,0] op_sel_hi:[0,0]
	v_pk_mul_f32 v[10:11], v[4:5], v[0:1] op_sel_hi:[0,1]
	s_delay_alu instid0(VALU_DEP_2) | instskip(NEXT) | instid1(VALU_DEP_2)
	v_pk_fma_f32 v[4:5], v[4:5], v[0:1], v[2:3] op_sel_hi:[0,1,1]
	v_sub_f32_e32 v4, v10, v2
.LBB36_19:
	s_or_b32 exec_lo, exec_lo, s5
	v_mul_lo_u32 v0, v8, s10
	s_wait_loadcnt 0x0
	v_cvt_f16_f32_e32 v1, v5
	v_cvt_f16_f32_e32 v2, v4
	s_delay_alu instid0(VALU_DEP_1) | instskip(NEXT) | instid1(VALU_DEP_4)
	v_and_b32_e32 v2, 0xffff, v2
	v_add3_u32 v0, v0, v6, v7
	s_delay_alu instid0(VALU_DEP_1) | instskip(NEXT) | instid1(VALU_DEP_1)
	v_dual_lshlrev_b32 v3, 16, v1 :: v_dual_ashrrev_i32 v1, 31, v0
	v_or_b32_e32 v2, v3, v2
	s_wait_kmcnt 0x0
	s_delay_alu instid0(VALU_DEP_2)
	v_lshl_add_u64 v[0:1], v[0:1], 1, s[14:15]
	global_store_b32 v[0:1], v2, off
.LBB36_20:
	s_endpgm
	.section	.rodata,"a",@progbits
	.p2align	6, 0x0
	.amdhsa_kernel _ZL9rope_normILb0ELb0Ef6__halfEvPKT1_PT2_iiiiiiiiiiPKifff14rope_corr_dimsfPKfPKli
		.amdhsa_group_segment_fixed_size 0
		.amdhsa_private_segment_fixed_size 0
		.amdhsa_kernarg_size 368
		.amdhsa_user_sgpr_count 2
		.amdhsa_user_sgpr_dispatch_ptr 0
		.amdhsa_user_sgpr_queue_ptr 0
		.amdhsa_user_sgpr_kernarg_segment_ptr 1
		.amdhsa_user_sgpr_dispatch_id 0
		.amdhsa_user_sgpr_kernarg_preload_length 0
		.amdhsa_user_sgpr_kernarg_preload_offset 0
		.amdhsa_user_sgpr_private_segment_size 0
		.amdhsa_wavefront_size32 1
		.amdhsa_uses_dynamic_stack 0
		.amdhsa_enable_private_segment 0
		.amdhsa_system_sgpr_workgroup_id_x 1
		.amdhsa_system_sgpr_workgroup_id_y 1
		.amdhsa_system_sgpr_workgroup_id_z 0
		.amdhsa_system_sgpr_workgroup_info 0
		.amdhsa_system_vgpr_workitem_id 1
		.amdhsa_next_free_vgpr 28
		.amdhsa_next_free_sgpr 20
		.amdhsa_named_barrier_count 0
		.amdhsa_reserve_vcc 1
		.amdhsa_float_round_mode_32 0
		.amdhsa_float_round_mode_16_64 0
		.amdhsa_float_denorm_mode_32 3
		.amdhsa_float_denorm_mode_16_64 3
		.amdhsa_fp16_overflow 0
		.amdhsa_memory_ordered 1
		.amdhsa_forward_progress 1
		.amdhsa_inst_pref_size 37
		.amdhsa_round_robin_scheduling 0
		.amdhsa_exception_fp_ieee_invalid_op 0
		.amdhsa_exception_fp_denorm_src 0
		.amdhsa_exception_fp_ieee_div_zero 0
		.amdhsa_exception_fp_ieee_overflow 0
		.amdhsa_exception_fp_ieee_underflow 0
		.amdhsa_exception_fp_ieee_inexact 0
		.amdhsa_exception_int_div_zero 0
	.end_amdhsa_kernel
	.section	.text._ZL9rope_normILb0ELb0Ef6__halfEvPKT1_PT2_iiiiiiiiiiPKifff14rope_corr_dimsfPKfPKli,"axG",@progbits,_ZL9rope_normILb0ELb0Ef6__halfEvPKT1_PT2_iiiiiiiiiiPKifff14rope_corr_dimsfPKfPKli,comdat
.Lfunc_end36:
	.size	_ZL9rope_normILb0ELb0Ef6__halfEvPKT1_PT2_iiiiiiiiiiPKifff14rope_corr_dimsfPKfPKli, .Lfunc_end36-_ZL9rope_normILb0ELb0Ef6__halfEvPKT1_PT2_iiiiiiiiiiPKifff14rope_corr_dimsfPKfPKli
                                        ; -- End function
	.set _ZL9rope_normILb0ELb0Ef6__halfEvPKT1_PT2_iiiiiiiiiiPKifff14rope_corr_dimsfPKfPKli.num_vgpr, 28
	.set _ZL9rope_normILb0ELb0Ef6__halfEvPKT1_PT2_iiiiiiiiiiPKifff14rope_corr_dimsfPKfPKli.num_agpr, 0
	.set _ZL9rope_normILb0ELb0Ef6__halfEvPKT1_PT2_iiiiiiiiiiPKifff14rope_corr_dimsfPKfPKli.numbered_sgpr, 20
	.set _ZL9rope_normILb0ELb0Ef6__halfEvPKT1_PT2_iiiiiiiiiiPKifff14rope_corr_dimsfPKfPKli.num_named_barrier, 0
	.set _ZL9rope_normILb0ELb0Ef6__halfEvPKT1_PT2_iiiiiiiiiiPKifff14rope_corr_dimsfPKfPKli.private_seg_size, 0
	.set _ZL9rope_normILb0ELb0Ef6__halfEvPKT1_PT2_iiiiiiiiiiPKifff14rope_corr_dimsfPKfPKli.uses_vcc, 1
	.set _ZL9rope_normILb0ELb0Ef6__halfEvPKT1_PT2_iiiiiiiiiiPKifff14rope_corr_dimsfPKfPKli.uses_flat_scratch, 0
	.set _ZL9rope_normILb0ELb0Ef6__halfEvPKT1_PT2_iiiiiiiiiiPKifff14rope_corr_dimsfPKfPKli.has_dyn_sized_stack, 0
	.set _ZL9rope_normILb0ELb0Ef6__halfEvPKT1_PT2_iiiiiiiiiiPKifff14rope_corr_dimsfPKfPKli.has_recursion, 0
	.set _ZL9rope_normILb0ELb0Ef6__halfEvPKT1_PT2_iiiiiiiiiiPKifff14rope_corr_dimsfPKfPKli.has_indirect_call, 0
	.section	.AMDGPU.csdata,"",@progbits
; Kernel info:
; codeLenInByte = 4640
; TotalNumSgprs: 22
; NumVgprs: 28
; ScratchSize: 0
; MemoryBound: 0
; FloatMode: 240
; IeeeMode: 1
; LDSByteSize: 0 bytes/workgroup (compile time only)
; SGPRBlocks: 0
; VGPRBlocks: 1
; NumSGPRsForWavesPerEU: 22
; NumVGPRsForWavesPerEU: 28
; NamedBarCnt: 0
; Occupancy: 16
; WaveLimiterHint : 0
; COMPUTE_PGM_RSRC2:SCRATCH_EN: 0
; COMPUTE_PGM_RSRC2:USER_SGPR: 2
; COMPUTE_PGM_RSRC2:TRAP_HANDLER: 0
; COMPUTE_PGM_RSRC2:TGID_X_EN: 1
; COMPUTE_PGM_RSRC2:TGID_Y_EN: 1
; COMPUTE_PGM_RSRC2:TGID_Z_EN: 0
; COMPUTE_PGM_RSRC2:TIDIG_COMP_CNT: 1
	.section	.text._ZL9rope_normILb0ELb1Ef6__halfEvPKT1_PT2_iiiiiiiiiiPKifff14rope_corr_dimsfPKfPKli,"axG",@progbits,_ZL9rope_normILb0ELb1Ef6__halfEvPKT1_PT2_iiiiiiiiiiPKifff14rope_corr_dimsfPKfPKli,comdat
	.globl	_ZL9rope_normILb0ELb1Ef6__halfEvPKT1_PT2_iiiiiiiiiiPKifff14rope_corr_dimsfPKfPKli ; -- Begin function _ZL9rope_normILb0ELb1Ef6__halfEvPKT1_PT2_iiiiiiiiiiPKifff14rope_corr_dimsfPKfPKli
	.p2align	8
	.type	_ZL9rope_normILb0ELb1Ef6__halfEvPKT1_PT2_iiiiiiiiiiPKifff14rope_corr_dimsfPKfPKli,@function
_ZL9rope_normILb0ELb1Ef6__halfEvPKT1_PT2_iiiiiiiiiiPKifff14rope_corr_dimsfPKfPKli: ; @_ZL9rope_normILb0ELb1Ef6__halfEvPKT1_PT2_iiiiiiiiiiPKifff14rope_corr_dimsfPKfPKli
; %bb.0:
	s_clause 0x1
	s_load_u16 s3, s[0:1], 0x7e
	s_load_b256 s[4:11], s[0:1], 0x10
	s_bfe_u32 s2, ttmp6, 0x40010
	s_bfe_u32 s13, ttmp6, 0x40004
	s_add_co_i32 s2, s2, 1
	v_bfe_u32 v1, v0, 10, 10
	s_mul_i32 s12, ttmp7, s2
	s_getreg_b32 s2, hwreg(HW_REG_IB_STS2, 6, 4)
	s_add_co_i32 s13, s13, s12
	s_cmp_eq_u32 s2, 0
	s_cselect_b32 s12, ttmp7, s13
	s_wait_kmcnt 0x0
	s_mul_i32 s12, s12, s3
	s_mov_b32 s3, exec_lo
	v_add_lshl_u32 v10, s12, v1, 1
	s_delay_alu instid0(VALU_DEP_1)
	v_cmpx_gt_i32_e64 s4, v10
	s_cbranch_execz .LBB37_20
; %bb.1:
	s_add_nc_u64 s[12:13], s[0:1], 0x70
	s_bfe_u32 s4, ttmp6, 0x4000c
	s_load_b32 s3, s[12:13], 0xc
	s_add_co_i32 s4, s4, 1
	s_wait_xcnt 0x0
	s_and_b32 s12, ttmp6, 15
	s_mul_i32 s4, ttmp9, s4
	v_and_b32_e32 v0, 0x3ff, v0
	s_add_co_i32 s12, s12, s4
	s_wait_kmcnt 0x0
	s_and_b32 s3, s3, 0xffff
	s_cmp_eq_u32 s2, 0
	s_mul_i32 s2, s6, s5
	s_cselect_b32 s4, ttmp9, s12
	s_abs_i32 s6, s2
	v_mad_u32 v2, s4, s3, v0
	s_cvt_f32_u32 s12, s6
	s_sub_co_i32 s4, 0, s6
	s_delay_alu instid0(SALU_CYCLE_2) | instskip(NEXT) | instid1(VALU_DEP_1)
	v_rcp_iflag_f32_e32 v1, s12
	v_sub_nc_u32_e32 v0, 0, v2
	s_delay_alu instid0(TRANS32_DEP_1) | instskip(NEXT) | instid1(VALU_DEP_2)
	v_readfirstlane_b32 s3, v1
	v_max_i32_e32 v0, v2, v0
	s_mul_f32 s3, s3, 0x4f7ffffe
	s_delay_alu instid0(SALU_CYCLE_3) | instskip(NEXT) | instid1(SALU_CYCLE_3)
	s_cvt_u32_f32 s3, s3
	s_mul_i32 s4, s4, s3
	s_delay_alu instid0(SALU_CYCLE_1) | instskip(NEXT) | instid1(SALU_CYCLE_1)
	s_mul_hi_u32 s4, s3, s4
	s_add_co_i32 s3, s3, s4
	s_load_b32 s4, s[0:1], 0x68
	v_mul_hi_u32 v1, v0, s3
	s_cvt_f32_u32 s3, s5
	s_delay_alu instid0(VALU_DEP_1) | instskip(NEXT) | instid1(VALU_DEP_1)
	v_mul_lo_u32 v3, v1, s6
	v_dual_sub_nc_u32 v0, v0, v3 :: v_dual_add_nc_u32 v3, 1, v1
	s_delay_alu instid0(VALU_DEP_1) | instskip(NEXT) | instid1(VALU_DEP_2)
	v_cmp_le_u32_e32 vcc_lo, s6, v0
	v_dual_cndmask_b32 v1, v1, v3, vcc_lo :: v_dual_bitop2_b32 v3, s2, v2 bitop3:0x14
	v_subrev_nc_u32_e32 v4, s6, v0
	s_delay_alu instid0(VALU_DEP_1) | instskip(NEXT) | instid1(VALU_DEP_1)
	v_dual_cndmask_b32 v0, v0, v4, vcc_lo :: v_dual_add_nc_u32 v4, 1, v1
	v_cmp_le_u32_e32 vcc_lo, s6, v0
	s_delay_alu instid0(VALU_DEP_2) | instskip(SKIP_1) | instid1(VALU_DEP_1)
	v_dual_cndmask_b32 v0, v1, v4 :: v_dual_ashrrev_i32 v3, 31, v3
	v_rcp_iflag_f32_e32 v1, s3
	v_xor_b32_e32 v0, v0, v3
	s_delay_alu instid0(TRANS32_DEP_1) | instskip(NEXT) | instid1(VALU_DEP_2)
	v_readfirstlane_b32 s3, v1
	v_sub_nc_u32_e32 v0, v0, v3
	s_delay_alu instid0(VALU_DEP_1) | instskip(SKIP_2) | instid1(SALU_CYCLE_2)
	v_mul_lo_u32 v1, s2, v0
	s_mul_f32 s2, s3, 0x4f7ffffe
	s_sub_co_i32 s3, 0, s5
	s_cvt_u32_f32 s2, s2
	s_delay_alu instid0(SALU_CYCLE_3) | instskip(NEXT) | instid1(VALU_DEP_1)
	s_mul_i32 s3, s3, s2
	v_sub_nc_u32_e32 v1, v2, v1
	s_mul_hi_u32 s3, s2, s3
	s_delay_alu instid0(SALU_CYCLE_1)
	s_add_co_i32 s2, s2, s3
	s_wait_kmcnt 0x0
	s_cmp_eq_u32 s4, 0
	v_mul_hi_u32 v2, v1, s2
	s_clause 0x1
	s_load_b64 s[2:3], s[0:1], 0x30
	s_load_b128 s[16:19], s[0:1], 0x58
	s_delay_alu instid0(VALU_DEP_1) | instskip(NEXT) | instid1(VALU_DEP_1)
	v_mul_lo_u32 v3, v2, s5
	v_sub_nc_u32_e32 v3, v1, v3
	s_delay_alu instid0(VALU_DEP_1) | instskip(SKIP_1) | instid1(VALU_DEP_2)
	v_subrev_nc_u32_e32 v5, s5, v3
	v_cmp_le_u32_e32 vcc_lo, s5, v3
	v_dual_cndmask_b32 v3, v3, v5 :: v_dual_add_nc_u32 v4, 1, v2
	s_delay_alu instid0(VALU_DEP_1) | instskip(NEXT) | instid1(VALU_DEP_2)
	v_cndmask_b32_e32 v2, v2, v4, vcc_lo
	v_cmp_le_u32_e32 vcc_lo, s5, v3
	s_delay_alu instid0(VALU_DEP_2) | instskip(NEXT) | instid1(VALU_DEP_1)
	v_add_nc_u32_e32 v4, 1, v2
	v_cndmask_b32_e32 v6, v2, v4, vcc_lo
	s_cbranch_scc1 .LBB37_3
; %bb.2:
	v_mov_b32_e32 v7, 0
	s_wait_kmcnt 0x0
	s_delay_alu instid0(VALU_DEP_1)
	v_lshl_add_u64 v[2:3], v[6:7], 3, s[18:19]
	global_load_b32 v2, v[2:3], off
	s_wait_loadcnt 0x0
	v_mul_lo_u32 v7, s4, v2
	s_branch .LBB37_4
.LBB37_3:
	s_wait_kmcnt 0x0
	v_mul_lo_u32 v2, v0, s2
	s_delay_alu instid0(VALU_DEP_1)
	v_mad_u32 v7, v6, s11, v2
.LBB37_4:
	v_mad_u32 v0, v0, s9, v10
	v_mul_lo_u32 v2, v6, s5
	s_load_b128 s[12:15], s[0:1], 0x0
	s_mov_b32 s2, exec_lo
	s_delay_alu instid0(VALU_DEP_2) | instskip(NEXT) | instid1(VALU_DEP_2)
	v_mad_u32 v0, v6, s8, v0
	v_sub_nc_u32_e32 v11, v1, v2
                                        ; implicit-def: $vgpr3
	s_delay_alu instid0(VALU_DEP_1) | instskip(NEXT) | instid1(VALU_DEP_1)
	v_mad_u32 v0, v11, s7, v0
	v_ashrrev_i32_e32 v1, 31, v0
	v_cmpx_le_i32_e64 s3, v10
	s_xor_b32 s2, exec_lo, s2
	s_cbranch_execz .LBB37_6
; %bb.5:
	s_wait_kmcnt 0x0
	v_lshl_add_u64 v[0:1], v[0:1], 2, s[12:13]
                                        ; implicit-def: $vgpr6
	global_load_b64 v[2:3], v[0:1], off
                                        ; implicit-def: $vgpr0
.LBB37_6:
	s_wait_xcnt 0x0
	s_and_not1_saveexec_b32 s11, s2
	s_cbranch_execz .LBB37_19
; %bb.7:
	s_clause 0x1
	s_load_b64 s[8:9], s[0:1], 0x50
	s_load_b64 s[2:3], s[0:1], 0x38
	s_wait_loadcnt 0x0
	v_cvt_f32_i32_e32 v2, v10
	s_mov_b32 s4, 0x3e76c4e1
	s_delay_alu instid0(VALU_DEP_1)
	v_mul_f32_e32 v2, 0.5, v2
	s_wait_kmcnt 0x0
	s_cmp_neq_f32 s9, 1.0
	global_load_b32 v6, v6, s[2:3] scale_offset
	s_cselect_b32 vcc_lo, -1, 0
	v_cndmask_b32_e32 v13, 1.0, v2, vcc_lo
	s_delay_alu instid0(VALU_DEP_1) | instskip(SKIP_1) | instid1(VALU_DEP_1)
	v_cmp_neq_f32_e32 vcc_lo, 0, v13
	v_cndmask_b32_e64 v12, 1.0, s9, vcc_lo
	v_frexp_mant_f32_e64 v2, |v12|
	v_cmp_lt_f32_e64 s6, |v12|, 1.0
	s_delay_alu instid0(VALU_DEP_2) | instskip(SKIP_1) | instid1(VALU_DEP_1)
	v_cmp_gt_f32_e32 vcc_lo, 0x3f2aaaab, v2
	v_cndmask_b32_e64 v3, 1.0, 2.0, vcc_lo
	v_mul_f32_e32 v2, v2, v3
	v_cmp_neq_f32_e64 s5, v13, |v13|
	s_delay_alu instid0(VALU_DEP_2) | instskip(SKIP_1) | instid1(VALU_DEP_1)
	v_dual_add_f32 v5, 1.0, v2 :: v_dual_add_f32 v3, -1.0, v2
	s_xor_b32 s5, s5, s6
	v_rcp_f32_e32 v14, v5
	v_add_f32_e32 v8, -1.0, v5
	s_delay_alu instid0(TRANS32_DEP_1) | instid1(VALU_DEP_1)
	v_dual_sub_f32 v2, v2, v8 :: v_dual_mul_f32 v15, v3, v14
	s_delay_alu instid0(VALU_DEP_1) | instskip(NEXT) | instid1(VALU_DEP_1)
	v_mul_f32_e32 v4, v5, v15
	v_fma_f32 v8, v15, v5, -v4
	s_delay_alu instid0(VALU_DEP_1) | instskip(NEXT) | instid1(VALU_DEP_1)
	v_fmac_f32_e32 v8, v15, v2
	v_add_f32_e32 v2, v4, v8
	s_delay_alu instid0(VALU_DEP_1) | instskip(NEXT) | instid1(VALU_DEP_1)
	v_dual_sub_f32 v5, v3, v2 :: v_dual_mov_b32 v9, v2
	v_pk_add_f32 v[2:3], v[2:3], v[4:5] neg_lo:[0,1] neg_hi:[0,1]
	s_delay_alu instid0(VALU_DEP_1) | instskip(NEXT) | instid1(VALU_DEP_1)
	v_pk_add_f32 v[2:3], v[2:3], v[8:9] neg_lo:[0,1] neg_hi:[0,1]
	v_add_f32_e32 v2, v2, v3
	s_delay_alu instid0(VALU_DEP_1) | instskip(NEXT) | instid1(VALU_DEP_1)
	v_add_f32_e32 v2, v5, v2
	v_mul_f32_e32 v3, v14, v2
	s_delay_alu instid0(VALU_DEP_1) | instskip(NEXT) | instid1(VALU_DEP_1)
	v_add_f32_e32 v2, v15, v3
	v_dual_sub_f32 v4, v2, v15 :: v_dual_mul_f32 v5, v2, v2
	s_delay_alu instid0(VALU_DEP_1) | instskip(NEXT) | instid1(VALU_DEP_1)
	v_dual_sub_f32 v15, v3, v4 :: v_dual_fma_f32 v3, v2, v2, -v5
	v_add_f32_e32 v4, v15, v15
	s_delay_alu instid0(VALU_DEP_1) | instskip(NEXT) | instid1(VALU_DEP_1)
	v_fmac_f32_e32 v3, v2, v4
	v_add_f32_e32 v4, v5, v3
	s_delay_alu instid0(VALU_DEP_1) | instskip(SKIP_1) | instid1(VALU_DEP_2)
	v_dual_fmaak_f32 v8, s4, v4, 0x3e91f4c4 :: v_dual_sub_f32 v5, v4, v5
	v_cmp_eq_f32_e64 s4, 0, v12
	v_fmaak_f32 v14, v4, v8, 0x3ecccdef
	v_cvt_f64_f32_e64 v[8:9], |v12|
	s_delay_alu instid0(VALU_DEP_2) | instskip(NEXT) | instid1(VALU_DEP_1)
	v_dual_mul_f32 v16, v4, v14 :: v_dual_sub_f32 v20, v3, v5
	v_fma_f32 v3, v4, v14, -v16
	s_delay_alu instid0(VALU_DEP_1) | instskip(NEXT) | instid1(VALU_DEP_1)
	v_fmac_f32_e32 v3, v20, v14
	v_dual_add_f32 v5, v16, v3 :: v_dual_ashrrev_i32 v14, 1, v10
	global_load_b32 v26, v14, s[16:17] scale_offset
	v_dual_sub_f32 v16, v5, v16 :: v_dual_add_f32 v17, 0x3f2aaaaa, v5
	s_delay_alu instid0(VALU_DEP_1) | instskip(SKIP_1) | instid1(VALU_DEP_2)
	v_dual_sub_f32 v3, v3, v16 :: v_dual_add_f32 v16, 0xbf2aaaaa, v17
	v_frexp_exp_i32_f64_e32 v21, v[8:9]
	v_add_f32_e32 v3, 0x31739010, v3
	s_delay_alu instid0(VALU_DEP_3) | instskip(NEXT) | instid1(VALU_DEP_1)
	v_sub_f32_e32 v5, v5, v16
	v_pk_mul_f32 v[8:9], v[2:3], v[4:5]
	s_delay_alu instid0(VALU_DEP_1) | instskip(NEXT) | instid1(VALU_DEP_1)
	v_fma_f32 v16, v4, v2, -v8
	v_fmac_f32_e32 v16, v4, v15
	s_delay_alu instid0(VALU_DEP_1) | instskip(SKIP_1) | instid1(VALU_DEP_1)
	v_fmac_f32_e32 v16, v20, v2
	v_pk_add_f32 v[18:19], v[2:3], v[4:5]
	v_mov_b32_e32 v9, v19
	v_subrev_co_ci_u32_e64 v3, null, 0, v21, vcc_lo
	s_delay_alu instid0(VALU_DEP_2) | instskip(NEXT) | instid1(VALU_DEP_2)
	v_pk_add_f32 v[4:5], v[8:9], v[16:17]
	v_cvt_f32_i32_e32 v3, v3
	s_delay_alu instid0(VALU_DEP_2) | instskip(NEXT) | instid1(VALU_DEP_3)
	v_mov_b32_e32 v18, v5
	v_dual_sub_f32 v9, v17, v5 :: v_dual_sub_f32 v17, v4, v8
	s_delay_alu instid0(VALU_DEP_2) | instskip(NEXT) | instid1(VALU_DEP_4)
	v_pk_mul_f32 v[20:21], v[4:5], v[18:19]
	v_mul_f32_e32 v18, 0x3f317218, v3
	s_delay_alu instid0(VALU_DEP_3) | instskip(NEXT) | instid1(VALU_DEP_3)
	v_sub_f32_e32 v16, v16, v17
	v_fma_f32 v8, v4, v5, -v20
	v_add_f32_e32 v9, v19, v9
	s_delay_alu instid0(VALU_DEP_1) | instskip(SKIP_1) | instid1(VALU_DEP_2)
	v_fmac_f32_e32 v8, v4, v9
	v_fma_f32 v4, 0x3f317218, v3, -v18
	v_fmac_f32_e32 v8, v16, v5
	s_delay_alu instid0(VALU_DEP_2) | instskip(SKIP_1) | instid1(VALU_DEP_1)
	v_fmamk_f32 v4, v3, 0xb102e308, v4
	v_ldexp_f32 v5, v2, 1
	v_dual_add_f32 v19, v20, v8 :: v_dual_mov_b32 v21, v5
	s_delay_alu instid0(VALU_DEP_1) | instskip(SKIP_2) | instid1(VALU_DEP_3)
	v_pk_add_f32 v[2:3], v[18:19], v[4:5]
	v_mov_b32_e32 v16, v19
	v_ldexp_f32 v5, v15, 1
	v_dual_mov_b32 v9, v19 :: v_dual_mov_b32 v17, v3
	s_delay_alu instid0(VALU_DEP_1) | instskip(NEXT) | instid1(VALU_DEP_1)
	v_pk_add_f32 v[16:17], v[16:17], v[20:21] neg_lo:[0,1] neg_hi:[0,1]
	v_pk_add_f32 v[8:9], v[8:9], v[16:17] neg_lo:[0,1] neg_hi:[0,1]
	s_delay_alu instid0(VALU_DEP_1) | instskip(NEXT) | instid1(VALU_DEP_1)
	v_add_f32_e32 v5, v5, v8
	v_dual_add_f32 v19, v5, v9 :: v_dual_mov_b32 v5, v2
	s_delay_alu instid0(VALU_DEP_1) | instskip(SKIP_1) | instid1(VALU_DEP_2)
	v_pk_add_f32 v[8:9], v[2:3], v[18:19]
	v_pk_add_f32 v[16:17], v[2:3], v[18:19] neg_lo:[0,1] neg_hi:[0,1]
	v_dual_mov_b32 v24, v3 :: v_dual_mov_b32 v17, v9
	s_delay_alu instid0(VALU_DEP_1) | instskip(NEXT) | instid1(VALU_DEP_1)
	v_pk_add_f32 v[20:21], v[4:5], v[16:17]
	v_dual_mov_b32 v20, v9 :: v_dual_mov_b32 v18, v21
	v_pk_add_f32 v[4:5], v[4:5], v[16:17] neg_lo:[0,1] neg_hi:[0,1]
	s_delay_alu instid0(VALU_DEP_2) | instskip(SKIP_1) | instid1(VALU_DEP_2)
	v_pk_add_f32 v[22:23], v[18:19], v[2:3] neg_lo:[0,1] neg_hi:[0,1]
	v_dual_mov_b32 v3, v2 :: v_dual_mov_b32 v2, v19
	v_dual_mov_b32 v15, v22 :: v_dual_mov_b32 v25, v22
	s_delay_alu instid0(VALU_DEP_1) | instskip(NEXT) | instid1(VALU_DEP_2)
	v_pk_add_f32 v[8:9], v[8:9], v[14:15] neg_lo:[0,1] neg_hi:[0,1]
	v_pk_add_f32 v[16:17], v[20:21], v[24:25] neg_lo:[0,1] neg_hi:[0,1]
	v_mov_b32_e32 v8, v4
	s_delay_alu instid0(VALU_DEP_2) | instskip(NEXT) | instid1(VALU_DEP_1)
	v_pk_add_f32 v[2:3], v[2:3], v[16:17] neg_lo:[0,1] neg_hi:[0,1]
	v_pk_add_f32 v[8:9], v[8:9], v[2:3]
	s_delay_alu instid0(VALU_DEP_1) | instskip(NEXT) | instid1(VALU_DEP_1)
	v_mov_b32_e32 v16, v9
	v_pk_add_f32 v[16:17], v[8:9], v[16:17]
	s_delay_alu instid0(VALU_DEP_1) | instskip(NEXT) | instid1(VALU_DEP_1)
	v_pk_add_f32 v[18:19], v[18:19], v[16:17]
	v_dual_mov_b32 v5, v21 :: v_dual_mov_b32 v9, v18
	s_delay_alu instid0(VALU_DEP_1) | instskip(NEXT) | instid1(VALU_DEP_1)
	v_pk_add_f32 v[20:21], v[8:9], v[4:5] neg_lo:[0,1] neg_hi:[0,1]
	v_sub_f32_e32 v5, v8, v20
	s_delay_alu instid0(VALU_DEP_1) | instskip(SKIP_1) | instid1(VALU_DEP_1)
	v_sub_f32_e32 v4, v4, v5
	v_mov_b32_e32 v3, v16
	v_pk_add_f32 v[2:3], v[2:3], v[20:21] neg_lo:[0,1] neg_hi:[0,1]
	s_delay_alu instid0(VALU_DEP_1) | instskip(NEXT) | instid1(VALU_DEP_1)
	v_add_f32_e32 v2, v2, v4
	v_add_f32_e32 v2, v2, v3
	s_delay_alu instid0(VALU_DEP_1) | instskip(NEXT) | instid1(VALU_DEP_1)
	v_add_f32_e32 v3, v18, v2
	v_dual_sub_f32 v4, v3, v18 :: v_dual_mul_f32 v5, v13, v3
	s_delay_alu instid0(VALU_DEP_1) | instskip(SKIP_1) | instid1(VALU_DEP_2)
	v_dual_sub_f32 v2, v2, v4 :: v_dual_fma_f32 v3, v13, v3, -v5
	v_cmp_class_f32_e64 vcc_lo, v5, 0x204
	v_fmac_f32_e32 v3, v13, v2
	s_delay_alu instid0(VALU_DEP_1) | instskip(NEXT) | instid1(VALU_DEP_1)
	v_add_f32_e32 v2, v5, v3
	v_cndmask_b32_e32 v4, v2, v5, vcc_lo
	s_delay_alu instid0(VALU_DEP_1) | instskip(SKIP_2) | instid1(VALU_DEP_2)
	v_cmp_eq_f32_e32 vcc_lo, 0x42b17218, v4
	v_cndmask_b32_e64 v8, 0, 0x37000000, vcc_lo
	v_cmp_neq_f32_e64 vcc_lo, 0x7f800000, |v4|
	v_dual_sub_f32 v9, v4, v8 :: v_dual_sub_f32 v2, v2, v5
	v_trunc_f32_e32 v4, v13
	s_delay_alu instid0(VALU_DEP_2) | instskip(NEXT) | instid1(VALU_DEP_1)
	v_dual_mul_f32 v15, 0x3fb8aa3b, v9 :: v_dual_sub_f32 v2, v3, v2
	v_fma_f32 v16, 0x3fb8aa3b, v9, -v15
	v_rndne_f32_e32 v17, v15
	s_delay_alu instid0(VALU_DEP_3) | instskip(SKIP_1) | instid1(VALU_DEP_3)
	v_cndmask_b32_e32 v2, 0, v2, vcc_lo
	v_cmp_ngt_f32_e32 vcc_lo, 0xc2ce8ed0, v9
	v_dual_fmamk_f32 v16, v9, 0x32a5705f, v16 :: v_dual_sub_f32 v15, v15, v17
	s_delay_alu instid0(VALU_DEP_1) | instskip(NEXT) | instid1(VALU_DEP_1)
	v_add_f32_e32 v15, v15, v16
	v_exp_f32_e32 v5, v15
	v_nop
	v_cvt_i32_f32_e32 v15, v17
	s_delay_alu instid0(TRANS32_DEP_1) | instid1(VALU_DEP_1)
	v_ldexp_f32 v3, v5, v15
	s_delay_alu instid0(VALU_DEP_1) | instskip(NEXT) | instid1(VALU_DEP_1)
	v_dual_mul_f32 v5, 0.5, v13 :: v_dual_cndmask_b32 v3, 0, v3, vcc_lo
	v_trunc_f32_e32 v15, v5
	v_cmp_nlt_f32_e32 vcc_lo, 0x42b17218, v9
	s_wait_xcnt 0x1
	s_delay_alu instid0(VALU_DEP_2) | instskip(SKIP_2) | instid1(VALU_DEP_2)
	v_cmp_neq_f32_e64 s2, v15, v5
	v_cndmask_b32_e32 v3, 0x7f800000, v3, vcc_lo
	v_cmp_eq_f32_e32 vcc_lo, v4, v13
	v_cmp_class_f32_e64 s3, v3, 0x204
	s_and_b32 s2, vcc_lo, s2
	s_delay_alu instid0(SALU_CYCLE_1) | instskip(SKIP_2) | instid1(VALU_DEP_3)
	v_dual_cndmask_b32 v4, 1.0, v12, s2 :: v_dual_add_f32 v2, v8, v2
	v_cndmask_b32_e64 v8, 0, v12, s2
	v_cmp_class_f32_e64 s2, v12, 0x204
	v_fma_f32 v2, v3, v2, v3
	s_delay_alu instid0(VALU_DEP_1) | instskip(SKIP_2) | instid1(VALU_DEP_3)
	v_cndmask_b32_e64 v2, v2, v3, s3
	v_cndmask_b32_e64 v3, 0x7f800000, 0, s5
	v_cmp_gt_f32_e64 s3, 0, v13
	v_bfi_b32 v2, 0x7fffffff, v2, v4
	s_xor_b32 s3, s3, s4
	s_delay_alu instid0(SALU_CYCLE_1) | instskip(NEXT) | instid1(VALU_DEP_2)
	v_cndmask_b32_e64 v4, 0x7f800000, 0, s3
	v_cndmask_b32_e32 v5, 0x7fc00000, v2, vcc_lo
	v_cmp_neq_f32_e64 vcc_lo, |v12|, 1.0
	s_delay_alu instid0(VALU_DEP_3) | instskip(SKIP_4) | instid1(VALU_DEP_2)
	v_bfi_b32 v4, 0x7fffffff, v4, v8
	v_cndmask_b32_e32 v3, 1.0, v3, vcc_lo
	v_cmp_gt_f32_e32 vcc_lo, 0, v12
	v_cndmask_b32_e32 v2, v2, v5, vcc_lo
	v_cmp_class_f32_e64 vcc_lo, v13, 0x204
	v_cndmask_b32_e32 v2, v2, v3, vcc_lo
	s_or_b32 vcc_lo, s4, s2
	s_wait_loadcnt 0x1
	v_cvt_f32_i32_e32 v3, v6
	s_load_b128 s[4:7], s[0:1], 0x40
	v_cndmask_b32_e32 v2, v2, v4, vcc_lo
	v_cmp_o_f32_e32 vcc_lo, v12, v12
	s_delay_alu instid0(VALU_DEP_2) | instskip(NEXT) | instid1(VALU_DEP_1)
	v_cndmask_b32_e32 v2, 0x7fc00000, v2, vcc_lo
	v_mul_f32_e32 v2, v2, v3
	s_wait_loadcnt 0x0
	s_delay_alu instid0(VALU_DEP_1) | instskip(SKIP_3) | instid1(VALU_DEP_2)
	v_div_scale_f32 v3, null, v26, v26, v2
	v_div_scale_f32 v6, vcc_lo, v2, v26, v2
	s_wait_kmcnt 0x0
	s_cmp_eq_f32 s5, 0
	v_rcp_f32_e32 v4, v3
	v_nop
	s_delay_alu instid0(TRANS32_DEP_1) | instskip(NEXT) | instid1(VALU_DEP_1)
	v_fma_f32 v5, -v3, v4, 1.0
	v_fmac_f32_e32 v4, v5, v4
	s_delay_alu instid0(VALU_DEP_1) | instskip(NEXT) | instid1(VALU_DEP_1)
	v_mul_f32_e32 v5, v6, v4
	v_fma_f32 v8, -v3, v5, v6
	s_delay_alu instid0(VALU_DEP_1) | instskip(NEXT) | instid1(VALU_DEP_1)
	v_fmac_f32_e32 v5, v8, v4
	v_fma_f32 v3, -v3, v5, v6
	s_delay_alu instid0(VALU_DEP_1) | instskip(NEXT) | instid1(VALU_DEP_1)
	v_div_fmas_f32 v3, v3, v4, v5
	v_div_fixup_f32 v2, v3, v26, v2
	s_delay_alu instid0(VALU_DEP_1)
	v_mul_f32_e32 v3, s4, v2
	s_cbranch_scc1 .LBB37_9
; %bb.8:
	v_div_scale_f32 v6, null, s4, s4, 1.0
	v_cvt_f32_i32_e32 v4, v14
	s_sub_f32 s0, s8, s7
	s_delay_alu instid0(VALU_DEP_2)
	v_rcp_f32_e32 v9, v6
	v_nop
	v_xor_b32_e32 v6, 0x80000000, v6
	s_max_num_f32 s1, s0, 0x3a83126f
	s_delay_alu instid0(TRANS32_DEP_1) | instid1(VALU_DEP_1)
	v_fma_f32 v13, v6, v9, 1.0
	s_delay_alu instid0(VALU_DEP_1)
	v_dual_subrev_f32 v4, s7, v4 :: v_dual_fmac_f32 v9, v13, v9
	s_delay_alu instid0(VALU_DEP_1) | instid1(SALU_CYCLE_1)
	v_div_scale_f32 v5, null, s1, s1, v4
	v_div_scale_f32 v14, vcc_lo, v4, s1, v4
	s_delay_alu instid0(VALU_DEP_2) | instskip(SKIP_1) | instid1(TRANS32_DEP_1)
	v_rcp_f32_e32 v8, v5
	v_nop
	v_fma_f32 v12, -v5, v8, 1.0
	s_delay_alu instid0(VALU_DEP_1) | instskip(SKIP_1) | instid1(VALU_DEP_1)
	v_fmac_f32_e32 v8, v12, v8
	v_div_scale_f32 v12, s0, 1.0, s4, 1.0
	v_mul_f32_e32 v15, v12, v9
	s_delay_alu instid0(VALU_DEP_1) | instskip(NEXT) | instid1(VALU_DEP_1)
	v_fma_f32 v17, v6, v15, v12
	v_dual_mul_f32 v13, v14, v8 :: v_dual_fmac_f32 v15, v17, v9
	s_delay_alu instid0(VALU_DEP_1) | instskip(NEXT) | instid1(VALU_DEP_1)
	v_dual_fma_f32 v16, -v5, v13, v14 :: v_dual_fmac_f32 v12, v6, v15
	v_fmac_f32_e32 v13, v16, v8
	s_delay_alu instid0(VALU_DEP_1) | instskip(NEXT) | instid1(VALU_DEP_1)
	v_fma_f32 v5, -v5, v13, v14
	v_div_fmas_f32 v5, v5, v8, v13
	s_mov_b32 vcc_lo, s0
	v_div_fmas_f32 v6, v12, v9, v15
	s_delay_alu instid0(VALU_DEP_2) | instskip(NEXT) | instid1(VALU_DEP_2)
	v_div_fixup_f32 v4, v5, s1, v4 clamp
	v_div_fixup_f32 v6, v6, s4, 1.0
	s_delay_alu instid0(VALU_DEP_2) | instskip(NEXT) | instid1(VALU_DEP_2)
	v_sub_f32_e32 v9, 1.0, v4
	v_readfirstlane_b32 s0, v6
	s_cmp_lt_f32 s0, 0x800000
	s_cselect_b32 s0, 0x4f800000, 1.0
	s_delay_alu instid0(SALU_CYCLE_1) | instskip(SKIP_2) | instid1(VALU_DEP_2)
	v_mul_f32_e32 v6, s0, v6
	s_cselect_b32 s0, 0x41b17218, 0
	v_mul_f32_e32 v4, s5, v9
	v_log_f32_e32 v6, v6
	v_nop
	s_delay_alu instid0(TRANS32_DEP_1) | instskip(SKIP_1) | instid1(VALU_DEP_2)
	v_mul_f32_e32 v8, 0x3f317217, v6
	v_and_b32_e32 v5, 0x7fffffff, v6
	v_xor_b32_e32 v8, 0x80000000, v8
	s_delay_alu instid0(VALU_DEP_2) | instskip(SKIP_1) | instid1(VALU_DEP_1)
	v_cmp_gt_f32_e32 vcc_lo, 0x7f800000, v5
	v_fma_f32 v5, -s5, v9, 1.0
	v_pk_mul_f32 v[2:3], v[4:5], v[2:3]
	s_delay_alu instid0(VALU_DEP_1) | instskip(NEXT) | instid1(VALU_DEP_1)
	v_dual_fmac_f32 v8, 0x3f317217, v6 :: v_dual_add_f32 v3, v2, v3
	v_fmamk_f32 v8, v6, 0x3377d1cf, v8
	s_delay_alu instid0(VALU_DEP_1) | instskip(NEXT) | instid1(VALU_DEP_1)
	v_fmac_f32_e32 v8, 0x3f317217, v6
	v_dual_cndmask_b32 v6, v6, v8, vcc_lo :: v_dual_mov_b32 v8, 1.0
	s_delay_alu instid0(VALU_DEP_1) | instskip(NEXT) | instid1(VALU_DEP_1)
	v_subrev_f32_e32 v6, s0, v6
	v_fmamk_f32 v4, v6, 0x3dcccccd, v8
	s_delay_alu instid0(VALU_DEP_1)
	v_mul_f32_e32 v4, s6, v4
	s_branch .LBB37_10
.LBB37_9:
	v_mov_b32_e32 v4, s6
.LBB37_10:
	s_delay_alu instid0(VALU_DEP_2) | instskip(SKIP_1) | instid1(VALU_DEP_2)
	v_and_b32_e32 v2, 0x7fffffff, v3
	v_cmp_ngt_f32_e64 s2, 0x48000000, |v3|
                                        ; implicit-def: $vgpr6
                                        ; implicit-def: $vgpr5
	v_lshrrev_b32_e32 v8, 23, v2
	s_and_saveexec_b32 s0, s2
	s_delay_alu instid0(SALU_CYCLE_1)
	s_xor_b32 s3, exec_lo, s0
	s_cbranch_execz .LBB37_12
; %bb.11:
	s_mov_b32 s0, 0x7fffff
	v_mov_b32_e32 v13, 0
	v_and_or_b32 v12, v2, s0, 0x800000
	s_mov_b64 s[0:1], 0xfe5163ab
	v_add_nc_u32_e32 v5, 0xffffff88, v8
	s_delay_alu instid0(VALU_DEP_2) | instskip(NEXT) | instid1(VALU_DEP_2)
	v_mul_u64_e32 v[14:15], s[0:1], v[12:13]
	v_cmp_lt_u32_e32 vcc_lo, 63, v5
	v_cndmask_b32_e64 v6, 0, 0xffffffc0, vcc_lo
	s_delay_alu instid0(VALU_DEP_3) | instskip(SKIP_2) | instid1(VALU_DEP_3)
	v_dual_mov_b32 v16, v15 :: v_dual_mov_b32 v17, v13
	v_dual_mov_b32 v19, v13 :: v_dual_mov_b32 v21, v13
	;; [unrolled: 1-line block ×3, first 2 shown]
	v_mad_nc_u64_u32 v[16:17], 0x3c439041, v12, v[16:17]
	v_dual_add_nc_u32 v5, v6, v5 :: v_dual_mov_b32 v27, v13
	s_delay_alu instid0(VALU_DEP_1) | instskip(NEXT) | instid1(VALU_DEP_3)
	v_cmp_lt_u32_e64 s0, 31, v5
	v_mov_b32_e32 v18, v17
	s_delay_alu instid0(VALU_DEP_2) | instskip(NEXT) | instid1(VALU_DEP_2)
	v_cndmask_b32_e64 v6, 0, 0xffffffe0, s0
	v_mad_nc_u64_u32 v[18:19], 0xdb629599, v12, v[18:19]
	s_delay_alu instid0(VALU_DEP_2) | instskip(NEXT) | instid1(VALU_DEP_1)
	v_add_nc_u32_e32 v5, v6, v5
	v_cmp_lt_u32_e64 s1, 31, v5
	s_delay_alu instid0(VALU_DEP_3) | instskip(NEXT) | instid1(VALU_DEP_2)
	v_mov_b32_e32 v20, v19
	v_cndmask_b32_e64 v6, 0, 0xffffffe0, s1
	s_delay_alu instid0(VALU_DEP_2) | instskip(NEXT) | instid1(VALU_DEP_1)
	v_mad_nc_u64_u32 v[20:21], 0xf534ddc0, v12, v[20:21]
	v_dual_cndmask_b32 v6, v20, v16 :: v_dual_add_nc_u32 v5, v6, v5
	s_delay_alu instid0(VALU_DEP_2) | instskip(NEXT) | instid1(VALU_DEP_1)
	v_mov_b32_e32 v22, v21
	v_mad_nc_u64_u32 v[22:23], 0xfc2757d1, v12, v[22:23]
	s_delay_alu instid0(VALU_DEP_1) | instskip(NEXT) | instid1(VALU_DEP_1)
	v_dual_mov_b32 v24, v23 :: v_dual_cndmask_b32 v15, v22, v18
	v_mad_nc_u64_u32 v[24:25], 0x4e441529, v12, v[24:25]
	s_delay_alu instid0(VALU_DEP_1) | instskip(NEXT) | instid1(VALU_DEP_1)
	v_dual_mov_b32 v26, v25 :: v_dual_cndmask_b32 v9, v24, v20
	v_mad_nc_u64_u32 v[12:13], 0xa2f9836e, v12, v[26:27]
	s_delay_alu instid0(VALU_DEP_1) | instskip(NEXT) | instid1(VALU_DEP_1)
	v_dual_cndmask_b32 v12, v12, v22 :: v_dual_cndmask_b32 v13, v13, v24
	v_dual_cndmask_b32 v16, v12, v9, s0 :: v_dual_cndmask_b32 v12, v13, v12, s0
	v_dual_cndmask_b32 v9, v9, v15, s0 :: v_dual_sub_nc_u32 v13, 32, v5
	s_delay_alu instid0(VALU_DEP_2) | instskip(NEXT) | instid1(VALU_DEP_1)
	v_dual_cndmask_b32 v15, v15, v6, s0 :: v_dual_cndmask_b32 v12, v12, v16, s1
	v_dual_cndmask_b32 v16, v16, v9, s1 :: v_dual_cndmask_b32 v9, v9, v15, s1
	s_delay_alu instid0(VALU_DEP_1) | instskip(SKIP_2) | instid1(VALU_DEP_4)
	v_alignbit_b32 v17, v12, v16, v13
	v_cndmask_b32_e32 v14, v18, v14, vcc_lo
	v_cmp_eq_u32_e32 vcc_lo, 0, v5
	v_alignbit_b32 v18, v16, v9, v13
	s_delay_alu instid0(VALU_DEP_3) | instskip(NEXT) | instid1(VALU_DEP_2)
	v_dual_cndmask_b32 v5, v17, v12, vcc_lo :: v_dual_cndmask_b32 v6, v6, v14, s0
	v_cndmask_b32_e32 v12, v18, v16, vcc_lo
	s_delay_alu instid0(VALU_DEP_2) | instskip(NEXT) | instid1(VALU_DEP_1)
	v_bfe_u32 v14, v5, 29, 1
	v_sub_nc_u32_e32 v16, 0, v14
	s_delay_alu instid0(VALU_DEP_4) | instskip(NEXT) | instid1(VALU_DEP_4)
	v_cndmask_b32_e64 v6, v15, v6, s1
	v_alignbit_b32 v15, v5, v12, 30
	s_delay_alu instid0(VALU_DEP_2) | instskip(NEXT) | instid1(VALU_DEP_1)
	v_alignbit_b32 v13, v9, v6, v13
	v_dual_cndmask_b32 v9, v13, v9, vcc_lo :: v_dual_bitop2_b32 v15, v15, v16 bitop3:0x14
	s_delay_alu instid0(VALU_DEP_1) | instskip(NEXT) | instid1(VALU_DEP_2)
	v_clz_i32_u32_e32 v13, v15
	v_alignbit_b32 v12, v12, v9, 30
	s_delay_alu instid0(VALU_DEP_2) | instskip(SKIP_1) | instid1(VALU_DEP_2)
	v_min_u32_e32 v13, 32, v13
	v_alignbit_b32 v6, v9, v6, 30
	v_dual_sub_nc_u32 v12, 31, v13 :: v_dual_bitop2_b32 v9, v12, v16 bitop3:0x14
	s_delay_alu instid0(VALU_DEP_2) | instskip(SKIP_1) | instid1(VALU_DEP_3)
	v_dual_lshrrev_b32 v16, 29, v5 :: v_dual_bitop2_b32 v6, v6, v16 bitop3:0x14
	v_lshlrev_b32_e32 v17, 23, v13
	v_alignbit_b32 v15, v15, v9, v12
	s_delay_alu instid0(VALU_DEP_3) | instskip(NEXT) | instid1(VALU_DEP_4)
	v_alignbit_b32 v6, v9, v6, v12
	v_lshlrev_b32_e32 v9, 31, v16
	s_delay_alu instid0(VALU_DEP_2) | instskip(NEXT) | instid1(VALU_DEP_2)
	v_alignbit_b32 v12, v15, v6, 9
	v_dual_lshrrev_b32 v15, 9, v15 :: v_dual_bitop2_b32 v16, 0.5, v9 bitop3:0x54
	v_or_b32_e32 v9, 0x33000000, v9
	s_delay_alu instid0(VALU_DEP_3) | instskip(NEXT) | instid1(VALU_DEP_3)
	v_clz_i32_u32_e32 v18, v12
	v_sub_nc_u32_e32 v16, v16, v17
	s_delay_alu instid0(VALU_DEP_2) | instskip(NEXT) | instid1(VALU_DEP_1)
	v_min_u32_e32 v17, 32, v18
	v_add_lshl_u32 v13, v17, v13, 23
	s_delay_alu instid0(VALU_DEP_3) | instskip(SKIP_1) | instid1(VALU_DEP_2)
	v_or_b32_e32 v15, v15, v16
	v_not_b32_e32 v16, v17
	v_dual_mul_f32 v18, 0x3fc90fda, v15 :: v_dual_sub_nc_u32 v9, v9, v13
	s_delay_alu instid0(VALU_DEP_2) | instskip(NEXT) | instid1(VALU_DEP_2)
	v_alignbit_b32 v6, v12, v6, v16
	v_fma_f32 v12, 0x3fc90fda, v15, -v18
	s_delay_alu instid0(VALU_DEP_2) | instskip(NEXT) | instid1(VALU_DEP_2)
	v_lshrrev_b32_e32 v6, 9, v6
	v_fmamk_f32 v12, v15, 0x33a22168, v12
	s_delay_alu instid0(VALU_DEP_2) | instskip(NEXT) | instid1(VALU_DEP_1)
	v_or_b32_e32 v6, v9, v6
	v_fmac_f32_e32 v12, 0x3fc90fda, v6
	s_delay_alu instid0(VALU_DEP_1) | instskip(NEXT) | instid1(VALU_DEP_1)
	v_dual_add_f32 v5, v18, v12 :: v_dual_lshrrev_b32 v6, 30, v5
	v_add_nc_u32_e32 v6, v14, v6
	s_or_saveexec_b32 s0, s3
	v_mul_f32_e64 v13, 0x3f22f983, |v3|
	s_xor_b32 exec_lo, exec_lo, s0
	s_branch .LBB37_13
.LBB37_12:
	s_or_saveexec_b32 s0, s3
	v_mul_f32_e64 v13, 0x3f22f983, |v3|
	s_xor_b32 exec_lo, exec_lo, s0
.LBB37_13:
	s_delay_alu instid0(VALU_DEP_1) | instskip(NEXT) | instid1(VALU_DEP_1)
	v_rndne_f32_e32 v6, v13
	v_fma_f32 v5, 0xbfc90fda, v6, |v3|
	s_delay_alu instid0(VALU_DEP_1) | instskip(NEXT) | instid1(VALU_DEP_1)
	v_fmamk_f32 v5, v6, 0xb3a22168, v5
	v_fmamk_f32 v5, v6, 0xa7c234c4, v5
	v_cvt_i32_f32_e32 v6, v6
; %bb.14:
	s_or_b32 exec_lo, exec_lo, s0
                                        ; implicit-def: $vgpr12
                                        ; implicit-def: $vgpr9
	s_and_saveexec_b32 s0, s2
	s_delay_alu instid0(SALU_CYCLE_1)
	s_xor_b32 s2, exec_lo, s0
	s_cbranch_execz .LBB37_16
; %bb.15:
	s_mov_b32 s0, 0x7fffff
	v_mov_b32_e32 v13, 0
	v_and_or_b32 v12, v2, s0, 0x800000
	s_mov_b64 s[0:1], 0xfe5163ab
	s_delay_alu instid0(VALU_DEP_1) | instid1(SALU_CYCLE_1)
	v_mul_u64_e32 v[14:15], s[0:1], v[12:13]
	s_delay_alu instid0(VALU_DEP_1) | instskip(SKIP_2) | instid1(VALU_DEP_3)
	v_dual_mov_b32 v16, v15 :: v_dual_mov_b32 v17, v13
	v_dual_mov_b32 v19, v13 :: v_dual_mov_b32 v21, v13
	;; [unrolled: 1-line block ×3, first 2 shown]
	v_mad_nc_u64_u32 v[16:17], 0x3c439041, v12, v[16:17]
	v_add_nc_u32_e32 v15, 0xffffff88, v8
	s_delay_alu instid0(VALU_DEP_1) | instskip(NEXT) | instid1(VALU_DEP_3)
	v_cmp_lt_u32_e32 vcc_lo, 63, v15
	v_mov_b32_e32 v18, v17
	v_cndmask_b32_e64 v17, 0, 0xffffffc0, vcc_lo
	s_delay_alu instid0(VALU_DEP_2) | instskip(NEXT) | instid1(VALU_DEP_1)
	v_mad_nc_u64_u32 v[18:19], 0xdb629599, v12, v[18:19]
	v_dual_mov_b32 v20, v19 :: v_dual_cndmask_b32 v14, v18, v14, vcc_lo
	s_delay_alu instid0(VALU_DEP_1) | instskip(NEXT) | instid1(VALU_DEP_1)
	v_mad_nc_u64_u32 v[20:21], 0xf534ddc0, v12, v[20:21]
	v_mov_b32_e32 v22, v21
	s_delay_alu instid0(VALU_DEP_1) | instskip(NEXT) | instid1(VALU_DEP_1)
	v_mad_nc_u64_u32 v[22:23], 0xfc2757d1, v12, v[22:23]
	v_mov_b32_e32 v24, v23
	s_delay_alu instid0(VALU_DEP_1) | instskip(NEXT) | instid1(VALU_DEP_1)
	v_mad_nc_u64_u32 v[8:9], 0x4e441529, v12, v[24:25]
	v_dual_add_nc_u32 v15, v17, v15 :: v_dual_cndmask_b32 v17, v8, v20, vcc_lo
	s_delay_alu instid0(VALU_DEP_1) | instskip(NEXT) | instid1(VALU_DEP_3)
	v_cmp_lt_u32_e64 s0, 31, v15
	v_mov_b32_e32 v24, v9
	s_delay_alu instid0(VALU_DEP_2) | instskip(NEXT) | instid1(VALU_DEP_1)
	v_cndmask_b32_e64 v9, 0, 0xffffffe0, s0
	v_add_nc_u32_e32 v9, v9, v15
	s_delay_alu instid0(VALU_DEP_3) | instskip(NEXT) | instid1(VALU_DEP_2)
	v_mad_nc_u64_u32 v[12:13], 0xa2f9836e, v12, v[24:25]
	v_cmp_lt_u32_e64 s1, 31, v9
	s_delay_alu instid0(VALU_DEP_1) | instskip(NEXT) | instid1(VALU_DEP_3)
	v_cndmask_b32_e64 v15, 0, 0xffffffe0, s1
	v_dual_cndmask_b32 v12, v12, v22, vcc_lo :: v_dual_cndmask_b32 v8, v13, v8, vcc_lo
	s_delay_alu instid0(VALU_DEP_2) | instskip(SKIP_1) | instid1(VALU_DEP_3)
	v_dual_cndmask_b32 v13, v22, v18, vcc_lo :: v_dual_add_nc_u32 v9, v15, v9
	v_cndmask_b32_e32 v15, v20, v16, vcc_lo
	v_cndmask_b32_e64 v16, v12, v17, s0
	s_delay_alu instid0(VALU_DEP_3) | instskip(NEXT) | instid1(VALU_DEP_3)
	v_dual_cndmask_b32 v8, v8, v12, s0 :: v_dual_cndmask_b32 v12, v17, v13, s0
	v_dual_sub_nc_u32 v17, 32, v9 :: v_dual_cndmask_b32 v13, v13, v15, s0
	v_cmp_eq_u32_e32 vcc_lo, 0, v9
	s_delay_alu instid0(VALU_DEP_3) | instskip(NEXT) | instid1(VALU_DEP_4)
	v_cndmask_b32_e64 v8, v8, v16, s1
	v_dual_cndmask_b32 v16, v16, v12, s1 :: v_dual_cndmask_b32 v9, v15, v14, s0
	s_delay_alu instid0(VALU_DEP_1) | instskip(SKIP_1) | instid1(VALU_DEP_2)
	v_alignbit_b32 v19, v8, v16, v17
	v_cndmask_b32_e64 v12, v12, v13, s1
	v_dual_cndmask_b32 v9, v13, v9, s1 :: v_dual_cndmask_b32 v8, v19, v8, vcc_lo
	s_delay_alu instid0(VALU_DEP_2) | instskip(NEXT) | instid1(VALU_DEP_2)
	v_alignbit_b32 v18, v16, v12, v17
	v_alignbit_b32 v17, v12, v9, v17
	s_delay_alu instid0(VALU_DEP_3) | instskip(NEXT) | instid1(VALU_DEP_3)
	v_bfe_u32 v15, v8, 29, 1
	v_cndmask_b32_e32 v14, v18, v16, vcc_lo
	s_delay_alu instid0(VALU_DEP_2) | instskip(NEXT) | instid1(VALU_DEP_2)
	v_dual_cndmask_b32 v12, v17, v12, vcc_lo :: v_dual_sub_nc_u32 v16, 0, v15
	v_alignbit_b32 v13, v8, v14, 30
	s_delay_alu instid0(VALU_DEP_2) | instskip(SKIP_1) | instid1(VALU_DEP_3)
	v_alignbit_b32 v14, v14, v12, 30
	v_alignbit_b32 v9, v12, v9, 30
	v_xor_b32_e32 v13, v13, v16
	s_delay_alu instid0(VALU_DEP_2) | instskip(NEXT) | instid1(VALU_DEP_2)
	v_xor_b32_e32 v9, v9, v16
	v_clz_i32_u32_e32 v17, v13
	s_delay_alu instid0(VALU_DEP_1) | instskip(NEXT) | instid1(VALU_DEP_1)
	v_min_u32_e32 v17, 32, v17
	v_dual_lshlrev_b32 v18, 23, v17 :: v_dual_bitop2_b32 v12, v14, v16 bitop3:0x14
	v_sub_nc_u32_e32 v14, 31, v17
	s_delay_alu instid0(VALU_DEP_1) | instskip(SKIP_3) | instid1(VALU_DEP_2)
	v_alignbit_b32 v13, v13, v12, v14
	v_lshrrev_b32_e32 v16, 29, v8
	v_alignbit_b32 v9, v12, v9, v14
	v_lshrrev_b32_e32 v8, 30, v8
	v_alignbit_b32 v14, v13, v9, 9
	s_delay_alu instid0(VALU_DEP_4) | instskip(NEXT) | instid1(VALU_DEP_2)
	v_dual_lshrrev_b32 v13, 9, v13 :: v_dual_lshlrev_b32 v12, 31, v16
	v_clz_i32_u32_e32 v19, v14
	s_delay_alu instid0(VALU_DEP_2) | instskip(SKIP_1) | instid1(VALU_DEP_2)
	v_or_b32_e32 v16, 0.5, v12
	v_or_b32_e32 v12, 0x33000000, v12
	v_sub_nc_u32_e32 v16, v16, v18
	s_delay_alu instid0(VALU_DEP_4) | instskip(NEXT) | instid1(VALU_DEP_2)
	v_min_u32_e32 v18, 32, v19
	v_or_b32_e32 v13, v13, v16
	s_delay_alu instid0(VALU_DEP_2) | instskip(SKIP_1) | instid1(VALU_DEP_2)
	v_not_b32_e32 v16, v18
	v_add_lshl_u32 v17, v18, v17, 23
	v_alignbit_b32 v9, v14, v9, v16
	s_delay_alu instid0(VALU_DEP_2) | instskip(NEXT) | instid1(VALU_DEP_2)
	v_sub_nc_u32_e32 v12, v12, v17
	v_lshrrev_b32_e32 v9, 9, v9
	v_mul_f32_e32 v19, 0x3fc90fda, v13
	s_delay_alu instid0(VALU_DEP_2) | instskip(NEXT) | instid1(VALU_DEP_2)
	v_dual_add_nc_u32 v12, v15, v8 :: v_dual_bitop2_b32 v9, v12, v9 bitop3:0x54
	v_fma_f32 v14, 0x3fc90fda, v13, -v19
	s_delay_alu instid0(VALU_DEP_1) | instskip(NEXT) | instid1(VALU_DEP_1)
	v_fmamk_f32 v13, v13, 0x33a22168, v14
	v_fmac_f32_e32 v13, 0x3fc90fda, v9
	s_delay_alu instid0(VALU_DEP_1)
	v_add_f32_e32 v9, v19, v13
                                        ; implicit-def: $vgpr13
	s_and_not1_saveexec_b32 s0, s2
	s_cbranch_execnz .LBB37_17
	s_branch .LBB37_18
.LBB37_16:
	s_and_not1_saveexec_b32 s0, s2
.LBB37_17:
	v_rndne_f32_e32 v8, v13
	s_delay_alu instid0(VALU_DEP_1) | instskip(SKIP_1) | instid1(VALU_DEP_2)
	v_fma_f32 v9, 0xbfc90fda, v8, |v3|
	v_cvt_i32_f32_e32 v12, v8
	v_fmamk_f32 v9, v8, 0xb3a22168, v9
	s_delay_alu instid0(VALU_DEP_1)
	v_fmamk_f32 v9, v8, 0xa7c234c4, v9
.LBB37_18:
	s_or_b32 exec_lo, exec_lo, s0
	v_lshl_add_u64 v[0:1], v[0:1], 2, s[12:13]
	v_mul_f32_e32 v8, v5, v5
	s_mov_b32 s0, 0xb94c1982
	v_mul_f32_e32 v13, v9, v9
	s_mov_b32 s1, 0x37d75334
	global_load_b64 v[0:1], v[0:1], off
	v_fmaak_f32 v14, s0, v8, 0x3c0881c4
	v_xor_b32_e32 v2, v2, v3
	v_fmaak_f32 v16, s0, v13, 0x3c0881c4
	s_delay_alu instid0(VALU_DEP_1) | instskip(NEXT) | instid1(VALU_DEP_1)
	v_fmaak_f32 v16, v13, v16, 0xbe2aaa9d
	v_mul_f32_e32 v16, v13, v16
	s_delay_alu instid0(VALU_DEP_1) | instskip(NEXT) | instid1(VALU_DEP_1)
	v_dual_fmaak_f32 v14, v8, v14, 0xbe2aaa9d :: v_dual_fmac_f32 v9, v9, v16
	v_dual_fmaak_f32 v17, s1, v13, 0xbab64f3b :: v_dual_mul_f32 v14, v8, v14
	s_delay_alu instid0(VALU_DEP_1) | instskip(NEXT) | instid1(VALU_DEP_2)
	v_fmaak_f32 v17, v13, v17, 0x3d2aabf7
	v_fmac_f32_e32 v5, v5, v14
	v_fmaak_f32 v15, s1, v8, 0xbab64f3b
	v_dual_lshlrev_b32 v6, 30, v6 :: v_dual_bitop2_b32 v14, 1, v6 bitop3:0x40
	s_delay_alu instid0(VALU_DEP_4) | instskip(NEXT) | instid1(VALU_DEP_3)
	v_fmaak_f32 v17, v13, v17, 0xbf000004
	v_fmaak_f32 v15, v8, v15, 0x3d2aabf7
	s_delay_alu instid0(VALU_DEP_3) | instskip(NEXT) | instid1(VALU_DEP_3)
	v_cmp_eq_u32_e32 vcc_lo, 0, v14
	v_fma_f32 v13, v13, v17, 1.0
	s_delay_alu instid0(VALU_DEP_3) | instskip(NEXT) | instid1(VALU_DEP_1)
	v_fmaak_f32 v15, v8, v15, 0xbf000004
	v_fma_f32 v8, v8, v15, 1.0
	v_dual_lshlrev_b32 v12, 30, v12 :: v_dual_bitop2_b32 v15, 1, v12 bitop3:0x40
	s_delay_alu instid0(VALU_DEP_2) | instskip(NEXT) | instid1(VALU_DEP_2)
	v_cndmask_b32_e64 v5, -v5, v8, vcc_lo
	v_cmp_eq_u32_e32 vcc_lo, 0, v15
	s_delay_alu instid0(VALU_DEP_2) | instskip(SKIP_3) | instid1(VALU_DEP_2)
	v_bitop3_b32 v5, v6, v5, 0x80000000 bitop3:0x6c
	v_cndmask_b32_e32 v8, v13, v9, vcc_lo
	v_and_b32_e32 v9, 0x80000000, v12
	v_cmp_class_f32_e64 vcc_lo, v3, 0x1f8
	v_xor3_b32 v2, v2, v9, v8
	v_cndmask_b32_e32 v3, 0x7fc00000, v5, vcc_lo
	s_delay_alu instid0(VALU_DEP_2) | instskip(NEXT) | instid1(VALU_DEP_1)
	v_cndmask_b32_e32 v2, 0x7fc00000, v2, vcc_lo
	v_dual_mul_f32 v2, v2, -v4 :: v_dual_mul_f32 v4, v4, v3
	s_wait_loadcnt 0x0
	s_delay_alu instid0(VALU_DEP_1) | instskip(NEXT) | instid1(VALU_DEP_2)
	v_pk_mul_f32 v[8:9], v[0:1], v[2:3] op_sel:[1,0] op_sel_hi:[0,0]
	v_pk_mul_f32 v[12:13], v[4:5], v[0:1] op_sel_hi:[0,1]
	s_delay_alu instid0(VALU_DEP_2) | instskip(NEXT) | instid1(VALU_DEP_2)
	v_pk_fma_f32 v[2:3], v[4:5], v[0:1], v[8:9] op_sel_hi:[0,1,1]
	v_sub_f32_e32 v2, v12, v8
.LBB37_19:
	s_or_b32 exec_lo, exec_lo, s11
	v_mul_lo_u32 v0, v11, s10
	s_wait_loadcnt 0x0
	v_cvt_f16_f32_e32 v1, v3
	v_cvt_f16_f32_e32 v2, v2
	s_delay_alu instid0(VALU_DEP_1) | instskip(NEXT) | instid1(VALU_DEP_4)
	v_and_b32_e32 v2, 0xffff, v2
	v_add3_u32 v0, v0, v10, v7
	s_delay_alu instid0(VALU_DEP_1) | instskip(NEXT) | instid1(VALU_DEP_1)
	v_dual_lshlrev_b32 v3, 16, v1 :: v_dual_ashrrev_i32 v1, 31, v0
	v_or_b32_e32 v2, v3, v2
	s_wait_kmcnt 0x0
	s_delay_alu instid0(VALU_DEP_2)
	v_lshl_add_u64 v[0:1], v[0:1], 1, s[14:15]
	global_store_b32 v[0:1], v2, off
.LBB37_20:
	s_endpgm
	.section	.rodata,"a",@progbits
	.p2align	6, 0x0
	.amdhsa_kernel _ZL9rope_normILb0ELb1Ef6__halfEvPKT1_PT2_iiiiiiiiiiPKifff14rope_corr_dimsfPKfPKli
		.amdhsa_group_segment_fixed_size 0
		.amdhsa_private_segment_fixed_size 0
		.amdhsa_kernarg_size 368
		.amdhsa_user_sgpr_count 2
		.amdhsa_user_sgpr_dispatch_ptr 0
		.amdhsa_user_sgpr_queue_ptr 0
		.amdhsa_user_sgpr_kernarg_segment_ptr 1
		.amdhsa_user_sgpr_dispatch_id 0
		.amdhsa_user_sgpr_kernarg_preload_length 0
		.amdhsa_user_sgpr_kernarg_preload_offset 0
		.amdhsa_user_sgpr_private_segment_size 0
		.amdhsa_wavefront_size32 1
		.amdhsa_uses_dynamic_stack 0
		.amdhsa_enable_private_segment 0
		.amdhsa_system_sgpr_workgroup_id_x 1
		.amdhsa_system_sgpr_workgroup_id_y 1
		.amdhsa_system_sgpr_workgroup_id_z 0
		.amdhsa_system_sgpr_workgroup_info 0
		.amdhsa_system_vgpr_workitem_id 1
		.amdhsa_next_free_vgpr 28
		.amdhsa_next_free_sgpr 20
		.amdhsa_named_barrier_count 0
		.amdhsa_reserve_vcc 1
		.amdhsa_float_round_mode_32 0
		.amdhsa_float_round_mode_16_64 0
		.amdhsa_float_denorm_mode_32 3
		.amdhsa_float_denorm_mode_16_64 3
		.amdhsa_fp16_overflow 0
		.amdhsa_memory_ordered 1
		.amdhsa_forward_progress 1
		.amdhsa_inst_pref_size 38
		.amdhsa_round_robin_scheduling 0
		.amdhsa_exception_fp_ieee_invalid_op 0
		.amdhsa_exception_fp_denorm_src 0
		.amdhsa_exception_fp_ieee_div_zero 0
		.amdhsa_exception_fp_ieee_overflow 0
		.amdhsa_exception_fp_ieee_underflow 0
		.amdhsa_exception_fp_ieee_inexact 0
		.amdhsa_exception_int_div_zero 0
	.end_amdhsa_kernel
	.section	.text._ZL9rope_normILb0ELb1Ef6__halfEvPKT1_PT2_iiiiiiiiiiPKifff14rope_corr_dimsfPKfPKli,"axG",@progbits,_ZL9rope_normILb0ELb1Ef6__halfEvPKT1_PT2_iiiiiiiiiiPKifff14rope_corr_dimsfPKfPKli,comdat
.Lfunc_end37:
	.size	_ZL9rope_normILb0ELb1Ef6__halfEvPKT1_PT2_iiiiiiiiiiPKifff14rope_corr_dimsfPKfPKli, .Lfunc_end37-_ZL9rope_normILb0ELb1Ef6__halfEvPKT1_PT2_iiiiiiiiiiPKifff14rope_corr_dimsfPKfPKli
                                        ; -- End function
	.set _ZL9rope_normILb0ELb1Ef6__halfEvPKT1_PT2_iiiiiiiiiiPKifff14rope_corr_dimsfPKfPKli.num_vgpr, 28
	.set _ZL9rope_normILb0ELb1Ef6__halfEvPKT1_PT2_iiiiiiiiiiPKifff14rope_corr_dimsfPKfPKli.num_agpr, 0
	.set _ZL9rope_normILb0ELb1Ef6__halfEvPKT1_PT2_iiiiiiiiiiPKifff14rope_corr_dimsfPKfPKli.numbered_sgpr, 20
	.set _ZL9rope_normILb0ELb1Ef6__halfEvPKT1_PT2_iiiiiiiiiiPKifff14rope_corr_dimsfPKfPKli.num_named_barrier, 0
	.set _ZL9rope_normILb0ELb1Ef6__halfEvPKT1_PT2_iiiiiiiiiiPKifff14rope_corr_dimsfPKfPKli.private_seg_size, 0
	.set _ZL9rope_normILb0ELb1Ef6__halfEvPKT1_PT2_iiiiiiiiiiPKifff14rope_corr_dimsfPKfPKli.uses_vcc, 1
	.set _ZL9rope_normILb0ELb1Ef6__halfEvPKT1_PT2_iiiiiiiiiiPKifff14rope_corr_dimsfPKfPKli.uses_flat_scratch, 0
	.set _ZL9rope_normILb0ELb1Ef6__halfEvPKT1_PT2_iiiiiiiiiiPKifff14rope_corr_dimsfPKfPKli.has_dyn_sized_stack, 0
	.set _ZL9rope_normILb0ELb1Ef6__halfEvPKT1_PT2_iiiiiiiiiiPKifff14rope_corr_dimsfPKfPKli.has_recursion, 0
	.set _ZL9rope_normILb0ELb1Ef6__halfEvPKT1_PT2_iiiiiiiiiiPKifff14rope_corr_dimsfPKfPKli.has_indirect_call, 0
	.section	.AMDGPU.csdata,"",@progbits
; Kernel info:
; codeLenInByte = 4760
; TotalNumSgprs: 22
; NumVgprs: 28
; ScratchSize: 0
; MemoryBound: 0
; FloatMode: 240
; IeeeMode: 1
; LDSByteSize: 0 bytes/workgroup (compile time only)
; SGPRBlocks: 0
; VGPRBlocks: 1
; NumSGPRsForWavesPerEU: 22
; NumVGPRsForWavesPerEU: 28
; NamedBarCnt: 0
; Occupancy: 16
; WaveLimiterHint : 0
; COMPUTE_PGM_RSRC2:SCRATCH_EN: 0
; COMPUTE_PGM_RSRC2:USER_SGPR: 2
; COMPUTE_PGM_RSRC2:TRAP_HANDLER: 0
; COMPUTE_PGM_RSRC2:TGID_X_EN: 1
; COMPUTE_PGM_RSRC2:TGID_Y_EN: 1
; COMPUTE_PGM_RSRC2:TGID_Z_EN: 0
; COMPUTE_PGM_RSRC2:TIDIG_COMP_CNT: 1
	.section	.text._ZL9rope_normILb0ELb0E6__halfS0_EvPKT1_PT2_iiiiiiiiiiPKifff14rope_corr_dimsfPKfPKli,"axG",@progbits,_ZL9rope_normILb0ELb0E6__halfS0_EvPKT1_PT2_iiiiiiiiiiPKifff14rope_corr_dimsfPKfPKli,comdat
	.globl	_ZL9rope_normILb0ELb0E6__halfS0_EvPKT1_PT2_iiiiiiiiiiPKifff14rope_corr_dimsfPKfPKli ; -- Begin function _ZL9rope_normILb0ELb0E6__halfS0_EvPKT1_PT2_iiiiiiiiiiPKifff14rope_corr_dimsfPKfPKli
	.p2align	8
	.type	_ZL9rope_normILb0ELb0E6__halfS0_EvPKT1_PT2_iiiiiiiiiiPKifff14rope_corr_dimsfPKfPKli,@function
_ZL9rope_normILb0ELb0E6__halfS0_EvPKT1_PT2_iiiiiiiiiiPKifff14rope_corr_dimsfPKfPKli: ; @_ZL9rope_normILb0ELb0E6__halfS0_EvPKT1_PT2_iiiiiiiiiiPKifff14rope_corr_dimsfPKfPKli
; %bb.0:
	s_clause 0x1
	s_load_u16 s3, s[0:1], 0x7e
	s_load_b256 s[4:11], s[0:1], 0x10
	s_bfe_u32 s2, ttmp6, 0x40010
	s_bfe_u32 s13, ttmp6, 0x40004
	s_add_co_i32 s2, s2, 1
	v_bfe_u32 v1, v0, 10, 10
	s_mul_i32 s12, ttmp7, s2
	s_getreg_b32 s2, hwreg(HW_REG_IB_STS2, 6, 4)
	s_add_co_i32 s13, s13, s12
	s_cmp_eq_u32 s2, 0
	s_cselect_b32 s12, ttmp7, s13
	s_wait_kmcnt 0x0
	s_mul_i32 s12, s12, s3
	s_mov_b32 s3, exec_lo
	v_add_lshl_u32 v4, s12, v1, 1
	s_delay_alu instid0(VALU_DEP_1)
	v_cmpx_gt_i32_e64 s4, v4
	s_cbranch_execz .LBB38_20
; %bb.1:
	s_add_nc_u64 s[12:13], s[0:1], 0x70
	s_bfe_u32 s4, ttmp6, 0x4000c
	s_load_b32 s3, s[12:13], 0xc
	s_add_co_i32 s4, s4, 1
	s_wait_xcnt 0x0
	s_and_b32 s12, ttmp6, 15
	s_mul_i32 s4, ttmp9, s4
	v_and_b32_e32 v0, 0x3ff, v0
	s_add_co_i32 s12, s12, s4
	s_wait_kmcnt 0x0
	s_and_b32 s3, s3, 0xffff
	s_cmp_eq_u32 s2, 0
	s_mul_i32 s2, s6, s5
	s_cselect_b32 s4, ttmp9, s12
	s_abs_i32 s6, s2
	v_mad_u32 v2, s4, s3, v0
	s_cvt_f32_u32 s12, s6
	s_sub_co_i32 s4, 0, s6
	s_delay_alu instid0(SALU_CYCLE_2) | instskip(NEXT) | instid1(VALU_DEP_1)
	v_rcp_iflag_f32_e32 v1, s12
	v_sub_nc_u32_e32 v0, 0, v2
	s_delay_alu instid0(TRANS32_DEP_1) | instskip(NEXT) | instid1(VALU_DEP_2)
	v_readfirstlane_b32 s3, v1
	v_max_i32_e32 v0, v2, v0
	s_mul_f32 s3, s3, 0x4f7ffffe
	s_delay_alu instid0(SALU_CYCLE_3) | instskip(NEXT) | instid1(SALU_CYCLE_3)
	s_cvt_u32_f32 s3, s3
	s_mul_i32 s4, s4, s3
	s_delay_alu instid0(SALU_CYCLE_1) | instskip(NEXT) | instid1(SALU_CYCLE_1)
	s_mul_hi_u32 s4, s3, s4
	s_add_co_i32 s3, s3, s4
	s_load_b32 s4, s[0:1], 0x68
	v_mul_hi_u32 v1, v0, s3
	s_cvt_f32_u32 s3, s5
	s_delay_alu instid0(VALU_DEP_1) | instskip(NEXT) | instid1(VALU_DEP_1)
	v_mul_lo_u32 v3, v1, s6
	v_dual_sub_nc_u32 v0, v0, v3 :: v_dual_add_nc_u32 v3, 1, v1
	s_delay_alu instid0(VALU_DEP_1) | instskip(NEXT) | instid1(VALU_DEP_2)
	v_cmp_le_u32_e32 vcc_lo, s6, v0
	v_dual_cndmask_b32 v1, v1, v3, vcc_lo :: v_dual_bitop2_b32 v3, s2, v2 bitop3:0x14
	v_subrev_nc_u32_e32 v5, s6, v0
	s_delay_alu instid0(VALU_DEP_1) | instskip(NEXT) | instid1(VALU_DEP_3)
	v_dual_cndmask_b32 v0, v0, v5 :: v_dual_ashrrev_i32 v3, 31, v3
	v_add_nc_u32_e32 v5, 1, v1
	s_delay_alu instid0(VALU_DEP_2) | instskip(NEXT) | instid1(VALU_DEP_2)
	v_cmp_le_u32_e32 vcc_lo, s6, v0
	v_cndmask_b32_e32 v0, v1, v5, vcc_lo
	v_rcp_iflag_f32_e32 v1, s3
	s_delay_alu instid0(VALU_DEP_1) | instskip(NEXT) | instid1(TRANS32_DEP_1)
	v_xor_b32_e32 v0, v0, v3
	v_readfirstlane_b32 s3, v1
	s_delay_alu instid0(VALU_DEP_2) | instskip(NEXT) | instid1(VALU_DEP_1)
	v_sub_nc_u32_e32 v0, v0, v3
	v_mul_lo_u32 v1, s2, v0
	s_mul_f32 s2, s3, 0x4f7ffffe
	s_sub_co_i32 s3, 0, s5
	s_delay_alu instid0(SALU_CYCLE_2) | instskip(NEXT) | instid1(SALU_CYCLE_3)
	s_cvt_u32_f32 s2, s2
	s_mul_i32 s3, s3, s2
	s_delay_alu instid0(VALU_DEP_1) | instskip(SKIP_1) | instid1(SALU_CYCLE_1)
	v_sub_nc_u32_e32 v1, v2, v1
	s_mul_hi_u32 s3, s2, s3
	s_add_co_i32 s2, s2, s3
	s_delay_alu instid0(VALU_DEP_1) | instid1(SALU_CYCLE_1)
	v_mul_hi_u32 v2, v1, s2
	s_load_b64 s[2:3], s[0:1], 0x30
	s_wait_kmcnt 0x0
	s_cmp_eq_u32 s4, 0
	s_delay_alu instid0(VALU_DEP_1) | instskip(NEXT) | instid1(VALU_DEP_1)
	v_mul_lo_u32 v3, v2, s5
	v_dual_add_nc_u32 v5, 1, v2 :: v_dual_sub_nc_u32 v3, v1, v3
	s_delay_alu instid0(VALU_DEP_1) | instskip(SKIP_1) | instid1(VALU_DEP_2)
	v_subrev_nc_u32_e32 v6, s5, v3
	v_cmp_le_u32_e32 vcc_lo, s5, v3
	v_dual_cndmask_b32 v2, v2, v5 :: v_dual_cndmask_b32 v3, v3, v6
	s_delay_alu instid0(VALU_DEP_1) | instskip(NEXT) | instid1(VALU_DEP_2)
	v_add_nc_u32_e32 v5, 1, v2
	v_cmp_le_u32_e32 vcc_lo, s5, v3
	s_delay_alu instid0(VALU_DEP_2)
	v_cndmask_b32_e32 v2, v2, v5, vcc_lo
	s_cbranch_scc1 .LBB38_3
; %bb.2:
	s_load_b64 s[12:13], s[0:1], 0x60
	v_mov_b32_e32 v3, 0
	s_wait_kmcnt 0x0
	s_delay_alu instid0(VALU_DEP_1)
	v_lshl_add_u64 v[6:7], v[2:3], 3, s[12:13]
	global_load_b32 v3, v[6:7], off
	s_wait_loadcnt 0x0
	v_mul_lo_u32 v5, s4, v3
	s_branch .LBB38_4
.LBB38_3:
	v_mul_lo_u32 v3, v0, s2
	s_delay_alu instid0(VALU_DEP_1)
	v_mad_u32 v5, v2, s11, v3
.LBB38_4:
	v_mad_u32 v0, v0, s9, v4
	v_mul_lo_u32 v3, v2, s5
	s_load_b128 s[12:15], s[0:1], 0x0
	s_mov_b32 s2, exec_lo
	s_delay_alu instid0(VALU_DEP_2) | instskip(NEXT) | instid1(VALU_DEP_2)
	v_mad_u32 v0, v2, s8, v0
	v_sub_nc_u32_e32 v6, v1, v3
                                        ; implicit-def: $vgpr3
	s_delay_alu instid0(VALU_DEP_1) | instskip(NEXT) | instid1(VALU_DEP_1)
	v_mad_u32 v0, v6, s7, v0
	v_ashrrev_i32_e32 v1, 31, v0
	v_cmpx_le_i32_e64 s3, v4
	s_xor_b32 s2, exec_lo, s2
	s_cbranch_execz .LBB38_6
; %bb.5:
	s_wait_kmcnt 0x0
	v_lshl_add_u64 v[0:1], v[0:1], 1, s[12:13]
                                        ; implicit-def: $vgpr2
	global_load_b32 v3, v[0:1], off
                                        ; implicit-def: $vgpr0
.LBB38_6:
	s_wait_xcnt 0x0
	s_and_not1_saveexec_b32 s5, s2
	s_cbranch_execz .LBB38_19
; %bb.7:
	s_load_b64 s[6:7], s[0:1], 0x50
	s_wait_loadcnt 0x0
	v_cvt_f32_i32_e32 v3, v4
	s_mov_b32 s4, 0x3e76c4e1
	s_clause 0x1
	s_load_b64 s[2:3], s[0:1], 0x38
	s_load_b128 s[16:19], s[0:1], 0x40
	v_mul_f32_e32 v3, 0.5, v3
	s_wait_kmcnt 0x0
	s_cmp_neq_f32 s7, 1.0
	global_load_b32 v24, v2, s[2:3] scale_offset
	s_cselect_b32 vcc_lo, -1, 0
	v_cndmask_b32_e32 v7, 1.0, v3, vcc_lo
	s_delay_alu instid0(VALU_DEP_1) | instskip(SKIP_1) | instid1(VALU_DEP_1)
	v_cmp_neq_f32_e32 vcc_lo, 0, v7
	v_cndmask_b32_e64 v3, 1.0, s7, vcc_lo
	v_frexp_mant_f32_e64 v8, |v3|
	v_cmp_lt_f32_e64 s8, |v3|, 1.0
	v_cmp_class_f32_e64 s0, v3, 0x204
	s_delay_alu instid0(VALU_DEP_3) | instskip(SKIP_1) | instid1(VALU_DEP_1)
	v_cmp_gt_f32_e32 vcc_lo, 0x3f2aaaab, v8
	v_cndmask_b32_e64 v9, 1.0, 2.0, vcc_lo
	v_mul_f32_e32 v8, v8, v9
	s_delay_alu instid0(VALU_DEP_1) | instskip(SKIP_1) | instid1(VALU_DEP_2)
	v_dual_add_f32 v11, 1.0, v8 :: v_dual_add_f32 v9, -1.0, v8
	v_cmp_neq_f32_e64 s7, v7, |v7|
	v_rcp_f32_e32 v14, v11
	v_add_f32_e32 v12, -1.0, v11
	s_xor_b32 s7, s7, s8
	s_delay_alu instid0(TRANS32_DEP_1) | instid1(VALU_DEP_1)
	v_dual_sub_f32 v8, v8, v12 :: v_dual_mul_f32 v15, v9, v14
	s_delay_alu instid0(VALU_DEP_1) | instskip(NEXT) | instid1(VALU_DEP_1)
	v_mul_f32_e32 v10, v11, v15
	v_fma_f32 v12, v15, v11, -v10
	s_delay_alu instid0(VALU_DEP_1) | instskip(NEXT) | instid1(VALU_DEP_1)
	v_fmac_f32_e32 v12, v15, v8
	v_add_f32_e32 v8, v10, v12
	s_delay_alu instid0(VALU_DEP_1) | instskip(NEXT) | instid1(VALU_DEP_1)
	v_dual_sub_f32 v11, v9, v8 :: v_dual_mov_b32 v13, v8
	v_pk_add_f32 v[8:9], v[8:9], v[10:11] neg_lo:[0,1] neg_hi:[0,1]
	s_delay_alu instid0(VALU_DEP_1) | instskip(NEXT) | instid1(VALU_DEP_1)
	v_pk_add_f32 v[8:9], v[8:9], v[12:13] neg_lo:[0,1] neg_hi:[0,1]
	v_add_f32_e32 v8, v8, v9
	s_delay_alu instid0(VALU_DEP_1) | instskip(NEXT) | instid1(VALU_DEP_1)
	v_add_f32_e32 v8, v11, v8
	v_mul_f32_e32 v9, v14, v8
	s_delay_alu instid0(VALU_DEP_1) | instskip(NEXT) | instid1(VALU_DEP_1)
	v_add_f32_e32 v8, v15, v9
	v_sub_f32_e32 v10, v8, v15
	s_delay_alu instid0(VALU_DEP_1) | instskip(NEXT) | instid1(VALU_DEP_1)
	v_sub_f32_e32 v20, v9, v10
	v_add_f32_e32 v10, v20, v20
	v_mul_f32_e32 v11, v8, v8
	s_delay_alu instid0(VALU_DEP_1) | instskip(NEXT) | instid1(VALU_DEP_1)
	v_fma_f32 v9, v8, v8, -v11
	v_fmac_f32_e32 v9, v8, v10
	s_delay_alu instid0(VALU_DEP_1) | instskip(NEXT) | instid1(VALU_DEP_1)
	v_add_f32_e32 v10, v11, v9
	v_dual_fmaak_f32 v12, s4, v10, 0x3e91f4c4 :: v_dual_sub_f32 v11, v10, v11
	v_cmp_eq_f32_e64 s4, 0, v3
	s_delay_alu instid0(VALU_DEP_2) | instskip(SKIP_1) | instid1(VALU_DEP_2)
	v_fmaak_f32 v14, v10, v12, 0x3ecccdef
	v_cvt_f64_f32_e64 v[12:13], |v3|
	v_dual_sub_f32 v18, v9, v11 :: v_dual_mul_f32 v15, v10, v14
	s_delay_alu instid0(VALU_DEP_1) | instskip(NEXT) | instid1(VALU_DEP_1)
	v_fma_f32 v9, v10, v14, -v15
	v_fmac_f32_e32 v9, v18, v14
	s_wait_xcnt 0x0
	s_delay_alu instid0(VALU_DEP_1) | instskip(NEXT) | instid1(VALU_DEP_1)
	v_add_f32_e32 v2, v15, v9
	v_sub_f32_e32 v11, v2, v15
	v_add_f32_e32 v15, 0x3f2aaaaa, v2
	s_delay_alu instid0(VALU_DEP_2) | instskip(NEXT) | instid1(VALU_DEP_2)
	v_sub_f32_e32 v9, v9, v11
	v_add_f32_e32 v11, 0xbf2aaaaa, v15
	v_frexp_exp_i32_f64_e32 v19, v[12:13]
	s_delay_alu instid0(VALU_DEP_3) | instskip(NEXT) | instid1(VALU_DEP_3)
	v_add_f32_e32 v9, 0x31739010, v9
	v_sub_f32_e32 v11, v2, v11
	s_delay_alu instid0(VALU_DEP_1) | instskip(NEXT) | instid1(VALU_DEP_1)
	v_pk_mul_f32 v[12:13], v[8:9], v[10:11]
	v_fma_f32 v14, v10, v8, -v12
	s_delay_alu instid0(VALU_DEP_1) | instskip(NEXT) | instid1(VALU_DEP_1)
	v_fmac_f32_e32 v14, v10, v20
	v_fmac_f32_e32 v14, v18, v8
	v_pk_add_f32 v[16:17], v[8:9], v[10:11]
	s_delay_alu instid0(VALU_DEP_1) | instskip(SKIP_1) | instid1(VALU_DEP_2)
	v_mov_b32_e32 v13, v17
	v_subrev_co_ci_u32_e64 v9, null, 0, v19, vcc_lo
	v_pk_add_f32 v[10:11], v[12:13], v[14:15]
	s_delay_alu instid0(VALU_DEP_1) | instskip(NEXT) | instid1(VALU_DEP_1)
	v_mov_b32_e32 v2, v11
	v_pk_mul_f32 v[18:19], v[10:11], v[2:3]
	v_sub_f32_e32 v13, v15, v11
	v_cvt_f32_i32_e32 v2, v9
	s_delay_alu instid0(VALU_DEP_3) | instskip(NEXT) | instid1(VALU_DEP_2)
	v_dual_sub_f32 v9, v10, v12 :: v_dual_fma_f32 v12, v10, v11, -v18
	v_dual_add_f32 v13, v17, v13 :: v_dual_mul_f32 v16, 0x3f317218, v2
	s_delay_alu instid0(VALU_DEP_2) | instskip(NEXT) | instid1(VALU_DEP_2)
	v_sub_f32_e32 v9, v14, v9
	v_fmac_f32_e32 v12, v10, v13
	s_delay_alu instid0(VALU_DEP_3) | instskip(NEXT) | instid1(VALU_DEP_2)
	v_fma_f32 v10, 0x3f317218, v2, -v16
	v_fmac_f32_e32 v12, v9, v11
	v_ldexp_f32 v11, v8, 1
	s_delay_alu instid0(VALU_DEP_2) | instskip(NEXT) | instid1(VALU_DEP_2)
	v_add_f32_e32 v17, v18, v12
	v_dual_fmamk_f32 v10, v2, 0xb102e308, v10 :: v_dual_mov_b32 v19, v11
	v_ldexp_f32 v2, v20, 1
	s_delay_alu instid0(VALU_DEP_3) | instskip(NEXT) | instid1(VALU_DEP_3)
	v_mov_b32_e32 v13, v17
	v_pk_add_f32 v[8:9], v[16:17], v[10:11]
	s_delay_alu instid0(VALU_DEP_1) | instskip(SKIP_1) | instid1(VALU_DEP_1)
	v_dual_mov_b32 v15, v9 :: v_dual_mov_b32 v11, v8
	v_dual_mov_b32 v14, v17 :: v_dual_mov_b32 v22, v9
	v_pk_add_f32 v[14:15], v[14:15], v[18:19] neg_lo:[0,1] neg_hi:[0,1]
	s_delay_alu instid0(VALU_DEP_1) | instskip(NEXT) | instid1(VALU_DEP_1)
	v_pk_add_f32 v[12:13], v[12:13], v[14:15] neg_lo:[0,1] neg_hi:[0,1]
	v_add_f32_e32 v2, v2, v12
	s_delay_alu instid0(VALU_DEP_1) | instskip(NEXT) | instid1(VALU_DEP_1)
	v_add_f32_e32 v17, v2, v13
	v_pk_add_f32 v[12:13], v[8:9], v[16:17]
	v_pk_add_f32 v[14:15], v[8:9], v[16:17] neg_lo:[0,1] neg_hi:[0,1]
	s_delay_alu instid0(VALU_DEP_2) | instskip(NEXT) | instid1(VALU_DEP_1)
	v_mov_b32_e32 v15, v13
	v_pk_add_f32 v[18:19], v[10:11], v[14:15]
	v_pk_add_f32 v[10:11], v[10:11], v[14:15] neg_lo:[0,1] neg_hi:[0,1]
	s_delay_alu instid0(VALU_DEP_2) | instskip(NEXT) | instid1(VALU_DEP_1)
	v_dual_mov_b32 v2, v19 :: v_dual_mov_b32 v11, v19
	v_pk_add_f32 v[20:21], v[2:3], v[8:9] neg_lo:[0,1] neg_hi:[0,1]
	v_dual_mov_b32 v18, v13 :: v_dual_mov_b32 v9, v8
	s_delay_alu instid0(VALU_DEP_2) | instskip(SKIP_1) | instid1(VALU_DEP_2)
	v_dual_mov_b32 v8, v17 :: v_dual_mov_b32 v23, v20
	v_mov_b32_e32 v17, v20
	v_pk_add_f32 v[14:15], v[18:19], v[22:23] neg_lo:[0,1] neg_hi:[0,1]
	s_delay_alu instid0(VALU_DEP_2) | instskip(SKIP_1) | instid1(VALU_DEP_3)
	v_pk_add_f32 v[12:13], v[12:13], v[16:17] neg_lo:[0,1] neg_hi:[0,1]
	v_mov_b32_e32 v12, v10
	v_pk_add_f32 v[8:9], v[8:9], v[14:15] neg_lo:[0,1] neg_hi:[0,1]
	s_delay_alu instid0(VALU_DEP_1) | instskip(NEXT) | instid1(VALU_DEP_1)
	v_pk_add_f32 v[12:13], v[12:13], v[8:9]
	v_mov_b32_e32 v14, v13
	s_delay_alu instid0(VALU_DEP_1) | instskip(NEXT) | instid1(VALU_DEP_1)
	v_pk_add_f32 v[14:15], v[12:13], v[14:15]
	v_pk_add_f32 v[16:17], v[2:3], v[14:15]
	s_delay_alu instid0(VALU_DEP_1) | instskip(NEXT) | instid1(VALU_DEP_1)
	v_dual_mov_b32 v9, v14 :: v_dual_mov_b32 v13, v16
	v_pk_add_f32 v[18:19], v[12:13], v[10:11] neg_lo:[0,1] neg_hi:[0,1]
	s_delay_alu instid0(VALU_DEP_1) | instskip(NEXT) | instid1(VALU_DEP_2)
	v_sub_f32_e32 v2, v12, v18
	v_pk_add_f32 v[8:9], v[8:9], v[18:19] neg_lo:[0,1] neg_hi:[0,1]
	s_delay_alu instid0(VALU_DEP_2) | instskip(NEXT) | instid1(VALU_DEP_1)
	v_sub_f32_e32 v2, v10, v2
	v_add_f32_e32 v2, v8, v2
	s_delay_alu instid0(VALU_DEP_1) | instskip(NEXT) | instid1(VALU_DEP_1)
	v_add_f32_e32 v2, v2, v9
	v_add_f32_e32 v8, v16, v2
	s_delay_alu instid0(VALU_DEP_1) | instskip(NEXT) | instid1(VALU_DEP_1)
	v_sub_f32_e32 v9, v8, v16
	v_dual_sub_f32 v2, v2, v9 :: v_dual_mul_f32 v10, v7, v8
	s_delay_alu instid0(VALU_DEP_1) | instskip(SKIP_1) | instid1(VALU_DEP_2)
	v_fma_f32 v8, v7, v8, -v10
	v_cmp_class_f32_e64 vcc_lo, v10, 0x204
	v_fmac_f32_e32 v8, v7, v2
	s_delay_alu instid0(VALU_DEP_1) | instskip(NEXT) | instid1(VALU_DEP_1)
	v_add_f32_e32 v2, v10, v8
	v_cndmask_b32_e32 v9, v2, v10, vcc_lo
	s_delay_alu instid0(VALU_DEP_1) | instskip(SKIP_1) | instid1(VALU_DEP_1)
	v_cmp_eq_f32_e32 vcc_lo, 0x42b17218, v9
	v_cndmask_b32_e64 v11, 0, 0x37000000, vcc_lo
	v_sub_f32_e32 v12, v9, v11
	s_delay_alu instid0(VALU_DEP_1) | instskip(NEXT) | instid1(VALU_DEP_1)
	v_mul_f32_e32 v13, 0x3fb8aa3b, v12
	v_fma_f32 v14, 0x3fb8aa3b, v12, -v13
	v_rndne_f32_e32 v15, v13
	s_delay_alu instid0(VALU_DEP_1) | instskip(SKIP_3) | instid1(VALU_DEP_4)
	v_dual_fmamk_f32 v14, v12, 0x32a5705f, v14 :: v_dual_sub_f32 v13, v13, v15
	v_sub_f32_e32 v2, v2, v10
	v_cmp_neq_f32_e64 vcc_lo, 0x7f800000, |v9|
	v_trunc_f32_e32 v9, v7
	v_add_f32_e32 v13, v13, v14
	s_delay_alu instid0(VALU_DEP_4) | instskip(NEXT) | instid1(VALU_DEP_2)
	v_sub_f32_e32 v2, v8, v2
	v_exp_f32_e32 v10, v13
	v_nop
	v_cvt_i32_f32_e32 v13, v15
	s_delay_alu instid0(VALU_DEP_3)
	v_cndmask_b32_e32 v2, 0, v2, vcc_lo
	v_cmp_ngt_f32_e32 vcc_lo, 0xc2ce8ed0, v12
	s_delay_alu instid0(TRANS32_DEP_1) | instid1(VALU_DEP_3)
	v_ldexp_f32 v8, v10, v13
	s_delay_alu instid0(VALU_DEP_1) | instskip(NEXT) | instid1(VALU_DEP_1)
	v_dual_mul_f32 v10, 0.5, v7 :: v_dual_cndmask_b32 v8, 0, v8, vcc_lo
	v_trunc_f32_e32 v13, v10
	v_cmp_nlt_f32_e32 vcc_lo, 0x42b17218, v12
	s_delay_alu instid0(VALU_DEP_2) | instskip(NEXT) | instid1(VALU_DEP_4)
	v_cmp_neq_f32_e64 s2, v13, v10
	v_cndmask_b32_e32 v8, 0x7f800000, v8, vcc_lo
	v_cmp_eq_f32_e32 vcc_lo, v9, v7
	s_delay_alu instid0(VALU_DEP_2) | instskip(SKIP_1) | instid1(SALU_CYCLE_1)
	v_cmp_class_f32_e64 s3, v8, 0x204
	s_and_b32 s2, vcc_lo, s2
	v_dual_add_f32 v2, v11, v2 :: v_dual_cndmask_b32 v11, 0, v3, s2
	s_delay_alu instid0(VALU_DEP_1) | instskip(NEXT) | instid1(VALU_DEP_1)
	v_dual_cndmask_b32 v9, 1.0, v3, s2 :: v_dual_fma_f32 v2, v8, v2, v8
	v_cndmask_b32_e64 v2, v2, v8, s3
	v_cndmask_b32_e64 v8, 0x7f800000, 0, s7
	v_cmp_gt_f32_e64 s3, 0, v7
	s_delay_alu instid0(VALU_DEP_3) | instskip(SKIP_1) | instid1(SALU_CYCLE_1)
	v_bfi_b32 v2, 0x7fffffff, v2, v9
	s_xor_b32 s3, s3, s4
	v_cndmask_b32_e64 v9, 0x7f800000, 0, s3
	s_delay_alu instid0(VALU_DEP_2) | instskip(SKIP_1) | instid1(VALU_DEP_3)
	v_cndmask_b32_e32 v10, 0x7fc00000, v2, vcc_lo
	v_cmp_neq_f32_e64 vcc_lo, |v3|, 1.0
	v_bfi_b32 v9, 0x7fffffff, v9, v11
	v_cndmask_b32_e32 v8, 1.0, v8, vcc_lo
	v_cmp_gt_f32_e32 vcc_lo, 0, v3
	v_cndmask_b32_e32 v2, v2, v10, vcc_lo
	v_cmp_class_f32_e64 vcc_lo, v7, 0x204
	s_wait_loadcnt 0x0
	v_cvt_f32_i32_e32 v7, v24
	s_delay_alu instid0(VALU_DEP_3) | instskip(SKIP_2) | instid1(VALU_DEP_1)
	v_cndmask_b32_e32 v2, v2, v8, vcc_lo
	s_or_b32 vcc_lo, s4, s0
	s_cmp_eq_f32 s17, 0
	v_cndmask_b32_e32 v2, v2, v9, vcc_lo
	v_cmp_o_f32_e32 vcc_lo, v3, v3
	s_delay_alu instid0(VALU_DEP_2) | instskip(NEXT) | instid1(VALU_DEP_1)
	v_cndmask_b32_e32 v2, 0x7fc00000, v2, vcc_lo
	v_mul_f32_e32 v2, v2, v7
	s_delay_alu instid0(VALU_DEP_1)
	v_mul_f32_e32 v3, s16, v2
	s_cbranch_scc1 .LBB38_9
; %bb.8:
	v_ashrrev_i32_e32 v7, 1, v4
	s_sub_f32 s0, s6, s19
	v_div_scale_f32 v9, null, s16, s16, 1.0
	s_delay_alu instid0(SALU_CYCLE_2) | instskip(SKIP_4) | instid1(VALU_DEP_3)
	s_max_num_f32 s1, s0, 0x3a83126f
	v_cvt_f32_i32_e32 v7, v7
	v_rcp_f32_e32 v11, v9
	v_nop
	v_xor_b32_e32 v9, 0x80000000, v9
	v_subrev_f32_e32 v7, s19, v7
	s_delay_alu instid0(TRANS32_DEP_1) | instid1(VALU_DEP_2)
	v_fma_f32 v13, v9, v11, 1.0
	s_delay_alu instid0(VALU_DEP_2) | instskip(SKIP_1) | instid1(VALU_DEP_3)
	v_div_scale_f32 v8, null, s1, s1, v7
	v_div_scale_f32 v14, vcc_lo, v7, s1, v7
	v_fmac_f32_e32 v11, v13, v11
	s_delay_alu instid0(VALU_DEP_3) | instskip(SKIP_1) | instid1(TRANS32_DEP_1)
	v_rcp_f32_e32 v10, v8
	v_nop
	v_fma_f32 v12, -v8, v10, 1.0
	s_delay_alu instid0(VALU_DEP_1) | instskip(SKIP_1) | instid1(VALU_DEP_2)
	v_fmac_f32_e32 v10, v12, v10
	v_div_scale_f32 v12, s0, 1.0, s16, 1.0
	v_mul_f32_e32 v13, v14, v10
	s_delay_alu instid0(VALU_DEP_1) | instskip(NEXT) | instid1(VALU_DEP_3)
	v_fma_f32 v16, -v8, v13, v14
	v_mul_f32_e32 v15, v12, v11
	s_delay_alu instid0(VALU_DEP_1) | instskip(NEXT) | instid1(VALU_DEP_1)
	v_dual_fmac_f32 v13, v16, v10 :: v_dual_fma_f32 v17, v9, v15, v12
	v_dual_fma_f32 v8, -v8, v13, v14 :: v_dual_fmac_f32 v15, v17, v11
	s_delay_alu instid0(VALU_DEP_1) | instskip(NEXT) | instid1(VALU_DEP_2)
	v_div_fmas_f32 v8, v8, v10, v13
	v_fmac_f32_e32 v12, v9, v15
	s_mov_b32 vcc_lo, s0
	s_delay_alu instid0(VALU_DEP_2) | instskip(NEXT) | instid1(VALU_DEP_2)
	v_div_fixup_f32 v7, v8, s1, v7 clamp
	v_div_fmas_f32 v9, v12, v11, v15
	s_delay_alu instid0(VALU_DEP_2) | instskip(NEXT) | instid1(VALU_DEP_2)
	v_sub_f32_e32 v7, 1.0, v7
	v_div_fixup_f32 v9, v9, s16, 1.0
	s_delay_alu instid0(VALU_DEP_1) | instskip(SKIP_2) | instid1(SALU_CYCLE_1)
	v_readfirstlane_b32 s0, v9
	s_cmp_lt_f32 s0, 0x800000
	s_cselect_b32 s0, 0x4f800000, 1.0
	v_mul_f32_e32 v9, s0, v9
	s_cselect_b32 s0, 0x41b17218, 0
	s_delay_alu instid0(VALU_DEP_1) | instskip(SKIP_1) | instid1(TRANS32_DEP_1)
	v_log_f32_e32 v9, v9
	v_nop
	v_mul_f32_e32 v10, 0x3f317217, v9
	v_and_b32_e32 v8, 0x7fffffff, v9
	s_delay_alu instid0(VALU_DEP_2) | instskip(NEXT) | instid1(VALU_DEP_2)
	v_xor_b32_e32 v10, 0x80000000, v10
	v_cmp_gt_f32_e32 vcc_lo, 0x7f800000, v8
	s_delay_alu instid0(VALU_DEP_2) | instskip(NEXT) | instid1(VALU_DEP_1)
	v_fmac_f32_e32 v10, 0x3f317217, v9
	v_fmamk_f32 v10, v9, 0x3377d1cf, v10
	s_delay_alu instid0(VALU_DEP_1) | instskip(NEXT) | instid1(VALU_DEP_1)
	v_fmac_f32_e32 v10, 0x3f317217, v9
	v_dual_cndmask_b32 v10, v9, v10, vcc_lo :: v_dual_mul_f32 v8, s17, v7
	v_fma_f32 v9, -s17, v7, 1.0
	s_delay_alu instid0(VALU_DEP_2) | instskip(NEXT) | instid1(VALU_DEP_2)
	v_dual_mov_b32 v7, 1.0 :: v_dual_subrev_f32 v10, s0, v10
	v_pk_mul_f32 v[2:3], v[8:9], v[2:3]
	s_delay_alu instid0(VALU_DEP_2) | instskip(NEXT) | instid1(VALU_DEP_2)
	v_fmamk_f32 v7, v10, 0x3dcccccd, v7
	v_add_f32_e32 v3, v2, v3
	s_delay_alu instid0(VALU_DEP_2)
	v_mul_f32_e32 v7, s18, v7
	s_branch .LBB38_10
.LBB38_9:
	v_mov_b32_e32 v7, s18
.LBB38_10:
	s_delay_alu instid0(VALU_DEP_2) | instskip(SKIP_1) | instid1(VALU_DEP_2)
	v_and_b32_e32 v2, 0x7fffffff, v3
	v_cmp_ngt_f32_e64 s2, 0x48000000, |v3|
                                        ; implicit-def: $vgpr9
                                        ; implicit-def: $vgpr8
	v_lshrrev_b32_e32 v10, 23, v2
	s_and_saveexec_b32 s0, s2
	s_delay_alu instid0(SALU_CYCLE_1)
	s_xor_b32 s3, exec_lo, s0
	s_cbranch_execz .LBB38_12
; %bb.11:
	s_mov_b32 s0, 0x7fffff
	v_mov_b32_e32 v9, 0
	v_and_or_b32 v8, v2, s0, 0x800000
	s_mov_b64 s[0:1], 0xfe5163ab
	v_add_nc_u32_e32 v11, 0xffffff88, v10
	s_delay_alu instid0(VALU_DEP_2) | instskip(NEXT) | instid1(VALU_DEP_2)
	v_mul_u64_e32 v[12:13], s[0:1], v[8:9]
	v_cmp_lt_u32_e32 vcc_lo, 63, v11
	s_delay_alu instid0(VALU_DEP_2) | instskip(SKIP_2) | instid1(VALU_DEP_3)
	v_dual_mov_b32 v14, v13 :: v_dual_mov_b32 v15, v9
	v_dual_mov_b32 v17, v9 :: v_dual_mov_b32 v19, v9
	v_dual_mov_b32 v21, v9 :: v_dual_mov_b32 v23, v9
	v_mad_nc_u64_u32 v[14:15], 0x3c439041, v8, v[14:15]
	v_cndmask_b32_e64 v13, 0, 0xffffffc0, vcc_lo
	s_delay_alu instid0(VALU_DEP_2) | instskip(NEXT) | instid1(VALU_DEP_1)
	v_mov_b32_e32 v16, v15
	v_mad_nc_u64_u32 v[16:17], 0xdb629599, v8, v[16:17]
	s_delay_alu instid0(VALU_DEP_1) | instskip(NEXT) | instid1(VALU_DEP_1)
	v_dual_mov_b32 v18, v17 :: v_dual_cndmask_b32 v12, v16, v12, vcc_lo
	v_mad_nc_u64_u32 v[18:19], 0xf534ddc0, v8, v[18:19]
	s_delay_alu instid0(VALU_DEP_1) | instskip(NEXT) | instid1(VALU_DEP_1)
	v_mov_b32_e32 v20, v19
	v_mad_nc_u64_u32 v[20:21], 0xfc2757d1, v8, v[20:21]
	s_delay_alu instid0(VALU_DEP_1) | instskip(NEXT) | instid1(VALU_DEP_1)
	v_dual_mov_b32 v22, v21 :: v_dual_cndmask_b32 v17, v20, v16
	v_mad_nc_u64_u32 v[22:23], 0x4e441529, v8, v[22:23]
	v_add_nc_u32_e32 v11, v13, v11
	s_delay_alu instid0(VALU_DEP_2) | instskip(NEXT) | instid1(VALU_DEP_3)
	v_dual_mov_b32 v25, v9 :: v_dual_cndmask_b32 v15, v22, v18, vcc_lo
	v_mov_b32_e32 v24, v23
	s_delay_alu instid0(VALU_DEP_3) | instskip(NEXT) | instid1(VALU_DEP_2)
	v_cmp_lt_u32_e64 s0, 31, v11
	v_mad_nc_u64_u32 v[8:9], 0xa2f9836e, v8, v[24:25]
	s_delay_alu instid0(VALU_DEP_2) | instskip(NEXT) | instid1(VALU_DEP_1)
	v_cndmask_b32_e64 v13, 0, 0xffffffe0, s0
	v_dual_cndmask_b32 v8, v8, v20 :: v_dual_add_nc_u32 v11, v13, v11
	s_delay_alu instid0(VALU_DEP_1) | instskip(NEXT) | instid1(VALU_DEP_4)
	v_cmp_lt_u32_e64 s1, 31, v11
	v_cndmask_b32_e32 v9, v9, v22, vcc_lo
	s_delay_alu instid0(VALU_DEP_2) | instskip(NEXT) | instid1(VALU_DEP_1)
	v_cndmask_b32_e64 v13, 0, 0xffffffe0, s1
	v_dual_add_nc_u32 v11, v13, v11 :: v_dual_cndmask_b32 v13, v18, v14, vcc_lo
	s_delay_alu instid0(VALU_DEP_3) | instskip(NEXT) | instid1(VALU_DEP_2)
	v_dual_cndmask_b32 v14, v8, v15, s0 :: v_dual_cndmask_b32 v8, v9, v8, s0
	v_dual_cndmask_b32 v9, v15, v17, s0 :: v_dual_sub_nc_u32 v15, 32, v11
	s_delay_alu instid0(VALU_DEP_3) | instskip(SKIP_1) | instid1(VALU_DEP_3)
	v_cndmask_b32_e64 v17, v17, v13, s0
	v_cmp_eq_u32_e32 vcc_lo, 0, v11
	v_dual_cndmask_b32 v8, v8, v14, s1 :: v_dual_cndmask_b32 v14, v14, v9, s1
	s_delay_alu instid0(VALU_DEP_1) | instskip(NEXT) | instid1(VALU_DEP_1)
	v_alignbit_b32 v18, v8, v14, v15
	v_dual_cndmask_b32 v9, v9, v17, s1 :: v_dual_cndmask_b32 v8, v18, v8, vcc_lo
	s_delay_alu instid0(VALU_DEP_1) | instskip(SKIP_1) | instid1(VALU_DEP_3)
	v_alignbit_b32 v16, v14, v9, v15
	v_cndmask_b32_e64 v11, v13, v12, s0
	v_bfe_u32 v13, v8, 29, 1
	s_delay_alu instid0(VALU_DEP_2) | instskip(NEXT) | instid1(VALU_DEP_2)
	v_dual_cndmask_b32 v12, v16, v14, vcc_lo :: v_dual_cndmask_b32 v11, v17, v11, s1
	v_sub_nc_u32_e32 v16, 0, v13
	s_delay_alu instid0(VALU_DEP_2) | instskip(NEXT) | instid1(VALU_DEP_3)
	v_alignbit_b32 v14, v8, v12, 30
	v_alignbit_b32 v15, v9, v11, v15
	s_delay_alu instid0(VALU_DEP_1) | instskip(NEXT) | instid1(VALU_DEP_1)
	v_dual_cndmask_b32 v9, v15, v9, vcc_lo :: v_dual_bitop2_b32 v14, v14, v16 bitop3:0x14
	v_clz_i32_u32_e32 v15, v14
	s_delay_alu instid0(VALU_DEP_2) | instskip(SKIP_1) | instid1(VALU_DEP_3)
	v_alignbit_b32 v12, v12, v9, 30
	v_alignbit_b32 v9, v9, v11, 30
	v_min_u32_e32 v15, 32, v15
	s_delay_alu instid0(VALU_DEP_3) | instskip(NEXT) | instid1(VALU_DEP_3)
	v_xor_b32_e32 v11, v12, v16
	v_xor_b32_e32 v9, v9, v16
	s_delay_alu instid0(VALU_DEP_3) | instskip(SKIP_1) | instid1(VALU_DEP_1)
	v_dual_lshrrev_b32 v16, 29, v8 :: v_dual_lshlrev_b32 v17, 23, v15
	v_sub_nc_u32_e32 v12, 31, v15
	v_alignbit_b32 v14, v14, v11, v12
	s_delay_alu instid0(VALU_DEP_4) | instskip(NEXT) | instid1(VALU_DEP_4)
	v_alignbit_b32 v9, v11, v9, v12
	v_lshlrev_b32_e32 v11, 31, v16
	s_delay_alu instid0(VALU_DEP_2) | instskip(NEXT) | instid1(VALU_DEP_2)
	v_alignbit_b32 v12, v14, v9, 9
	v_dual_lshrrev_b32 v14, 9, v14 :: v_dual_bitop2_b32 v16, 0.5, v11 bitop3:0x54
	v_or_b32_e32 v11, 0x33000000, v11
	s_delay_alu instid0(VALU_DEP_3) | instskip(NEXT) | instid1(VALU_DEP_3)
	v_clz_i32_u32_e32 v18, v12
	v_sub_nc_u32_e32 v16, v16, v17
	s_delay_alu instid0(VALU_DEP_2) | instskip(NEXT) | instid1(VALU_DEP_1)
	v_min_u32_e32 v17, 32, v18
	v_add_lshl_u32 v15, v17, v15, 23
	s_delay_alu instid0(VALU_DEP_1) | instskip(SKIP_1) | instid1(VALU_DEP_1)
	v_dual_sub_nc_u32 v11, v11, v15 :: v_dual_bitop2_b32 v14, v14, v16 bitop3:0x54
	v_not_b32_e32 v16, v17
	v_alignbit_b32 v9, v12, v9, v16
	s_delay_alu instid0(VALU_DEP_1) | instskip(NEXT) | instid1(VALU_DEP_1)
	v_dual_mul_f32 v18, 0x3fc90fda, v14 :: v_dual_lshrrev_b32 v9, 9, v9
	v_or_b32_e32 v9, v11, v9
	s_delay_alu instid0(VALU_DEP_2) | instskip(NEXT) | instid1(VALU_DEP_1)
	v_fma_f32 v12, 0x3fc90fda, v14, -v18
	v_fmamk_f32 v12, v14, 0x33a22168, v12
	s_delay_alu instid0(VALU_DEP_1) | instskip(NEXT) | instid1(VALU_DEP_1)
	v_dual_fmac_f32 v12, 0x3fc90fda, v9 :: v_dual_lshrrev_b32 v9, 30, v8
	v_dual_add_f32 v8, v18, v12 :: v_dual_add_nc_u32 v9, v13, v9
	s_or_saveexec_b32 s0, s3
	v_mul_f32_e64 v13, 0x3f22f983, |v3|
	s_xor_b32 exec_lo, exec_lo, s0
	s_branch .LBB38_13
.LBB38_12:
	s_or_saveexec_b32 s0, s3
	v_mul_f32_e64 v13, 0x3f22f983, |v3|
	s_xor_b32 exec_lo, exec_lo, s0
.LBB38_13:
	s_delay_alu instid0(VALU_DEP_1) | instskip(NEXT) | instid1(VALU_DEP_1)
	v_rndne_f32_e32 v9, v13
	v_fma_f32 v8, 0xbfc90fda, v9, |v3|
	s_delay_alu instid0(VALU_DEP_1) | instskip(NEXT) | instid1(VALU_DEP_1)
	v_fmamk_f32 v8, v9, 0xb3a22168, v8
	v_fmamk_f32 v8, v9, 0xa7c234c4, v8
	v_cvt_i32_f32_e32 v9, v9
; %bb.14:
	s_or_b32 exec_lo, exec_lo, s0
                                        ; implicit-def: $vgpr12
                                        ; implicit-def: $vgpr11
	s_and_saveexec_b32 s0, s2
	s_delay_alu instid0(SALU_CYCLE_1)
	s_xor_b32 s2, exec_lo, s0
	s_cbranch_execz .LBB38_16
; %bb.15:
	s_mov_b32 s0, 0x7fffff
	v_mov_b32_e32 v13, 0
	v_and_or_b32 v12, v2, s0, 0x800000
	s_mov_b64 s[0:1], 0xfe5163ab
	s_delay_alu instid0(VALU_DEP_1) | instid1(SALU_CYCLE_1)
	v_mul_u64_e32 v[14:15], s[0:1], v[12:13]
	s_delay_alu instid0(VALU_DEP_1) | instskip(SKIP_2) | instid1(VALU_DEP_3)
	v_dual_mov_b32 v16, v15 :: v_dual_mov_b32 v17, v13
	v_dual_mov_b32 v19, v13 :: v_dual_mov_b32 v21, v13
	;; [unrolled: 1-line block ×3, first 2 shown]
	v_mad_nc_u64_u32 v[16:17], 0x3c439041, v12, v[16:17]
	v_add_nc_u32_e32 v15, 0xffffff88, v10
	s_delay_alu instid0(VALU_DEP_1) | instskip(NEXT) | instid1(VALU_DEP_3)
	v_cmp_lt_u32_e32 vcc_lo, 63, v15
	v_mov_b32_e32 v18, v17
	v_cndmask_b32_e64 v17, 0, 0xffffffc0, vcc_lo
	s_delay_alu instid0(VALU_DEP_2) | instskip(NEXT) | instid1(VALU_DEP_1)
	v_mad_nc_u64_u32 v[18:19], 0xdb629599, v12, v[18:19]
	v_dual_mov_b32 v20, v19 :: v_dual_cndmask_b32 v14, v18, v14, vcc_lo
	s_delay_alu instid0(VALU_DEP_1) | instskip(NEXT) | instid1(VALU_DEP_1)
	v_mad_nc_u64_u32 v[20:21], 0xf534ddc0, v12, v[20:21]
	v_mov_b32_e32 v22, v21
	s_delay_alu instid0(VALU_DEP_1) | instskip(NEXT) | instid1(VALU_DEP_1)
	v_mad_nc_u64_u32 v[22:23], 0xfc2757d1, v12, v[22:23]
	v_mov_b32_e32 v24, v23
	s_delay_alu instid0(VALU_DEP_1) | instskip(NEXT) | instid1(VALU_DEP_1)
	v_mad_nc_u64_u32 v[10:11], 0x4e441529, v12, v[24:25]
	v_dual_mov_b32 v24, v11 :: v_dual_add_nc_u32 v15, v17, v15
	s_delay_alu instid0(VALU_DEP_1) | instskip(NEXT) | instid1(VALU_DEP_3)
	v_cmp_lt_u32_e64 s0, 31, v15
	v_cndmask_b32_e32 v17, v10, v20, vcc_lo
	s_delay_alu instid0(VALU_DEP_3) | instskip(NEXT) | instid1(VALU_DEP_3)
	v_mad_nc_u64_u32 v[12:13], 0xa2f9836e, v12, v[24:25]
	v_cndmask_b32_e64 v11, 0, 0xffffffe0, s0
	s_delay_alu instid0(VALU_DEP_1) | instskip(NEXT) | instid1(VALU_DEP_1)
	v_add_nc_u32_e32 v11, v11, v15
	v_cmp_lt_u32_e64 s1, 31, v11
	s_delay_alu instid0(VALU_DEP_4) | instskip(NEXT) | instid1(VALU_DEP_2)
	v_cndmask_b32_e32 v10, v13, v10, vcc_lo
	v_cndmask_b32_e64 v15, 0, 0xffffffe0, s1
	s_delay_alu instid0(VALU_DEP_1) | instskip(SKIP_1) | instid1(VALU_DEP_2)
	v_dual_cndmask_b32 v12, v12, v22 :: v_dual_add_nc_u32 v11, v15, v11
	v_dual_cndmask_b32 v13, v22, v18, vcc_lo :: v_dual_cndmask_b32 v15, v20, v16, vcc_lo
	v_dual_cndmask_b32 v16, v12, v17, s0 :: v_dual_cndmask_b32 v10, v10, v12, s0
	s_delay_alu instid0(VALU_DEP_3) | instskip(NEXT) | instid1(VALU_DEP_3)
	v_cmp_eq_u32_e32 vcc_lo, 0, v11
	v_dual_cndmask_b32 v12, v17, v13, s0 :: v_dual_sub_nc_u32 v17, 32, v11
	s_delay_alu instid0(VALU_DEP_3) | instskip(NEXT) | instid1(VALU_DEP_2)
	v_dual_cndmask_b32 v13, v13, v15, s0 :: v_dual_cndmask_b32 v10, v10, v16, s1
	v_dual_cndmask_b32 v11, v15, v14, s0 :: v_dual_cndmask_b32 v16, v16, v12, s1
	s_delay_alu instid0(VALU_DEP_2) | instskip(NEXT) | instid1(VALU_DEP_2)
	v_cndmask_b32_e64 v12, v12, v13, s1
	v_alignbit_b32 v19, v10, v16, v17
	s_delay_alu instid0(VALU_DEP_2) | instskip(NEXT) | instid1(VALU_DEP_1)
	v_alignbit_b32 v18, v16, v12, v17
	v_dual_cndmask_b32 v10, v19, v10, vcc_lo :: v_dual_cndmask_b32 v14, v18, v16, vcc_lo
	s_delay_alu instid0(VALU_DEP_1) | instskip(NEXT) | instid1(VALU_DEP_1)
	v_bfe_u32 v15, v10, 29, 1
	v_sub_nc_u32_e32 v16, 0, v15
	v_cndmask_b32_e64 v11, v13, v11, s1
	s_delay_alu instid0(VALU_DEP_4) | instskip(NEXT) | instid1(VALU_DEP_1)
	v_alignbit_b32 v13, v10, v14, 30
	v_xor_b32_e32 v13, v13, v16
	s_delay_alu instid0(VALU_DEP_3) | instskip(NEXT) | instid1(VALU_DEP_1)
	v_alignbit_b32 v17, v12, v11, v17
	v_cndmask_b32_e32 v12, v17, v12, vcc_lo
	s_delay_alu instid0(VALU_DEP_3) | instskip(NEXT) | instid1(VALU_DEP_2)
	v_clz_i32_u32_e32 v17, v13
	v_alignbit_b32 v14, v14, v12, 30
	s_delay_alu instid0(VALU_DEP_2) | instskip(SKIP_1) | instid1(VALU_DEP_2)
	v_min_u32_e32 v17, 32, v17
	v_alignbit_b32 v11, v12, v11, 30
	v_dual_sub_nc_u32 v14, 31, v17 :: v_dual_bitop2_b32 v12, v14, v16 bitop3:0x14
	s_delay_alu instid0(VALU_DEP_2) | instskip(SKIP_1) | instid1(VALU_DEP_3)
	v_dual_lshrrev_b32 v16, 29, v10 :: v_dual_bitop2_b32 v11, v11, v16 bitop3:0x14
	v_dual_lshlrev_b32 v18, 23, v17 :: v_dual_lshrrev_b32 v10, 30, v10
	v_alignbit_b32 v13, v13, v12, v14
	s_delay_alu instid0(VALU_DEP_3) | instskip(NEXT) | instid1(VALU_DEP_4)
	v_alignbit_b32 v11, v12, v11, v14
	v_lshlrev_b32_e32 v12, 31, v16
	s_delay_alu instid0(VALU_DEP_2) | instskip(NEXT) | instid1(VALU_DEP_2)
	v_alignbit_b32 v14, v13, v11, 9
	v_dual_lshrrev_b32 v13, 9, v13 :: v_dual_bitop2_b32 v16, 0.5, v12 bitop3:0x54
	v_or_b32_e32 v12, 0x33000000, v12
	s_delay_alu instid0(VALU_DEP_3) | instskip(NEXT) | instid1(VALU_DEP_3)
	v_clz_i32_u32_e32 v19, v14
	v_sub_nc_u32_e32 v16, v16, v18
	s_delay_alu instid0(VALU_DEP_2) | instskip(NEXT) | instid1(VALU_DEP_1)
	v_min_u32_e32 v18, 32, v19
	v_add_lshl_u32 v17, v18, v17, 23
	s_delay_alu instid0(VALU_DEP_3) | instskip(SKIP_1) | instid1(VALU_DEP_3)
	v_or_b32_e32 v13, v13, v16
	v_not_b32_e32 v16, v18
	v_sub_nc_u32_e32 v12, v12, v17
	s_delay_alu instid0(VALU_DEP_3) | instskip(NEXT) | instid1(VALU_DEP_3)
	v_mul_f32_e32 v19, 0x3fc90fda, v13
	v_alignbit_b32 v11, v14, v11, v16
	s_delay_alu instid0(VALU_DEP_2) | instskip(NEXT) | instid1(VALU_DEP_2)
	v_fma_f32 v14, 0x3fc90fda, v13, -v19
	v_lshrrev_b32_e32 v11, 9, v11
	s_delay_alu instid0(VALU_DEP_2) | instskip(NEXT) | instid1(VALU_DEP_2)
	v_fmamk_f32 v13, v13, 0x33a22168, v14
	v_dual_add_nc_u32 v12, v15, v10 :: v_dual_bitop2_b32 v11, v12, v11 bitop3:0x54
	s_delay_alu instid0(VALU_DEP_1) | instskip(NEXT) | instid1(VALU_DEP_1)
	v_fmac_f32_e32 v13, 0x3fc90fda, v11
	v_add_f32_e32 v11, v19, v13
                                        ; implicit-def: $vgpr13
	s_and_not1_saveexec_b32 s0, s2
	s_cbranch_execnz .LBB38_17
	s_branch .LBB38_18
.LBB38_16:
	s_and_not1_saveexec_b32 s0, s2
.LBB38_17:
	v_rndne_f32_e32 v10, v13
	s_delay_alu instid0(VALU_DEP_1) | instskip(SKIP_1) | instid1(VALU_DEP_2)
	v_fma_f32 v11, 0xbfc90fda, v10, |v3|
	v_cvt_i32_f32_e32 v12, v10
	v_fmamk_f32 v11, v10, 0xb3a22168, v11
	s_delay_alu instid0(VALU_DEP_1)
	v_fmamk_f32 v11, v10, 0xa7c234c4, v11
.LBB38_18:
	s_or_b32 exec_lo, exec_lo, s0
	v_lshl_add_u64 v[0:1], v[0:1], 1, s[12:13]
	s_mov_b32 s0, 0xb94c1982
	s_mov_b32 s1, 0x37d75334
	v_dual_lshlrev_b32 v9, 30, v9 :: v_dual_bitop2_b32 v13, 1, v9 bitop3:0x40
	global_load_b32 v10, v[0:1], off
	s_wait_xcnt 0x0
	v_dual_mul_f32 v0, v8, v8 :: v_dual_mul_f32 v1, v11, v11
	v_cmp_eq_u32_e32 vcc_lo, 0, v13
	s_delay_alu instid0(VALU_DEP_2) | instskip(NEXT) | instid1(VALU_DEP_3)
	v_fmaak_f32 v14, s0, v0, 0x3c0881c4
	v_fmaak_f32 v16, s0, v1, 0x3c0881c4
	;; [unrolled: 1-line block ×3, first 2 shown]
	s_delay_alu instid0(VALU_DEP_2) | instskip(NEXT) | instid1(VALU_DEP_1)
	v_fmaak_f32 v16, v1, v16, 0xbe2aaa9d
	v_mul_f32_e32 v16, v1, v16
	s_delay_alu instid0(VALU_DEP_1) | instskip(NEXT) | instid1(VALU_DEP_1)
	v_dual_fmaak_f32 v14, v0, v14, 0xbe2aaa9d :: v_dual_fmac_f32 v11, v11, v16
	v_dual_fmaak_f32 v15, s1, v0, 0xbab64f3b :: v_dual_mul_f32 v14, v0, v14
	v_dual_lshlrev_b32 v12, 30, v12 :: v_dual_bitop2_b32 v18, 1, v12 bitop3:0x40
	v_fmaak_f32 v17, v1, v17, 0x3d2aabf7
	s_delay_alu instid0(VALU_DEP_3) | instskip(NEXT) | instid1(VALU_DEP_4)
	v_fmaak_f32 v15, v0, v15, 0x3d2aabf7
	v_fmac_f32_e32 v8, v8, v14
	s_delay_alu instid0(VALU_DEP_4) | instskip(NEXT) | instid1(VALU_DEP_4)
	v_and_b32_e32 v12, 0x80000000, v12
	v_fmaak_f32 v17, v1, v17, 0xbf000004
	s_delay_alu instid0(VALU_DEP_4) | instskip(NEXT) | instid1(VALU_DEP_2)
	v_fmaak_f32 v15, v0, v15, 0xbf000004
	v_fma_f32 v1, v1, v17, 1.0
	s_delay_alu instid0(VALU_DEP_2) | instskip(NEXT) | instid1(VALU_DEP_1)
	v_fma_f32 v0, v0, v15, 1.0
	v_dual_cndmask_b32 v0, -v8, v0, vcc_lo :: v_dual_bitop2_b32 v2, v2, v3 bitop3:0x14
	v_cmp_eq_u32_e32 vcc_lo, 0, v18
	s_delay_alu instid0(VALU_DEP_2) | instskip(SKIP_2) | instid1(VALU_DEP_2)
	v_bitop3_b32 v0, v9, v0, 0x80000000 bitop3:0x6c
	v_cndmask_b32_e32 v1, v1, v11, vcc_lo
	v_cmp_class_f32_e64 vcc_lo, v3, 0x1f8
	v_xor3_b32 v1, v2, v12, v1
	s_delay_alu instid0(VALU_DEP_4) | instskip(NEXT) | instid1(VALU_DEP_1)
	v_cndmask_b32_e32 v0, 0x7fc00000, v0, vcc_lo
	v_dual_cndmask_b32 v1, 0x7fc00000, v1 :: v_dual_mul_f32 v0, v7, v0
	s_delay_alu instid0(VALU_DEP_1) | instskip(SKIP_1) | instid1(VALU_DEP_1)
	v_dual_mul_f32 v1, v1, -v7 :: v_dual_mov_b32 v3, v0
	s_wait_loadcnt 0x0
	v_dual_mov_b32 v2, v1 :: v_dual_lshrrev_b32 v7, 16, v10
	v_cvt_f32_f16_e32 v8, v10
	s_delay_alu instid0(VALU_DEP_2) | instskip(NEXT) | instid1(VALU_DEP_1)
	v_cvt_f32_f16_e32 v9, v7
	v_pk_mul_f32 v[2:3], v[2:3], v[8:9]
	v_pk_mul_f32 v[0:1], v[0:1], v[8:9]
	s_delay_alu instid0(VALU_DEP_1) | instskip(NEXT) | instid1(VALU_DEP_1)
	v_dual_add_f32 v2, v3, v2 :: v_dual_sub_f32 v0, v0, v1
	v_cvt_f16_f32_e32 v1, v2
	s_delay_alu instid0(VALU_DEP_2) | instskip(NEXT) | instid1(VALU_DEP_2)
	v_cvt_f16_f32_e32 v0, v0
	v_lshlrev_b32_e32 v1, 16, v1
	s_delay_alu instid0(VALU_DEP_2) | instskip(NEXT) | instid1(VALU_DEP_1)
	v_and_b32_e32 v0, 0xffff, v0
	v_or_b32_e32 v3, v1, v0
.LBB38_19:
	s_or_b32 exec_lo, exec_lo, s5
	v_mul_lo_u32 v0, v6, s10
	s_delay_alu instid0(VALU_DEP_1) | instskip(NEXT) | instid1(VALU_DEP_1)
	v_add3_u32 v0, v0, v4, v5
	v_ashrrev_i32_e32 v1, 31, v0
	s_wait_kmcnt 0x0
	s_delay_alu instid0(VALU_DEP_1)
	v_lshl_add_u64 v[0:1], v[0:1], 1, s[14:15]
	s_wait_loadcnt 0x0
	global_store_b32 v[0:1], v3, off
.LBB38_20:
	s_endpgm
	.section	.rodata,"a",@progbits
	.p2align	6, 0x0
	.amdhsa_kernel _ZL9rope_normILb0ELb0E6__halfS0_EvPKT1_PT2_iiiiiiiiiiPKifff14rope_corr_dimsfPKfPKli
		.amdhsa_group_segment_fixed_size 0
		.amdhsa_private_segment_fixed_size 0
		.amdhsa_kernarg_size 368
		.amdhsa_user_sgpr_count 2
		.amdhsa_user_sgpr_dispatch_ptr 0
		.amdhsa_user_sgpr_queue_ptr 0
		.amdhsa_user_sgpr_kernarg_segment_ptr 1
		.amdhsa_user_sgpr_dispatch_id 0
		.amdhsa_user_sgpr_kernarg_preload_length 0
		.amdhsa_user_sgpr_kernarg_preload_offset 0
		.amdhsa_user_sgpr_private_segment_size 0
		.amdhsa_wavefront_size32 1
		.amdhsa_uses_dynamic_stack 0
		.amdhsa_enable_private_segment 0
		.amdhsa_system_sgpr_workgroup_id_x 1
		.amdhsa_system_sgpr_workgroup_id_y 1
		.amdhsa_system_sgpr_workgroup_id_z 0
		.amdhsa_system_sgpr_workgroup_info 0
		.amdhsa_system_vgpr_workitem_id 1
		.amdhsa_next_free_vgpr 26
		.amdhsa_next_free_sgpr 20
		.amdhsa_named_barrier_count 0
		.amdhsa_reserve_vcc 1
		.amdhsa_float_round_mode_32 0
		.amdhsa_float_round_mode_16_64 0
		.amdhsa_float_denorm_mode_32 3
		.amdhsa_float_denorm_mode_16_64 3
		.amdhsa_fp16_overflow 0
		.amdhsa_memory_ordered 1
		.amdhsa_forward_progress 1
		.amdhsa_inst_pref_size 37
		.amdhsa_round_robin_scheduling 0
		.amdhsa_exception_fp_ieee_invalid_op 0
		.amdhsa_exception_fp_denorm_src 0
		.amdhsa_exception_fp_ieee_div_zero 0
		.amdhsa_exception_fp_ieee_overflow 0
		.amdhsa_exception_fp_ieee_underflow 0
		.amdhsa_exception_fp_ieee_inexact 0
		.amdhsa_exception_int_div_zero 0
	.end_amdhsa_kernel
	.section	.text._ZL9rope_normILb0ELb0E6__halfS0_EvPKT1_PT2_iiiiiiiiiiPKifff14rope_corr_dimsfPKfPKli,"axG",@progbits,_ZL9rope_normILb0ELb0E6__halfS0_EvPKT1_PT2_iiiiiiiiiiPKifff14rope_corr_dimsfPKfPKli,comdat
.Lfunc_end38:
	.size	_ZL9rope_normILb0ELb0E6__halfS0_EvPKT1_PT2_iiiiiiiiiiPKifff14rope_corr_dimsfPKfPKli, .Lfunc_end38-_ZL9rope_normILb0ELb0E6__halfS0_EvPKT1_PT2_iiiiiiiiiiPKifff14rope_corr_dimsfPKfPKli
                                        ; -- End function
	.set _ZL9rope_normILb0ELb0E6__halfS0_EvPKT1_PT2_iiiiiiiiiiPKifff14rope_corr_dimsfPKfPKli.num_vgpr, 26
	.set _ZL9rope_normILb0ELb0E6__halfS0_EvPKT1_PT2_iiiiiiiiiiPKifff14rope_corr_dimsfPKfPKli.num_agpr, 0
	.set _ZL9rope_normILb0ELb0E6__halfS0_EvPKT1_PT2_iiiiiiiiiiPKifff14rope_corr_dimsfPKfPKli.numbered_sgpr, 20
	.set _ZL9rope_normILb0ELb0E6__halfS0_EvPKT1_PT2_iiiiiiiiiiPKifff14rope_corr_dimsfPKfPKli.num_named_barrier, 0
	.set _ZL9rope_normILb0ELb0E6__halfS0_EvPKT1_PT2_iiiiiiiiiiPKifff14rope_corr_dimsfPKfPKli.private_seg_size, 0
	.set _ZL9rope_normILb0ELb0E6__halfS0_EvPKT1_PT2_iiiiiiiiiiPKifff14rope_corr_dimsfPKfPKli.uses_vcc, 1
	.set _ZL9rope_normILb0ELb0E6__halfS0_EvPKT1_PT2_iiiiiiiiiiPKifff14rope_corr_dimsfPKfPKli.uses_flat_scratch, 0
	.set _ZL9rope_normILb0ELb0E6__halfS0_EvPKT1_PT2_iiiiiiiiiiPKifff14rope_corr_dimsfPKfPKli.has_dyn_sized_stack, 0
	.set _ZL9rope_normILb0ELb0E6__halfS0_EvPKT1_PT2_iiiiiiiiiiPKifff14rope_corr_dimsfPKfPKli.has_recursion, 0
	.set _ZL9rope_normILb0ELb0E6__halfS0_EvPKT1_PT2_iiiiiiiiiiPKifff14rope_corr_dimsfPKfPKli.has_indirect_call, 0
	.section	.AMDGPU.csdata,"",@progbits
; Kernel info:
; codeLenInByte = 4668
; TotalNumSgprs: 22
; NumVgprs: 26
; ScratchSize: 0
; MemoryBound: 0
; FloatMode: 240
; IeeeMode: 1
; LDSByteSize: 0 bytes/workgroup (compile time only)
; SGPRBlocks: 0
; VGPRBlocks: 1
; NumSGPRsForWavesPerEU: 22
; NumVGPRsForWavesPerEU: 26
; NamedBarCnt: 0
; Occupancy: 16
; WaveLimiterHint : 0
; COMPUTE_PGM_RSRC2:SCRATCH_EN: 0
; COMPUTE_PGM_RSRC2:USER_SGPR: 2
; COMPUTE_PGM_RSRC2:TRAP_HANDLER: 0
; COMPUTE_PGM_RSRC2:TGID_X_EN: 1
; COMPUTE_PGM_RSRC2:TGID_Y_EN: 1
; COMPUTE_PGM_RSRC2:TGID_Z_EN: 0
; COMPUTE_PGM_RSRC2:TIDIG_COMP_CNT: 1
	.section	.text._ZL9rope_normILb0ELb1E6__halfS0_EvPKT1_PT2_iiiiiiiiiiPKifff14rope_corr_dimsfPKfPKli,"axG",@progbits,_ZL9rope_normILb0ELb1E6__halfS0_EvPKT1_PT2_iiiiiiiiiiPKifff14rope_corr_dimsfPKfPKli,comdat
	.globl	_ZL9rope_normILb0ELb1E6__halfS0_EvPKT1_PT2_iiiiiiiiiiPKifff14rope_corr_dimsfPKfPKli ; -- Begin function _ZL9rope_normILb0ELb1E6__halfS0_EvPKT1_PT2_iiiiiiiiiiPKifff14rope_corr_dimsfPKfPKli
	.p2align	8
	.type	_ZL9rope_normILb0ELb1E6__halfS0_EvPKT1_PT2_iiiiiiiiiiPKifff14rope_corr_dimsfPKfPKli,@function
_ZL9rope_normILb0ELb1E6__halfS0_EvPKT1_PT2_iiiiiiiiiiPKifff14rope_corr_dimsfPKfPKli: ; @_ZL9rope_normILb0ELb1E6__halfS0_EvPKT1_PT2_iiiiiiiiiiPKifff14rope_corr_dimsfPKfPKli
; %bb.0:
	s_clause 0x1
	s_load_u16 s3, s[0:1], 0x7e
	s_load_b256 s[4:11], s[0:1], 0x10
	s_bfe_u32 s2, ttmp6, 0x40010
	s_bfe_u32 s13, ttmp6, 0x40004
	s_add_co_i32 s2, s2, 1
	v_bfe_u32 v1, v0, 10, 10
	s_mul_i32 s12, ttmp7, s2
	s_getreg_b32 s2, hwreg(HW_REG_IB_STS2, 6, 4)
	s_add_co_i32 s13, s13, s12
	s_cmp_eq_u32 s2, 0
	s_cselect_b32 s12, ttmp7, s13
	s_wait_kmcnt 0x0
	s_mul_i32 s12, s12, s3
	s_mov_b32 s3, exec_lo
	v_add_lshl_u32 v10, s12, v1, 1
	s_delay_alu instid0(VALU_DEP_1)
	v_cmpx_gt_i32_e64 s4, v10
	s_cbranch_execz .LBB39_20
; %bb.1:
	s_add_nc_u64 s[12:13], s[0:1], 0x70
	s_bfe_u32 s4, ttmp6, 0x4000c
	s_load_b32 s3, s[12:13], 0xc
	s_add_co_i32 s4, s4, 1
	s_wait_xcnt 0x0
	s_and_b32 s12, ttmp6, 15
	s_mul_i32 s4, ttmp9, s4
	v_and_b32_e32 v0, 0x3ff, v0
	s_add_co_i32 s12, s12, s4
	s_wait_kmcnt 0x0
	s_and_b32 s3, s3, 0xffff
	s_cmp_eq_u32 s2, 0
	s_mul_i32 s2, s6, s5
	s_cselect_b32 s4, ttmp9, s12
	s_abs_i32 s6, s2
	v_mad_u32 v2, s4, s3, v0
	s_cvt_f32_u32 s12, s6
	s_sub_co_i32 s4, 0, s6
	s_delay_alu instid0(SALU_CYCLE_2) | instskip(NEXT) | instid1(VALU_DEP_1)
	v_rcp_iflag_f32_e32 v1, s12
	v_sub_nc_u32_e32 v0, 0, v2
	s_delay_alu instid0(TRANS32_DEP_1) | instskip(NEXT) | instid1(VALU_DEP_2)
	v_readfirstlane_b32 s3, v1
	v_max_i32_e32 v0, v2, v0
	s_mul_f32 s3, s3, 0x4f7ffffe
	s_delay_alu instid0(SALU_CYCLE_3) | instskip(NEXT) | instid1(SALU_CYCLE_3)
	s_cvt_u32_f32 s3, s3
	s_mul_i32 s4, s4, s3
	s_delay_alu instid0(SALU_CYCLE_1) | instskip(NEXT) | instid1(SALU_CYCLE_1)
	s_mul_hi_u32 s4, s3, s4
	s_add_co_i32 s3, s3, s4
	s_load_b32 s4, s[0:1], 0x68
	v_mul_hi_u32 v1, v0, s3
	s_cvt_f32_u32 s3, s5
	s_delay_alu instid0(VALU_DEP_1) | instskip(NEXT) | instid1(VALU_DEP_1)
	v_mul_lo_u32 v3, v1, s6
	v_dual_sub_nc_u32 v0, v0, v3 :: v_dual_add_nc_u32 v3, 1, v1
	s_delay_alu instid0(VALU_DEP_1) | instskip(NEXT) | instid1(VALU_DEP_2)
	v_cmp_le_u32_e32 vcc_lo, s6, v0
	v_dual_cndmask_b32 v1, v1, v3, vcc_lo :: v_dual_bitop2_b32 v3, s2, v2 bitop3:0x14
	v_subrev_nc_u32_e32 v4, s6, v0
	s_delay_alu instid0(VALU_DEP_1) | instskip(NEXT) | instid1(VALU_DEP_1)
	v_dual_cndmask_b32 v0, v0, v4, vcc_lo :: v_dual_add_nc_u32 v4, 1, v1
	v_cmp_le_u32_e32 vcc_lo, s6, v0
	s_delay_alu instid0(VALU_DEP_2) | instskip(SKIP_1) | instid1(VALU_DEP_1)
	v_dual_cndmask_b32 v0, v1, v4 :: v_dual_ashrrev_i32 v3, 31, v3
	v_rcp_iflag_f32_e32 v1, s3
	v_xor_b32_e32 v0, v0, v3
	s_delay_alu instid0(TRANS32_DEP_1) | instskip(NEXT) | instid1(VALU_DEP_2)
	v_readfirstlane_b32 s3, v1
	v_sub_nc_u32_e32 v0, v0, v3
	s_delay_alu instid0(VALU_DEP_1) | instskip(SKIP_2) | instid1(SALU_CYCLE_2)
	v_mul_lo_u32 v1, s2, v0
	s_mul_f32 s2, s3, 0x4f7ffffe
	s_sub_co_i32 s3, 0, s5
	s_cvt_u32_f32 s2, s2
	s_delay_alu instid0(SALU_CYCLE_3) | instskip(NEXT) | instid1(VALU_DEP_1)
	s_mul_i32 s3, s3, s2
	v_sub_nc_u32_e32 v1, v2, v1
	s_mul_hi_u32 s3, s2, s3
	s_delay_alu instid0(SALU_CYCLE_1)
	s_add_co_i32 s2, s2, s3
	s_wait_kmcnt 0x0
	s_cmp_eq_u32 s4, 0
	v_mul_hi_u32 v2, v1, s2
	s_clause 0x1
	s_load_b64 s[2:3], s[0:1], 0x30
	s_load_b128 s[16:19], s[0:1], 0x58
	s_delay_alu instid0(VALU_DEP_1) | instskip(NEXT) | instid1(VALU_DEP_1)
	v_mul_lo_u32 v3, v2, s5
	v_sub_nc_u32_e32 v3, v1, v3
	s_delay_alu instid0(VALU_DEP_1) | instskip(SKIP_1) | instid1(VALU_DEP_2)
	v_subrev_nc_u32_e32 v5, s5, v3
	v_cmp_le_u32_e32 vcc_lo, s5, v3
	v_dual_cndmask_b32 v3, v3, v5 :: v_dual_add_nc_u32 v4, 1, v2
	s_delay_alu instid0(VALU_DEP_1) | instskip(NEXT) | instid1(VALU_DEP_2)
	v_cndmask_b32_e32 v2, v2, v4, vcc_lo
	v_cmp_le_u32_e32 vcc_lo, s5, v3
	s_delay_alu instid0(VALU_DEP_2) | instskip(NEXT) | instid1(VALU_DEP_1)
	v_add_nc_u32_e32 v4, 1, v2
	v_cndmask_b32_e32 v6, v2, v4, vcc_lo
	s_cbranch_scc1 .LBB39_3
; %bb.2:
	v_mov_b32_e32 v7, 0
	s_wait_kmcnt 0x0
	s_delay_alu instid0(VALU_DEP_1)
	v_lshl_add_u64 v[2:3], v[6:7], 3, s[18:19]
	global_load_b32 v2, v[2:3], off
	s_wait_loadcnt 0x0
	v_mul_lo_u32 v7, s4, v2
	s_branch .LBB39_4
.LBB39_3:
	s_wait_kmcnt 0x0
	v_mul_lo_u32 v2, v0, s2
	s_delay_alu instid0(VALU_DEP_1)
	v_mad_u32 v7, v6, s11, v2
.LBB39_4:
	v_mad_u32 v0, v0, s9, v10
	v_mul_lo_u32 v2, v6, s5
	s_load_b128 s[12:15], s[0:1], 0x0
	s_mov_b32 s2, exec_lo
	s_delay_alu instid0(VALU_DEP_2) | instskip(NEXT) | instid1(VALU_DEP_2)
	v_mad_u32 v0, v6, s8, v0
	v_sub_nc_u32_e32 v11, v1, v2
                                        ; implicit-def: $vgpr2
	s_delay_alu instid0(VALU_DEP_1) | instskip(NEXT) | instid1(VALU_DEP_1)
	v_mad_u32 v0, v11, s7, v0
	v_ashrrev_i32_e32 v1, 31, v0
	v_cmpx_le_i32_e64 s3, v10
	s_xor_b32 s2, exec_lo, s2
	s_cbranch_execz .LBB39_6
; %bb.5:
	s_wait_kmcnt 0x0
	v_lshl_add_u64 v[0:1], v[0:1], 1, s[12:13]
                                        ; implicit-def: $vgpr6
	global_load_b32 v2, v[0:1], off
                                        ; implicit-def: $vgpr0
.LBB39_6:
	s_wait_xcnt 0x0
	s_and_not1_saveexec_b32 s11, s2
	s_cbranch_execz .LBB39_19
; %bb.7:
	s_clause 0x1
	s_load_b64 s[8:9], s[0:1], 0x50
	s_load_b64 s[2:3], s[0:1], 0x38
	s_wait_loadcnt 0x0
	v_cvt_f32_i32_e32 v2, v10
	s_mov_b32 s4, 0x3e76c4e1
	s_delay_alu instid0(VALU_DEP_1)
	v_mul_f32_e32 v2, 0.5, v2
	s_wait_kmcnt 0x0
	s_cmp_neq_f32 s9, 1.0
	global_load_b32 v6, v6, s[2:3] scale_offset
	s_cselect_b32 vcc_lo, -1, 0
	v_cndmask_b32_e32 v13, 1.0, v2, vcc_lo
	s_delay_alu instid0(VALU_DEP_1) | instskip(SKIP_1) | instid1(VALU_DEP_1)
	v_cmp_neq_f32_e32 vcc_lo, 0, v13
	v_cndmask_b32_e64 v12, 1.0, s9, vcc_lo
	v_frexp_mant_f32_e64 v2, |v12|
	v_cmp_lt_f32_e64 s6, |v12|, 1.0
	s_delay_alu instid0(VALU_DEP_2) | instskip(SKIP_1) | instid1(VALU_DEP_1)
	v_cmp_gt_f32_e32 vcc_lo, 0x3f2aaaab, v2
	v_cndmask_b32_e64 v3, 1.0, 2.0, vcc_lo
	v_mul_f32_e32 v2, v2, v3
	v_cmp_neq_f32_e64 s5, v13, |v13|
	s_delay_alu instid0(VALU_DEP_2) | instskip(SKIP_1) | instid1(VALU_DEP_1)
	v_dual_add_f32 v5, 1.0, v2 :: v_dual_add_f32 v3, -1.0, v2
	s_xor_b32 s5, s5, s6
	v_rcp_f32_e32 v14, v5
	v_add_f32_e32 v8, -1.0, v5
	s_delay_alu instid0(TRANS32_DEP_1) | instid1(VALU_DEP_1)
	v_dual_sub_f32 v2, v2, v8 :: v_dual_mul_f32 v15, v3, v14
	s_delay_alu instid0(VALU_DEP_1) | instskip(NEXT) | instid1(VALU_DEP_1)
	v_mul_f32_e32 v4, v5, v15
	v_fma_f32 v8, v15, v5, -v4
	s_delay_alu instid0(VALU_DEP_1) | instskip(NEXT) | instid1(VALU_DEP_1)
	v_fmac_f32_e32 v8, v15, v2
	v_add_f32_e32 v2, v4, v8
	s_delay_alu instid0(VALU_DEP_1) | instskip(NEXT) | instid1(VALU_DEP_1)
	v_dual_sub_f32 v5, v3, v2 :: v_dual_mov_b32 v9, v2
	v_pk_add_f32 v[2:3], v[2:3], v[4:5] neg_lo:[0,1] neg_hi:[0,1]
	s_delay_alu instid0(VALU_DEP_1) | instskip(NEXT) | instid1(VALU_DEP_1)
	v_pk_add_f32 v[2:3], v[2:3], v[8:9] neg_lo:[0,1] neg_hi:[0,1]
	v_add_f32_e32 v2, v2, v3
	s_delay_alu instid0(VALU_DEP_1) | instskip(NEXT) | instid1(VALU_DEP_1)
	v_add_f32_e32 v2, v5, v2
	v_mul_f32_e32 v3, v14, v2
	s_delay_alu instid0(VALU_DEP_1) | instskip(NEXT) | instid1(VALU_DEP_1)
	v_add_f32_e32 v2, v15, v3
	v_dual_sub_f32 v4, v2, v15 :: v_dual_mul_f32 v5, v2, v2
	s_delay_alu instid0(VALU_DEP_1) | instskip(NEXT) | instid1(VALU_DEP_1)
	v_dual_sub_f32 v15, v3, v4 :: v_dual_fma_f32 v3, v2, v2, -v5
	v_add_f32_e32 v4, v15, v15
	s_delay_alu instid0(VALU_DEP_1) | instskip(NEXT) | instid1(VALU_DEP_1)
	v_fmac_f32_e32 v3, v2, v4
	v_add_f32_e32 v4, v5, v3
	s_delay_alu instid0(VALU_DEP_1) | instskip(SKIP_1) | instid1(VALU_DEP_2)
	v_dual_fmaak_f32 v8, s4, v4, 0x3e91f4c4 :: v_dual_sub_f32 v5, v4, v5
	v_cmp_eq_f32_e64 s4, 0, v12
	v_fmaak_f32 v14, v4, v8, 0x3ecccdef
	v_cvt_f64_f32_e64 v[8:9], |v12|
	s_delay_alu instid0(VALU_DEP_2) | instskip(NEXT) | instid1(VALU_DEP_1)
	v_dual_mul_f32 v16, v4, v14 :: v_dual_sub_f32 v20, v3, v5
	v_fma_f32 v3, v4, v14, -v16
	s_delay_alu instid0(VALU_DEP_1) | instskip(NEXT) | instid1(VALU_DEP_1)
	v_fmac_f32_e32 v3, v20, v14
	v_dual_add_f32 v5, v16, v3 :: v_dual_ashrrev_i32 v14, 1, v10
	global_load_b32 v26, v14, s[16:17] scale_offset
	v_dual_sub_f32 v16, v5, v16 :: v_dual_add_f32 v17, 0x3f2aaaaa, v5
	s_delay_alu instid0(VALU_DEP_1) | instskip(SKIP_1) | instid1(VALU_DEP_2)
	v_dual_sub_f32 v3, v3, v16 :: v_dual_add_f32 v16, 0xbf2aaaaa, v17
	v_frexp_exp_i32_f64_e32 v21, v[8:9]
	v_add_f32_e32 v3, 0x31739010, v3
	s_delay_alu instid0(VALU_DEP_3) | instskip(NEXT) | instid1(VALU_DEP_1)
	v_sub_f32_e32 v5, v5, v16
	v_pk_mul_f32 v[8:9], v[2:3], v[4:5]
	s_delay_alu instid0(VALU_DEP_1) | instskip(NEXT) | instid1(VALU_DEP_1)
	v_fma_f32 v16, v4, v2, -v8
	v_fmac_f32_e32 v16, v4, v15
	s_delay_alu instid0(VALU_DEP_1) | instskip(SKIP_1) | instid1(VALU_DEP_1)
	v_fmac_f32_e32 v16, v20, v2
	v_pk_add_f32 v[18:19], v[2:3], v[4:5]
	v_mov_b32_e32 v9, v19
	v_subrev_co_ci_u32_e64 v3, null, 0, v21, vcc_lo
	s_delay_alu instid0(VALU_DEP_2) | instskip(NEXT) | instid1(VALU_DEP_2)
	v_pk_add_f32 v[4:5], v[8:9], v[16:17]
	v_cvt_f32_i32_e32 v3, v3
	s_delay_alu instid0(VALU_DEP_2) | instskip(NEXT) | instid1(VALU_DEP_3)
	v_mov_b32_e32 v18, v5
	v_dual_sub_f32 v9, v17, v5 :: v_dual_sub_f32 v17, v4, v8
	s_delay_alu instid0(VALU_DEP_2) | instskip(NEXT) | instid1(VALU_DEP_4)
	v_pk_mul_f32 v[20:21], v[4:5], v[18:19]
	v_mul_f32_e32 v18, 0x3f317218, v3
	s_delay_alu instid0(VALU_DEP_3) | instskip(NEXT) | instid1(VALU_DEP_3)
	v_sub_f32_e32 v16, v16, v17
	v_fma_f32 v8, v4, v5, -v20
	v_add_f32_e32 v9, v19, v9
	s_delay_alu instid0(VALU_DEP_1) | instskip(SKIP_1) | instid1(VALU_DEP_2)
	v_fmac_f32_e32 v8, v4, v9
	v_fma_f32 v4, 0x3f317218, v3, -v18
	v_fmac_f32_e32 v8, v16, v5
	s_delay_alu instid0(VALU_DEP_2) | instskip(SKIP_1) | instid1(VALU_DEP_1)
	v_fmamk_f32 v4, v3, 0xb102e308, v4
	v_ldexp_f32 v5, v2, 1
	v_dual_add_f32 v19, v20, v8 :: v_dual_mov_b32 v21, v5
	s_delay_alu instid0(VALU_DEP_1) | instskip(SKIP_2) | instid1(VALU_DEP_3)
	v_pk_add_f32 v[2:3], v[18:19], v[4:5]
	v_mov_b32_e32 v16, v19
	v_ldexp_f32 v5, v15, 1
	v_dual_mov_b32 v9, v19 :: v_dual_mov_b32 v17, v3
	s_delay_alu instid0(VALU_DEP_1) | instskip(NEXT) | instid1(VALU_DEP_1)
	v_pk_add_f32 v[16:17], v[16:17], v[20:21] neg_lo:[0,1] neg_hi:[0,1]
	v_pk_add_f32 v[8:9], v[8:9], v[16:17] neg_lo:[0,1] neg_hi:[0,1]
	s_delay_alu instid0(VALU_DEP_1) | instskip(NEXT) | instid1(VALU_DEP_1)
	v_add_f32_e32 v5, v5, v8
	v_dual_add_f32 v19, v5, v9 :: v_dual_mov_b32 v5, v2
	s_delay_alu instid0(VALU_DEP_1) | instskip(SKIP_1) | instid1(VALU_DEP_2)
	v_pk_add_f32 v[8:9], v[2:3], v[18:19]
	v_pk_add_f32 v[16:17], v[2:3], v[18:19] neg_lo:[0,1] neg_hi:[0,1]
	v_dual_mov_b32 v24, v3 :: v_dual_mov_b32 v17, v9
	s_delay_alu instid0(VALU_DEP_1) | instskip(NEXT) | instid1(VALU_DEP_1)
	v_pk_add_f32 v[20:21], v[4:5], v[16:17]
	v_dual_mov_b32 v20, v9 :: v_dual_mov_b32 v18, v21
	v_pk_add_f32 v[4:5], v[4:5], v[16:17] neg_lo:[0,1] neg_hi:[0,1]
	s_delay_alu instid0(VALU_DEP_2) | instskip(SKIP_1) | instid1(VALU_DEP_2)
	v_pk_add_f32 v[22:23], v[18:19], v[2:3] neg_lo:[0,1] neg_hi:[0,1]
	v_dual_mov_b32 v3, v2 :: v_dual_mov_b32 v2, v19
	v_dual_mov_b32 v15, v22 :: v_dual_mov_b32 v25, v22
	s_delay_alu instid0(VALU_DEP_1) | instskip(NEXT) | instid1(VALU_DEP_2)
	v_pk_add_f32 v[8:9], v[8:9], v[14:15] neg_lo:[0,1] neg_hi:[0,1]
	v_pk_add_f32 v[16:17], v[20:21], v[24:25] neg_lo:[0,1] neg_hi:[0,1]
	v_mov_b32_e32 v8, v4
	s_delay_alu instid0(VALU_DEP_2) | instskip(NEXT) | instid1(VALU_DEP_1)
	v_pk_add_f32 v[2:3], v[2:3], v[16:17] neg_lo:[0,1] neg_hi:[0,1]
	v_pk_add_f32 v[8:9], v[8:9], v[2:3]
	s_delay_alu instid0(VALU_DEP_1) | instskip(NEXT) | instid1(VALU_DEP_1)
	v_mov_b32_e32 v16, v9
	v_pk_add_f32 v[16:17], v[8:9], v[16:17]
	s_delay_alu instid0(VALU_DEP_1) | instskip(NEXT) | instid1(VALU_DEP_1)
	v_pk_add_f32 v[18:19], v[18:19], v[16:17]
	v_dual_mov_b32 v5, v21 :: v_dual_mov_b32 v9, v18
	s_delay_alu instid0(VALU_DEP_1) | instskip(NEXT) | instid1(VALU_DEP_1)
	v_pk_add_f32 v[20:21], v[8:9], v[4:5] neg_lo:[0,1] neg_hi:[0,1]
	v_sub_f32_e32 v5, v8, v20
	s_delay_alu instid0(VALU_DEP_1) | instskip(SKIP_1) | instid1(VALU_DEP_1)
	v_sub_f32_e32 v4, v4, v5
	v_mov_b32_e32 v3, v16
	v_pk_add_f32 v[2:3], v[2:3], v[20:21] neg_lo:[0,1] neg_hi:[0,1]
	s_delay_alu instid0(VALU_DEP_1) | instskip(NEXT) | instid1(VALU_DEP_1)
	v_add_f32_e32 v2, v2, v4
	v_add_f32_e32 v2, v2, v3
	s_delay_alu instid0(VALU_DEP_1) | instskip(NEXT) | instid1(VALU_DEP_1)
	v_add_f32_e32 v3, v18, v2
	v_dual_sub_f32 v4, v3, v18 :: v_dual_mul_f32 v5, v13, v3
	s_delay_alu instid0(VALU_DEP_1) | instskip(SKIP_1) | instid1(VALU_DEP_2)
	v_dual_sub_f32 v2, v2, v4 :: v_dual_fma_f32 v3, v13, v3, -v5
	v_cmp_class_f32_e64 vcc_lo, v5, 0x204
	v_fmac_f32_e32 v3, v13, v2
	s_delay_alu instid0(VALU_DEP_1) | instskip(NEXT) | instid1(VALU_DEP_1)
	v_add_f32_e32 v2, v5, v3
	v_cndmask_b32_e32 v4, v2, v5, vcc_lo
	s_delay_alu instid0(VALU_DEP_1) | instskip(SKIP_2) | instid1(VALU_DEP_2)
	v_cmp_eq_f32_e32 vcc_lo, 0x42b17218, v4
	v_cndmask_b32_e64 v8, 0, 0x37000000, vcc_lo
	v_cmp_neq_f32_e64 vcc_lo, 0x7f800000, |v4|
	v_dual_sub_f32 v9, v4, v8 :: v_dual_sub_f32 v2, v2, v5
	v_trunc_f32_e32 v4, v13
	s_delay_alu instid0(VALU_DEP_2) | instskip(NEXT) | instid1(VALU_DEP_1)
	v_dual_mul_f32 v15, 0x3fb8aa3b, v9 :: v_dual_sub_f32 v2, v3, v2
	v_fma_f32 v16, 0x3fb8aa3b, v9, -v15
	v_rndne_f32_e32 v17, v15
	s_delay_alu instid0(VALU_DEP_3) | instskip(SKIP_1) | instid1(VALU_DEP_3)
	v_cndmask_b32_e32 v2, 0, v2, vcc_lo
	v_cmp_ngt_f32_e32 vcc_lo, 0xc2ce8ed0, v9
	v_dual_fmamk_f32 v16, v9, 0x32a5705f, v16 :: v_dual_sub_f32 v15, v15, v17
	s_delay_alu instid0(VALU_DEP_1) | instskip(NEXT) | instid1(VALU_DEP_1)
	v_add_f32_e32 v15, v15, v16
	v_exp_f32_e32 v5, v15
	v_nop
	v_cvt_i32_f32_e32 v15, v17
	s_delay_alu instid0(TRANS32_DEP_1) | instid1(VALU_DEP_1)
	v_ldexp_f32 v3, v5, v15
	s_delay_alu instid0(VALU_DEP_1) | instskip(NEXT) | instid1(VALU_DEP_1)
	v_dual_mul_f32 v5, 0.5, v13 :: v_dual_cndmask_b32 v3, 0, v3, vcc_lo
	v_trunc_f32_e32 v15, v5
	v_cmp_nlt_f32_e32 vcc_lo, 0x42b17218, v9
	s_wait_xcnt 0x1
	s_delay_alu instid0(VALU_DEP_2) | instskip(SKIP_2) | instid1(VALU_DEP_2)
	v_cmp_neq_f32_e64 s2, v15, v5
	v_cndmask_b32_e32 v3, 0x7f800000, v3, vcc_lo
	v_cmp_eq_f32_e32 vcc_lo, v4, v13
	v_cmp_class_f32_e64 s3, v3, 0x204
	s_and_b32 s2, vcc_lo, s2
	s_delay_alu instid0(SALU_CYCLE_1) | instskip(SKIP_2) | instid1(VALU_DEP_3)
	v_dual_cndmask_b32 v4, 1.0, v12, s2 :: v_dual_add_f32 v2, v8, v2
	v_cndmask_b32_e64 v8, 0, v12, s2
	v_cmp_class_f32_e64 s2, v12, 0x204
	v_fma_f32 v2, v3, v2, v3
	s_delay_alu instid0(VALU_DEP_1) | instskip(SKIP_2) | instid1(VALU_DEP_3)
	v_cndmask_b32_e64 v2, v2, v3, s3
	v_cndmask_b32_e64 v3, 0x7f800000, 0, s5
	v_cmp_gt_f32_e64 s3, 0, v13
	v_bfi_b32 v2, 0x7fffffff, v2, v4
	s_xor_b32 s3, s3, s4
	s_delay_alu instid0(SALU_CYCLE_1) | instskip(NEXT) | instid1(VALU_DEP_2)
	v_cndmask_b32_e64 v4, 0x7f800000, 0, s3
	v_cndmask_b32_e32 v5, 0x7fc00000, v2, vcc_lo
	v_cmp_neq_f32_e64 vcc_lo, |v12|, 1.0
	s_delay_alu instid0(VALU_DEP_3) | instskip(SKIP_4) | instid1(VALU_DEP_2)
	v_bfi_b32 v4, 0x7fffffff, v4, v8
	v_cndmask_b32_e32 v3, 1.0, v3, vcc_lo
	v_cmp_gt_f32_e32 vcc_lo, 0, v12
	v_cndmask_b32_e32 v2, v2, v5, vcc_lo
	v_cmp_class_f32_e64 vcc_lo, v13, 0x204
	v_cndmask_b32_e32 v2, v2, v3, vcc_lo
	s_or_b32 vcc_lo, s4, s2
	s_wait_loadcnt 0x1
	v_cvt_f32_i32_e32 v3, v6
	s_load_b128 s[4:7], s[0:1], 0x40
	v_cndmask_b32_e32 v2, v2, v4, vcc_lo
	v_cmp_o_f32_e32 vcc_lo, v12, v12
	s_delay_alu instid0(VALU_DEP_2) | instskip(NEXT) | instid1(VALU_DEP_1)
	v_cndmask_b32_e32 v2, 0x7fc00000, v2, vcc_lo
	v_mul_f32_e32 v2, v2, v3
	s_wait_loadcnt 0x0
	s_delay_alu instid0(VALU_DEP_1) | instskip(SKIP_3) | instid1(VALU_DEP_2)
	v_div_scale_f32 v3, null, v26, v26, v2
	v_div_scale_f32 v6, vcc_lo, v2, v26, v2
	s_wait_kmcnt 0x0
	s_cmp_eq_f32 s5, 0
	v_rcp_f32_e32 v4, v3
	v_nop
	s_delay_alu instid0(TRANS32_DEP_1) | instskip(NEXT) | instid1(VALU_DEP_1)
	v_fma_f32 v5, -v3, v4, 1.0
	v_fmac_f32_e32 v4, v5, v4
	s_delay_alu instid0(VALU_DEP_1) | instskip(NEXT) | instid1(VALU_DEP_1)
	v_mul_f32_e32 v5, v6, v4
	v_fma_f32 v8, -v3, v5, v6
	s_delay_alu instid0(VALU_DEP_1) | instskip(NEXT) | instid1(VALU_DEP_1)
	v_fmac_f32_e32 v5, v8, v4
	v_fma_f32 v3, -v3, v5, v6
	s_delay_alu instid0(VALU_DEP_1) | instskip(NEXT) | instid1(VALU_DEP_1)
	v_div_fmas_f32 v3, v3, v4, v5
	v_div_fixup_f32 v2, v3, v26, v2
	s_delay_alu instid0(VALU_DEP_1)
	v_mul_f32_e32 v3, s4, v2
	s_cbranch_scc1 .LBB39_9
; %bb.8:
	v_div_scale_f32 v6, null, s4, s4, 1.0
	v_cvt_f32_i32_e32 v4, v14
	s_sub_f32 s0, s8, s7
	s_delay_alu instid0(VALU_DEP_2)
	v_rcp_f32_e32 v9, v6
	v_nop
	v_xor_b32_e32 v6, 0x80000000, v6
	s_max_num_f32 s1, s0, 0x3a83126f
	s_delay_alu instid0(TRANS32_DEP_1) | instid1(VALU_DEP_1)
	v_fma_f32 v13, v6, v9, 1.0
	s_delay_alu instid0(VALU_DEP_1)
	v_dual_subrev_f32 v4, s7, v4 :: v_dual_fmac_f32 v9, v13, v9
	s_delay_alu instid0(VALU_DEP_1) | instid1(SALU_CYCLE_1)
	v_div_scale_f32 v5, null, s1, s1, v4
	v_div_scale_f32 v14, vcc_lo, v4, s1, v4
	s_delay_alu instid0(VALU_DEP_2) | instskip(SKIP_1) | instid1(TRANS32_DEP_1)
	v_rcp_f32_e32 v8, v5
	v_nop
	v_fma_f32 v12, -v5, v8, 1.0
	s_delay_alu instid0(VALU_DEP_1) | instskip(SKIP_1) | instid1(VALU_DEP_1)
	v_fmac_f32_e32 v8, v12, v8
	v_div_scale_f32 v12, s0, 1.0, s4, 1.0
	v_mul_f32_e32 v15, v12, v9
	s_delay_alu instid0(VALU_DEP_1) | instskip(NEXT) | instid1(VALU_DEP_1)
	v_fma_f32 v17, v6, v15, v12
	v_dual_mul_f32 v13, v14, v8 :: v_dual_fmac_f32 v15, v17, v9
	s_delay_alu instid0(VALU_DEP_1) | instskip(NEXT) | instid1(VALU_DEP_1)
	v_dual_fma_f32 v16, -v5, v13, v14 :: v_dual_fmac_f32 v12, v6, v15
	v_fmac_f32_e32 v13, v16, v8
	s_delay_alu instid0(VALU_DEP_1) | instskip(NEXT) | instid1(VALU_DEP_1)
	v_fma_f32 v5, -v5, v13, v14
	v_div_fmas_f32 v5, v5, v8, v13
	s_mov_b32 vcc_lo, s0
	v_div_fmas_f32 v6, v12, v9, v15
	s_delay_alu instid0(VALU_DEP_2) | instskip(NEXT) | instid1(VALU_DEP_2)
	v_div_fixup_f32 v4, v5, s1, v4 clamp
	v_div_fixup_f32 v6, v6, s4, 1.0
	s_delay_alu instid0(VALU_DEP_2) | instskip(NEXT) | instid1(VALU_DEP_2)
	v_sub_f32_e32 v9, 1.0, v4
	v_readfirstlane_b32 s0, v6
	s_cmp_lt_f32 s0, 0x800000
	s_cselect_b32 s0, 0x4f800000, 1.0
	s_delay_alu instid0(SALU_CYCLE_1) | instskip(SKIP_2) | instid1(VALU_DEP_2)
	v_mul_f32_e32 v6, s0, v6
	s_cselect_b32 s0, 0x41b17218, 0
	v_mul_f32_e32 v4, s5, v9
	v_log_f32_e32 v6, v6
	v_nop
	s_delay_alu instid0(TRANS32_DEP_1) | instskip(SKIP_1) | instid1(VALU_DEP_2)
	v_mul_f32_e32 v8, 0x3f317217, v6
	v_and_b32_e32 v5, 0x7fffffff, v6
	v_xor_b32_e32 v8, 0x80000000, v8
	s_delay_alu instid0(VALU_DEP_2) | instskip(SKIP_1) | instid1(VALU_DEP_1)
	v_cmp_gt_f32_e32 vcc_lo, 0x7f800000, v5
	v_fma_f32 v5, -s5, v9, 1.0
	v_pk_mul_f32 v[2:3], v[4:5], v[2:3]
	s_delay_alu instid0(VALU_DEP_1) | instskip(NEXT) | instid1(VALU_DEP_1)
	v_dual_fmac_f32 v8, 0x3f317217, v6 :: v_dual_add_f32 v3, v2, v3
	v_fmamk_f32 v8, v6, 0x3377d1cf, v8
	s_delay_alu instid0(VALU_DEP_1) | instskip(NEXT) | instid1(VALU_DEP_1)
	v_fmac_f32_e32 v8, 0x3f317217, v6
	v_dual_cndmask_b32 v6, v6, v8, vcc_lo :: v_dual_mov_b32 v8, 1.0
	s_delay_alu instid0(VALU_DEP_1) | instskip(NEXT) | instid1(VALU_DEP_1)
	v_subrev_f32_e32 v6, s0, v6
	v_fmamk_f32 v4, v6, 0x3dcccccd, v8
	s_delay_alu instid0(VALU_DEP_1)
	v_mul_f32_e32 v4, s6, v4
	s_branch .LBB39_10
.LBB39_9:
	v_mov_b32_e32 v4, s6
.LBB39_10:
	s_delay_alu instid0(VALU_DEP_2) | instskip(SKIP_1) | instid1(VALU_DEP_2)
	v_and_b32_e32 v2, 0x7fffffff, v3
	v_cmp_ngt_f32_e64 s2, 0x48000000, |v3|
                                        ; implicit-def: $vgpr6
                                        ; implicit-def: $vgpr5
	v_lshrrev_b32_e32 v8, 23, v2
	s_and_saveexec_b32 s0, s2
	s_delay_alu instid0(SALU_CYCLE_1)
	s_xor_b32 s3, exec_lo, s0
	s_cbranch_execz .LBB39_12
; %bb.11:
	s_mov_b32 s0, 0x7fffff
	v_mov_b32_e32 v13, 0
	v_and_or_b32 v12, v2, s0, 0x800000
	s_mov_b64 s[0:1], 0xfe5163ab
	v_add_nc_u32_e32 v5, 0xffffff88, v8
	s_delay_alu instid0(VALU_DEP_2) | instskip(NEXT) | instid1(VALU_DEP_2)
	v_mul_u64_e32 v[14:15], s[0:1], v[12:13]
	v_cmp_lt_u32_e32 vcc_lo, 63, v5
	v_cndmask_b32_e64 v6, 0, 0xffffffc0, vcc_lo
	s_delay_alu instid0(VALU_DEP_3) | instskip(SKIP_2) | instid1(VALU_DEP_3)
	v_dual_mov_b32 v16, v15 :: v_dual_mov_b32 v17, v13
	v_dual_mov_b32 v19, v13 :: v_dual_mov_b32 v21, v13
	;; [unrolled: 1-line block ×3, first 2 shown]
	v_mad_nc_u64_u32 v[16:17], 0x3c439041, v12, v[16:17]
	v_dual_add_nc_u32 v5, v6, v5 :: v_dual_mov_b32 v27, v13
	s_delay_alu instid0(VALU_DEP_1) | instskip(NEXT) | instid1(VALU_DEP_3)
	v_cmp_lt_u32_e64 s0, 31, v5
	v_mov_b32_e32 v18, v17
	s_delay_alu instid0(VALU_DEP_2) | instskip(NEXT) | instid1(VALU_DEP_2)
	v_cndmask_b32_e64 v6, 0, 0xffffffe0, s0
	v_mad_nc_u64_u32 v[18:19], 0xdb629599, v12, v[18:19]
	s_delay_alu instid0(VALU_DEP_2) | instskip(NEXT) | instid1(VALU_DEP_1)
	v_add_nc_u32_e32 v5, v6, v5
	v_cmp_lt_u32_e64 s1, 31, v5
	s_delay_alu instid0(VALU_DEP_3) | instskip(NEXT) | instid1(VALU_DEP_2)
	v_mov_b32_e32 v20, v19
	v_cndmask_b32_e64 v6, 0, 0xffffffe0, s1
	s_delay_alu instid0(VALU_DEP_2) | instskip(NEXT) | instid1(VALU_DEP_1)
	v_mad_nc_u64_u32 v[20:21], 0xf534ddc0, v12, v[20:21]
	v_dual_cndmask_b32 v6, v20, v16 :: v_dual_add_nc_u32 v5, v6, v5
	s_delay_alu instid0(VALU_DEP_2) | instskip(NEXT) | instid1(VALU_DEP_1)
	v_mov_b32_e32 v22, v21
	v_mad_nc_u64_u32 v[22:23], 0xfc2757d1, v12, v[22:23]
	s_delay_alu instid0(VALU_DEP_1) | instskip(NEXT) | instid1(VALU_DEP_1)
	v_dual_mov_b32 v24, v23 :: v_dual_cndmask_b32 v15, v22, v18
	v_mad_nc_u64_u32 v[24:25], 0x4e441529, v12, v[24:25]
	s_delay_alu instid0(VALU_DEP_1) | instskip(NEXT) | instid1(VALU_DEP_1)
	v_dual_mov_b32 v26, v25 :: v_dual_cndmask_b32 v9, v24, v20
	v_mad_nc_u64_u32 v[12:13], 0xa2f9836e, v12, v[26:27]
	s_delay_alu instid0(VALU_DEP_1) | instskip(NEXT) | instid1(VALU_DEP_1)
	v_dual_cndmask_b32 v12, v12, v22 :: v_dual_cndmask_b32 v13, v13, v24
	v_dual_cndmask_b32 v16, v12, v9, s0 :: v_dual_cndmask_b32 v12, v13, v12, s0
	v_dual_cndmask_b32 v9, v9, v15, s0 :: v_dual_sub_nc_u32 v13, 32, v5
	s_delay_alu instid0(VALU_DEP_2) | instskip(NEXT) | instid1(VALU_DEP_1)
	v_dual_cndmask_b32 v15, v15, v6, s0 :: v_dual_cndmask_b32 v12, v12, v16, s1
	v_dual_cndmask_b32 v16, v16, v9, s1 :: v_dual_cndmask_b32 v9, v9, v15, s1
	s_delay_alu instid0(VALU_DEP_1) | instskip(SKIP_2) | instid1(VALU_DEP_4)
	v_alignbit_b32 v17, v12, v16, v13
	v_cndmask_b32_e32 v14, v18, v14, vcc_lo
	v_cmp_eq_u32_e32 vcc_lo, 0, v5
	v_alignbit_b32 v18, v16, v9, v13
	s_delay_alu instid0(VALU_DEP_3) | instskip(NEXT) | instid1(VALU_DEP_2)
	v_dual_cndmask_b32 v5, v17, v12, vcc_lo :: v_dual_cndmask_b32 v6, v6, v14, s0
	v_cndmask_b32_e32 v12, v18, v16, vcc_lo
	s_delay_alu instid0(VALU_DEP_2) | instskip(NEXT) | instid1(VALU_DEP_1)
	v_bfe_u32 v14, v5, 29, 1
	v_sub_nc_u32_e32 v16, 0, v14
	s_delay_alu instid0(VALU_DEP_4) | instskip(NEXT) | instid1(VALU_DEP_4)
	v_cndmask_b32_e64 v6, v15, v6, s1
	v_alignbit_b32 v15, v5, v12, 30
	s_delay_alu instid0(VALU_DEP_2) | instskip(NEXT) | instid1(VALU_DEP_1)
	v_alignbit_b32 v13, v9, v6, v13
	v_dual_cndmask_b32 v9, v13, v9, vcc_lo :: v_dual_bitop2_b32 v15, v15, v16 bitop3:0x14
	s_delay_alu instid0(VALU_DEP_1) | instskip(NEXT) | instid1(VALU_DEP_2)
	v_clz_i32_u32_e32 v13, v15
	v_alignbit_b32 v12, v12, v9, 30
	s_delay_alu instid0(VALU_DEP_2) | instskip(SKIP_1) | instid1(VALU_DEP_2)
	v_min_u32_e32 v13, 32, v13
	v_alignbit_b32 v6, v9, v6, 30
	v_dual_sub_nc_u32 v12, 31, v13 :: v_dual_bitop2_b32 v9, v12, v16 bitop3:0x14
	s_delay_alu instid0(VALU_DEP_2) | instskip(SKIP_1) | instid1(VALU_DEP_3)
	v_dual_lshrrev_b32 v16, 29, v5 :: v_dual_bitop2_b32 v6, v6, v16 bitop3:0x14
	v_lshlrev_b32_e32 v17, 23, v13
	v_alignbit_b32 v15, v15, v9, v12
	s_delay_alu instid0(VALU_DEP_3) | instskip(NEXT) | instid1(VALU_DEP_4)
	v_alignbit_b32 v6, v9, v6, v12
	v_lshlrev_b32_e32 v9, 31, v16
	s_delay_alu instid0(VALU_DEP_2) | instskip(NEXT) | instid1(VALU_DEP_2)
	v_alignbit_b32 v12, v15, v6, 9
	v_dual_lshrrev_b32 v15, 9, v15 :: v_dual_bitop2_b32 v16, 0.5, v9 bitop3:0x54
	v_or_b32_e32 v9, 0x33000000, v9
	s_delay_alu instid0(VALU_DEP_3) | instskip(NEXT) | instid1(VALU_DEP_3)
	v_clz_i32_u32_e32 v18, v12
	v_sub_nc_u32_e32 v16, v16, v17
	s_delay_alu instid0(VALU_DEP_2) | instskip(NEXT) | instid1(VALU_DEP_1)
	v_min_u32_e32 v17, 32, v18
	v_add_lshl_u32 v13, v17, v13, 23
	s_delay_alu instid0(VALU_DEP_3) | instskip(SKIP_1) | instid1(VALU_DEP_2)
	v_or_b32_e32 v15, v15, v16
	v_not_b32_e32 v16, v17
	v_dual_mul_f32 v18, 0x3fc90fda, v15 :: v_dual_sub_nc_u32 v9, v9, v13
	s_delay_alu instid0(VALU_DEP_2) | instskip(NEXT) | instid1(VALU_DEP_2)
	v_alignbit_b32 v6, v12, v6, v16
	v_fma_f32 v12, 0x3fc90fda, v15, -v18
	s_delay_alu instid0(VALU_DEP_2) | instskip(NEXT) | instid1(VALU_DEP_2)
	v_lshrrev_b32_e32 v6, 9, v6
	v_fmamk_f32 v12, v15, 0x33a22168, v12
	s_delay_alu instid0(VALU_DEP_2) | instskip(NEXT) | instid1(VALU_DEP_1)
	v_or_b32_e32 v6, v9, v6
	v_fmac_f32_e32 v12, 0x3fc90fda, v6
	s_delay_alu instid0(VALU_DEP_1) | instskip(NEXT) | instid1(VALU_DEP_1)
	v_dual_add_f32 v5, v18, v12 :: v_dual_lshrrev_b32 v6, 30, v5
	v_add_nc_u32_e32 v6, v14, v6
	s_or_saveexec_b32 s0, s3
	v_mul_f32_e64 v13, 0x3f22f983, |v3|
	s_xor_b32 exec_lo, exec_lo, s0
	s_branch .LBB39_13
.LBB39_12:
	s_or_saveexec_b32 s0, s3
	v_mul_f32_e64 v13, 0x3f22f983, |v3|
	s_xor_b32 exec_lo, exec_lo, s0
.LBB39_13:
	s_delay_alu instid0(VALU_DEP_1) | instskip(NEXT) | instid1(VALU_DEP_1)
	v_rndne_f32_e32 v6, v13
	v_fma_f32 v5, 0xbfc90fda, v6, |v3|
	s_delay_alu instid0(VALU_DEP_1) | instskip(NEXT) | instid1(VALU_DEP_1)
	v_fmamk_f32 v5, v6, 0xb3a22168, v5
	v_fmamk_f32 v5, v6, 0xa7c234c4, v5
	v_cvt_i32_f32_e32 v6, v6
; %bb.14:
	s_or_b32 exec_lo, exec_lo, s0
                                        ; implicit-def: $vgpr12
                                        ; implicit-def: $vgpr9
	s_and_saveexec_b32 s0, s2
	s_delay_alu instid0(SALU_CYCLE_1)
	s_xor_b32 s2, exec_lo, s0
	s_cbranch_execz .LBB39_16
; %bb.15:
	s_mov_b32 s0, 0x7fffff
	v_mov_b32_e32 v13, 0
	v_and_or_b32 v12, v2, s0, 0x800000
	s_mov_b64 s[0:1], 0xfe5163ab
	s_delay_alu instid0(VALU_DEP_1) | instid1(SALU_CYCLE_1)
	v_mul_u64_e32 v[14:15], s[0:1], v[12:13]
	s_delay_alu instid0(VALU_DEP_1) | instskip(SKIP_2) | instid1(VALU_DEP_3)
	v_dual_mov_b32 v16, v15 :: v_dual_mov_b32 v17, v13
	v_dual_mov_b32 v19, v13 :: v_dual_mov_b32 v21, v13
	v_dual_mov_b32 v23, v13 :: v_dual_mov_b32 v25, v13
	v_mad_nc_u64_u32 v[16:17], 0x3c439041, v12, v[16:17]
	v_add_nc_u32_e32 v15, 0xffffff88, v8
	s_delay_alu instid0(VALU_DEP_1) | instskip(NEXT) | instid1(VALU_DEP_3)
	v_cmp_lt_u32_e32 vcc_lo, 63, v15
	v_mov_b32_e32 v18, v17
	v_cndmask_b32_e64 v17, 0, 0xffffffc0, vcc_lo
	s_delay_alu instid0(VALU_DEP_2) | instskip(NEXT) | instid1(VALU_DEP_1)
	v_mad_nc_u64_u32 v[18:19], 0xdb629599, v12, v[18:19]
	v_dual_mov_b32 v20, v19 :: v_dual_cndmask_b32 v14, v18, v14, vcc_lo
	s_delay_alu instid0(VALU_DEP_1) | instskip(NEXT) | instid1(VALU_DEP_1)
	v_mad_nc_u64_u32 v[20:21], 0xf534ddc0, v12, v[20:21]
	v_mov_b32_e32 v22, v21
	s_delay_alu instid0(VALU_DEP_1) | instskip(NEXT) | instid1(VALU_DEP_1)
	v_mad_nc_u64_u32 v[22:23], 0xfc2757d1, v12, v[22:23]
	v_mov_b32_e32 v24, v23
	s_delay_alu instid0(VALU_DEP_1) | instskip(NEXT) | instid1(VALU_DEP_1)
	v_mad_nc_u64_u32 v[8:9], 0x4e441529, v12, v[24:25]
	v_dual_add_nc_u32 v15, v17, v15 :: v_dual_cndmask_b32 v17, v8, v20, vcc_lo
	s_delay_alu instid0(VALU_DEP_1) | instskip(NEXT) | instid1(VALU_DEP_3)
	v_cmp_lt_u32_e64 s0, 31, v15
	v_mov_b32_e32 v24, v9
	s_delay_alu instid0(VALU_DEP_2) | instskip(NEXT) | instid1(VALU_DEP_1)
	v_cndmask_b32_e64 v9, 0, 0xffffffe0, s0
	v_add_nc_u32_e32 v9, v9, v15
	s_delay_alu instid0(VALU_DEP_3) | instskip(NEXT) | instid1(VALU_DEP_2)
	v_mad_nc_u64_u32 v[12:13], 0xa2f9836e, v12, v[24:25]
	v_cmp_lt_u32_e64 s1, 31, v9
	s_delay_alu instid0(VALU_DEP_1) | instskip(NEXT) | instid1(VALU_DEP_3)
	v_cndmask_b32_e64 v15, 0, 0xffffffe0, s1
	v_dual_cndmask_b32 v12, v12, v22, vcc_lo :: v_dual_cndmask_b32 v8, v13, v8, vcc_lo
	s_delay_alu instid0(VALU_DEP_2) | instskip(SKIP_1) | instid1(VALU_DEP_3)
	v_dual_cndmask_b32 v13, v22, v18, vcc_lo :: v_dual_add_nc_u32 v9, v15, v9
	v_cndmask_b32_e32 v15, v20, v16, vcc_lo
	v_cndmask_b32_e64 v16, v12, v17, s0
	s_delay_alu instid0(VALU_DEP_3) | instskip(NEXT) | instid1(VALU_DEP_3)
	v_dual_cndmask_b32 v8, v8, v12, s0 :: v_dual_cndmask_b32 v12, v17, v13, s0
	v_dual_sub_nc_u32 v17, 32, v9 :: v_dual_cndmask_b32 v13, v13, v15, s0
	v_cmp_eq_u32_e32 vcc_lo, 0, v9
	s_delay_alu instid0(VALU_DEP_3) | instskip(NEXT) | instid1(VALU_DEP_4)
	v_cndmask_b32_e64 v8, v8, v16, s1
	v_dual_cndmask_b32 v16, v16, v12, s1 :: v_dual_cndmask_b32 v9, v15, v14, s0
	s_delay_alu instid0(VALU_DEP_1) | instskip(SKIP_1) | instid1(VALU_DEP_2)
	v_alignbit_b32 v19, v8, v16, v17
	v_cndmask_b32_e64 v12, v12, v13, s1
	v_dual_cndmask_b32 v9, v13, v9, s1 :: v_dual_cndmask_b32 v8, v19, v8, vcc_lo
	s_delay_alu instid0(VALU_DEP_2) | instskip(NEXT) | instid1(VALU_DEP_2)
	v_alignbit_b32 v18, v16, v12, v17
	v_alignbit_b32 v17, v12, v9, v17
	s_delay_alu instid0(VALU_DEP_3) | instskip(NEXT) | instid1(VALU_DEP_3)
	v_bfe_u32 v15, v8, 29, 1
	v_cndmask_b32_e32 v14, v18, v16, vcc_lo
	s_delay_alu instid0(VALU_DEP_2) | instskip(NEXT) | instid1(VALU_DEP_2)
	v_dual_cndmask_b32 v12, v17, v12, vcc_lo :: v_dual_sub_nc_u32 v16, 0, v15
	v_alignbit_b32 v13, v8, v14, 30
	s_delay_alu instid0(VALU_DEP_2) | instskip(SKIP_1) | instid1(VALU_DEP_3)
	v_alignbit_b32 v14, v14, v12, 30
	v_alignbit_b32 v9, v12, v9, 30
	v_xor_b32_e32 v13, v13, v16
	s_delay_alu instid0(VALU_DEP_2) | instskip(NEXT) | instid1(VALU_DEP_2)
	v_xor_b32_e32 v9, v9, v16
	v_clz_i32_u32_e32 v17, v13
	s_delay_alu instid0(VALU_DEP_1) | instskip(NEXT) | instid1(VALU_DEP_1)
	v_min_u32_e32 v17, 32, v17
	v_dual_lshlrev_b32 v18, 23, v17 :: v_dual_bitop2_b32 v12, v14, v16 bitop3:0x14
	v_sub_nc_u32_e32 v14, 31, v17
	s_delay_alu instid0(VALU_DEP_1) | instskip(SKIP_3) | instid1(VALU_DEP_2)
	v_alignbit_b32 v13, v13, v12, v14
	v_lshrrev_b32_e32 v16, 29, v8
	v_alignbit_b32 v9, v12, v9, v14
	v_lshrrev_b32_e32 v8, 30, v8
	v_alignbit_b32 v14, v13, v9, 9
	s_delay_alu instid0(VALU_DEP_4) | instskip(NEXT) | instid1(VALU_DEP_2)
	v_dual_lshrrev_b32 v13, 9, v13 :: v_dual_lshlrev_b32 v12, 31, v16
	v_clz_i32_u32_e32 v19, v14
	s_delay_alu instid0(VALU_DEP_2) | instskip(SKIP_1) | instid1(VALU_DEP_2)
	v_or_b32_e32 v16, 0.5, v12
	v_or_b32_e32 v12, 0x33000000, v12
	v_sub_nc_u32_e32 v16, v16, v18
	s_delay_alu instid0(VALU_DEP_4) | instskip(NEXT) | instid1(VALU_DEP_2)
	v_min_u32_e32 v18, 32, v19
	v_or_b32_e32 v13, v13, v16
	s_delay_alu instid0(VALU_DEP_2) | instskip(SKIP_1) | instid1(VALU_DEP_2)
	v_not_b32_e32 v16, v18
	v_add_lshl_u32 v17, v18, v17, 23
	v_alignbit_b32 v9, v14, v9, v16
	s_delay_alu instid0(VALU_DEP_2) | instskip(NEXT) | instid1(VALU_DEP_2)
	v_sub_nc_u32_e32 v12, v12, v17
	v_lshrrev_b32_e32 v9, 9, v9
	v_mul_f32_e32 v19, 0x3fc90fda, v13
	s_delay_alu instid0(VALU_DEP_2) | instskip(NEXT) | instid1(VALU_DEP_2)
	v_dual_add_nc_u32 v12, v15, v8 :: v_dual_bitop2_b32 v9, v12, v9 bitop3:0x54
	v_fma_f32 v14, 0x3fc90fda, v13, -v19
	s_delay_alu instid0(VALU_DEP_1) | instskip(NEXT) | instid1(VALU_DEP_1)
	v_fmamk_f32 v13, v13, 0x33a22168, v14
	v_fmac_f32_e32 v13, 0x3fc90fda, v9
	s_delay_alu instid0(VALU_DEP_1)
	v_add_f32_e32 v9, v19, v13
                                        ; implicit-def: $vgpr13
	s_and_not1_saveexec_b32 s0, s2
	s_cbranch_execnz .LBB39_17
	s_branch .LBB39_18
.LBB39_16:
	s_and_not1_saveexec_b32 s0, s2
.LBB39_17:
	v_rndne_f32_e32 v8, v13
	s_delay_alu instid0(VALU_DEP_1) | instskip(SKIP_1) | instid1(VALU_DEP_2)
	v_fma_f32 v9, 0xbfc90fda, v8, |v3|
	v_cvt_i32_f32_e32 v12, v8
	v_fmamk_f32 v9, v8, 0xb3a22168, v9
	s_delay_alu instid0(VALU_DEP_1)
	v_fmamk_f32 v9, v8, 0xa7c234c4, v9
.LBB39_18:
	s_or_b32 exec_lo, exec_lo, s0
	v_lshl_add_u64 v[0:1], v[0:1], 1, s[12:13]
	s_mov_b32 s0, 0xb94c1982
	s_mov_b32 s1, 0x37d75334
	v_dual_lshlrev_b32 v6, 30, v6 :: v_dual_bitop2_b32 v13, 1, v6 bitop3:0x40
	global_load_b32 v8, v[0:1], off
	s_wait_xcnt 0x0
	v_mul_f32_e32 v0, v5, v5
	v_mul_f32_e32 v1, v9, v9
	v_cmp_eq_u32_e32 vcc_lo, 0, v13
	s_delay_alu instid0(VALU_DEP_3) | instskip(NEXT) | instid1(VALU_DEP_3)
	v_fmaak_f32 v14, s0, v0, 0x3c0881c4
	v_fmaak_f32 v17, s1, v1, 0xbab64f3b
	s_delay_alu instid0(VALU_DEP_2) | instskip(NEXT) | instid1(VALU_DEP_1)
	v_fmaak_f32 v14, v0, v14, 0xbe2aaa9d
	v_dual_fmaak_f32 v15, s1, v0, 0xbab64f3b :: v_dual_mul_f32 v14, v0, v14
	s_delay_alu instid0(VALU_DEP_1) | instskip(NEXT) | instid1(VALU_DEP_1)
	v_dual_fmaak_f32 v16, s0, v1, 0x3c0881c4 :: v_dual_fmac_f32 v5, v5, v14
	v_fmaak_f32 v16, v1, v16, 0xbe2aaa9d
	s_delay_alu instid0(VALU_DEP_1) | instskip(NEXT) | instid1(VALU_DEP_1)
	v_dual_fmaak_f32 v15, v0, v15, 0x3d2aabf7 :: v_dual_mul_f32 v16, v1, v16
	v_fmaak_f32 v15, v0, v15, 0xbf000004
	s_delay_alu instid0(VALU_DEP_2) | instskip(SKIP_2) | instid1(VALU_DEP_4)
	v_fmac_f32_e32 v9, v9, v16
	v_dual_lshlrev_b32 v12, 30, v12 :: v_dual_bitop2_b32 v18, 1, v12 bitop3:0x40
	v_fmaak_f32 v17, v1, v17, 0x3d2aabf7
	v_fma_f32 v0, v0, v15, 1.0
	v_xor_b32_e32 v2, v2, v3
	s_delay_alu instid0(VALU_DEP_4) | instskip(NEXT) | instid1(VALU_DEP_4)
	v_and_b32_e32 v12, 0x80000000, v12
	v_fmaak_f32 v17, v1, v17, 0xbf000004
	s_delay_alu instid0(VALU_DEP_4) | instskip(SKIP_1) | instid1(VALU_DEP_3)
	v_cndmask_b32_e64 v0, -v5, v0, vcc_lo
	v_cmp_eq_u32_e32 vcc_lo, 0, v18
	v_fma_f32 v1, v1, v17, 1.0
	s_delay_alu instid0(VALU_DEP_3) | instskip(NEXT) | instid1(VALU_DEP_2)
	v_bitop3_b32 v0, v6, v0, 0x80000000 bitop3:0x6c
	v_cndmask_b32_e32 v1, v1, v9, vcc_lo
	v_cmp_class_f32_e64 vcc_lo, v3, 0x1f8
	s_delay_alu instid0(VALU_DEP_2) | instskip(NEXT) | instid1(VALU_DEP_4)
	v_xor3_b32 v1, v2, v12, v1
	v_cndmask_b32_e32 v0, 0x7fc00000, v0, vcc_lo
	s_delay_alu instid0(VALU_DEP_1) | instskip(NEXT) | instid1(VALU_DEP_1)
	v_dual_cndmask_b32 v1, 0x7fc00000, v1 :: v_dual_mul_f32 v0, v4, v0
	v_dual_mul_f32 v1, v1, -v4 :: v_dual_mov_b32 v3, v0
	s_wait_loadcnt 0x0
	s_delay_alu instid0(VALU_DEP_1) | instskip(SKIP_1) | instid1(VALU_DEP_2)
	v_dual_mov_b32 v2, v1 :: v_dual_lshrrev_b32 v5, 16, v8
	v_cvt_f32_f16_e32 v4, v8
	v_cvt_f32_f16_e32 v5, v5
	s_delay_alu instid0(VALU_DEP_1) | instskip(SKIP_1) | instid1(VALU_DEP_1)
	v_pk_mul_f32 v[2:3], v[2:3], v[4:5]
	v_pk_mul_f32 v[0:1], v[0:1], v[4:5]
	v_dual_add_f32 v2, v3, v2 :: v_dual_sub_f32 v0, v0, v1
	s_delay_alu instid0(VALU_DEP_1) | instskip(NEXT) | instid1(VALU_DEP_2)
	v_cvt_f16_f32_e32 v1, v2
	v_cvt_f16_f32_e32 v0, v0
	s_delay_alu instid0(VALU_DEP_2) | instskip(NEXT) | instid1(VALU_DEP_2)
	v_lshlrev_b32_e32 v1, 16, v1
	v_and_b32_e32 v0, 0xffff, v0
	s_delay_alu instid0(VALU_DEP_1)
	v_or_b32_e32 v2, v1, v0
.LBB39_19:
	s_or_b32 exec_lo, exec_lo, s11
	v_mul_lo_u32 v0, v11, s10
	s_delay_alu instid0(VALU_DEP_1) | instskip(NEXT) | instid1(VALU_DEP_1)
	v_add3_u32 v0, v0, v10, v7
	v_ashrrev_i32_e32 v1, 31, v0
	s_wait_kmcnt 0x0
	s_delay_alu instid0(VALU_DEP_1)
	v_lshl_add_u64 v[0:1], v[0:1], 1, s[14:15]
	s_wait_loadcnt 0x0
	global_store_b32 v[0:1], v2, off
.LBB39_20:
	s_endpgm
	.section	.rodata,"a",@progbits
	.p2align	6, 0x0
	.amdhsa_kernel _ZL9rope_normILb0ELb1E6__halfS0_EvPKT1_PT2_iiiiiiiiiiPKifff14rope_corr_dimsfPKfPKli
		.amdhsa_group_segment_fixed_size 0
		.amdhsa_private_segment_fixed_size 0
		.amdhsa_kernarg_size 368
		.amdhsa_user_sgpr_count 2
		.amdhsa_user_sgpr_dispatch_ptr 0
		.amdhsa_user_sgpr_queue_ptr 0
		.amdhsa_user_sgpr_kernarg_segment_ptr 1
		.amdhsa_user_sgpr_dispatch_id 0
		.amdhsa_user_sgpr_kernarg_preload_length 0
		.amdhsa_user_sgpr_kernarg_preload_offset 0
		.amdhsa_user_sgpr_private_segment_size 0
		.amdhsa_wavefront_size32 1
		.amdhsa_uses_dynamic_stack 0
		.amdhsa_enable_private_segment 0
		.amdhsa_system_sgpr_workgroup_id_x 1
		.amdhsa_system_sgpr_workgroup_id_y 1
		.amdhsa_system_sgpr_workgroup_id_z 0
		.amdhsa_system_sgpr_workgroup_info 0
		.amdhsa_system_vgpr_workitem_id 1
		.amdhsa_next_free_vgpr 28
		.amdhsa_next_free_sgpr 20
		.amdhsa_named_barrier_count 0
		.amdhsa_reserve_vcc 1
		.amdhsa_float_round_mode_32 0
		.amdhsa_float_round_mode_16_64 0
		.amdhsa_float_denorm_mode_32 3
		.amdhsa_float_denorm_mode_16_64 3
		.amdhsa_fp16_overflow 0
		.amdhsa_memory_ordered 1
		.amdhsa_forward_progress 1
		.amdhsa_inst_pref_size 38
		.amdhsa_round_robin_scheduling 0
		.amdhsa_exception_fp_ieee_invalid_op 0
		.amdhsa_exception_fp_denorm_src 0
		.amdhsa_exception_fp_ieee_div_zero 0
		.amdhsa_exception_fp_ieee_overflow 0
		.amdhsa_exception_fp_ieee_underflow 0
		.amdhsa_exception_fp_ieee_inexact 0
		.amdhsa_exception_int_div_zero 0
	.end_amdhsa_kernel
	.section	.text._ZL9rope_normILb0ELb1E6__halfS0_EvPKT1_PT2_iiiiiiiiiiPKifff14rope_corr_dimsfPKfPKli,"axG",@progbits,_ZL9rope_normILb0ELb1E6__halfS0_EvPKT1_PT2_iiiiiiiiiiPKifff14rope_corr_dimsfPKfPKli,comdat
.Lfunc_end39:
	.size	_ZL9rope_normILb0ELb1E6__halfS0_EvPKT1_PT2_iiiiiiiiiiPKifff14rope_corr_dimsfPKfPKli, .Lfunc_end39-_ZL9rope_normILb0ELb1E6__halfS0_EvPKT1_PT2_iiiiiiiiiiPKifff14rope_corr_dimsfPKfPKli
                                        ; -- End function
	.set _ZL9rope_normILb0ELb1E6__halfS0_EvPKT1_PT2_iiiiiiiiiiPKifff14rope_corr_dimsfPKfPKli.num_vgpr, 28
	.set _ZL9rope_normILb0ELb1E6__halfS0_EvPKT1_PT2_iiiiiiiiiiPKifff14rope_corr_dimsfPKfPKli.num_agpr, 0
	.set _ZL9rope_normILb0ELb1E6__halfS0_EvPKT1_PT2_iiiiiiiiiiPKifff14rope_corr_dimsfPKfPKli.numbered_sgpr, 20
	.set _ZL9rope_normILb0ELb1E6__halfS0_EvPKT1_PT2_iiiiiiiiiiPKifff14rope_corr_dimsfPKfPKli.num_named_barrier, 0
	.set _ZL9rope_normILb0ELb1E6__halfS0_EvPKT1_PT2_iiiiiiiiiiPKifff14rope_corr_dimsfPKfPKli.private_seg_size, 0
	.set _ZL9rope_normILb0ELb1E6__halfS0_EvPKT1_PT2_iiiiiiiiiiPKifff14rope_corr_dimsfPKfPKli.uses_vcc, 1
	.set _ZL9rope_normILb0ELb1E6__halfS0_EvPKT1_PT2_iiiiiiiiiiPKifff14rope_corr_dimsfPKfPKli.uses_flat_scratch, 0
	.set _ZL9rope_normILb0ELb1E6__halfS0_EvPKT1_PT2_iiiiiiiiiiPKifff14rope_corr_dimsfPKfPKli.has_dyn_sized_stack, 0
	.set _ZL9rope_normILb0ELb1E6__halfS0_EvPKT1_PT2_iiiiiiiiiiPKifff14rope_corr_dimsfPKfPKli.has_recursion, 0
	.set _ZL9rope_normILb0ELb1E6__halfS0_EvPKT1_PT2_iiiiiiiiiiPKifff14rope_corr_dimsfPKfPKli.has_indirect_call, 0
	.section	.AMDGPU.csdata,"",@progbits
; Kernel info:
; codeLenInByte = 4792
; TotalNumSgprs: 22
; NumVgprs: 28
; ScratchSize: 0
; MemoryBound: 0
; FloatMode: 240
; IeeeMode: 1
; LDSByteSize: 0 bytes/workgroup (compile time only)
; SGPRBlocks: 0
; VGPRBlocks: 1
; NumSGPRsForWavesPerEU: 22
; NumVGPRsForWavesPerEU: 28
; NamedBarCnt: 0
; Occupancy: 16
; WaveLimiterHint : 0
; COMPUTE_PGM_RSRC2:SCRATCH_EN: 0
; COMPUTE_PGM_RSRC2:USER_SGPR: 2
; COMPUTE_PGM_RSRC2:TRAP_HANDLER: 0
; COMPUTE_PGM_RSRC2:TGID_X_EN: 1
; COMPUTE_PGM_RSRC2:TGID_Y_EN: 1
; COMPUTE_PGM_RSRC2:TGID_Z_EN: 0
; COMPUTE_PGM_RSRC2:TIDIG_COMP_CNT: 1
	.section	.AMDGPU.gpr_maximums,"",@progbits
	.set amdgpu.max_num_vgpr, 0
	.set amdgpu.max_num_agpr, 0
	.set amdgpu.max_num_sgpr, 0
	.section	.AMDGPU.csdata,"",@progbits
	.type	__hip_cuid_e2aebf96e471ccb5,@object ; @__hip_cuid_e2aebf96e471ccb5
	.section	.bss,"aw",@nobits
	.globl	__hip_cuid_e2aebf96e471ccb5
__hip_cuid_e2aebf96e471ccb5:
	.byte	0                               ; 0x0
	.size	__hip_cuid_e2aebf96e471ccb5, 1

	.ident	"AMD clang version 22.0.0git (https://github.com/RadeonOpenCompute/llvm-project roc-7.2.4 26084 f58b06dce1f9c15707c5f808fd002e18c2accf7e)"
	.section	".note.GNU-stack","",@progbits
	.addrsig
	.addrsig_sym __hip_cuid_e2aebf96e471ccb5
	.amdgpu_metadata
---
amdhsa.kernels:
  - .args:
      - .address_space:  global
        .offset:         0
        .size:           8
        .value_kind:     global_buffer
      - .address_space:  global
        .offset:         8
        .size:           8
        .value_kind:     global_buffer
      - .offset:         16
        .size:           4
        .value_kind:     by_value
      - .offset:         20
        .size:           4
        .value_kind:     by_value
      - .offset:         24
        .size:           4
        .value_kind:     by_value
      - .offset:         28
        .size:           4
        .value_kind:     by_value
      - .offset:         32
        .size:           4
        .value_kind:     by_value
      - .offset:         36
        .size:           4
        .value_kind:     by_value
      - .offset:         40
        .size:           4
        .value_kind:     by_value
      - .offset:         44
        .size:           4
        .value_kind:     by_value
      - .offset:         48
        .size:           4
        .value_kind:     by_value
      - .offset:         52
        .size:           4
        .value_kind:     by_value
      - .address_space:  global
        .offset:         56
        .size:           8
        .value_kind:     global_buffer
      - .offset:         64
        .size:           4
        .value_kind:     by_value
      - .offset:         68
        .size:           4
        .value_kind:     by_value
      - .offset:         72
        .size:           4
        .value_kind:     by_value
      - .offset:         76
        .size:           8
        .value_kind:     by_value
      - .offset:         84
        .size:           4
        .value_kind:     by_value
      - .address_space:  global
        .offset:         88
        .size:           8
        .value_kind:     global_buffer
      - .address_space:  global
        .offset:         96
        .size:           8
        .value_kind:     global_buffer
      - .offset:         104
        .size:           4
        .value_kind:     by_value
      - .offset:         112
        .size:           4
        .value_kind:     hidden_block_count_x
      - .offset:         116
        .size:           4
        .value_kind:     hidden_block_count_y
      - .offset:         120
        .size:           4
        .value_kind:     hidden_block_count_z
      - .offset:         124
        .size:           2
        .value_kind:     hidden_group_size_x
      - .offset:         126
        .size:           2
        .value_kind:     hidden_group_size_y
      - .offset:         128
        .size:           2
        .value_kind:     hidden_group_size_z
      - .offset:         130
        .size:           2
        .value_kind:     hidden_remainder_x
      - .offset:         132
        .size:           2
        .value_kind:     hidden_remainder_y
      - .offset:         134
        .size:           2
        .value_kind:     hidden_remainder_z
      - .offset:         152
        .size:           8
        .value_kind:     hidden_global_offset_x
      - .offset:         160
        .size:           8
        .value_kind:     hidden_global_offset_y
      - .offset:         168
        .size:           8
        .value_kind:     hidden_global_offset_z
      - .offset:         176
        .size:           2
        .value_kind:     hidden_grid_dims
    .group_segment_fixed_size: 0
    .kernarg_segment_align: 8
    .kernarg_segment_size: 368
    .language:       OpenCL C
    .language_version:
      - 2
      - 0
    .max_flat_workgroup_size: 1024
    .name:           _ZL9rope_neoxILb1ELb0EffEvPKT1_PT2_iiiiiiiiiiPKifff14rope_corr_dimsfPKfPKli
    .private_segment_fixed_size: 0
    .sgpr_count:     20
    .sgpr_spill_count: 0
    .symbol:         _ZL9rope_neoxILb1ELb0EffEvPKT1_PT2_iiiiiiiiiiPKifff14rope_corr_dimsfPKfPKli.kd
    .uniform_work_group_size: 1
    .uses_dynamic_stack: false
    .vgpr_count:     24
    .vgpr_spill_count: 0
    .wavefront_size: 32
  - .args:
      - .address_space:  global
        .offset:         0
        .size:           8
        .value_kind:     global_buffer
      - .address_space:  global
        .offset:         8
        .size:           8
        .value_kind:     global_buffer
      - .offset:         16
        .size:           4
        .value_kind:     by_value
      - .offset:         20
        .size:           4
        .value_kind:     by_value
      - .offset:         24
        .size:           4
        .value_kind:     by_value
      - .offset:         28
        .size:           4
        .value_kind:     by_value
      - .offset:         32
        .size:           4
        .value_kind:     by_value
      - .offset:         36
        .size:           4
        .value_kind:     by_value
      - .offset:         40
        .size:           4
        .value_kind:     by_value
      - .offset:         44
        .size:           4
        .value_kind:     by_value
      - .offset:         48
        .size:           4
        .value_kind:     by_value
      - .offset:         52
        .size:           4
        .value_kind:     by_value
      - .address_space:  global
        .offset:         56
        .size:           8
        .value_kind:     global_buffer
      - .offset:         64
        .size:           4
        .value_kind:     by_value
      - .offset:         68
        .size:           4
        .value_kind:     by_value
      - .offset:         72
        .size:           4
        .value_kind:     by_value
      - .offset:         76
        .size:           8
        .value_kind:     by_value
      - .offset:         84
        .size:           4
        .value_kind:     by_value
      - .address_space:  global
        .offset:         88
        .size:           8
        .value_kind:     global_buffer
      - .address_space:  global
        .offset:         96
        .size:           8
        .value_kind:     global_buffer
      - .offset:         104
        .size:           4
        .value_kind:     by_value
      - .offset:         112
        .size:           4
        .value_kind:     hidden_block_count_x
      - .offset:         116
        .size:           4
        .value_kind:     hidden_block_count_y
      - .offset:         120
        .size:           4
        .value_kind:     hidden_block_count_z
      - .offset:         124
        .size:           2
        .value_kind:     hidden_group_size_x
      - .offset:         126
        .size:           2
        .value_kind:     hidden_group_size_y
      - .offset:         128
        .size:           2
        .value_kind:     hidden_group_size_z
      - .offset:         130
        .size:           2
        .value_kind:     hidden_remainder_x
      - .offset:         132
        .size:           2
        .value_kind:     hidden_remainder_y
      - .offset:         134
        .size:           2
        .value_kind:     hidden_remainder_z
      - .offset:         152
        .size:           8
        .value_kind:     hidden_global_offset_x
      - .offset:         160
        .size:           8
        .value_kind:     hidden_global_offset_y
      - .offset:         168
        .size:           8
        .value_kind:     hidden_global_offset_z
      - .offset:         176
        .size:           2
        .value_kind:     hidden_grid_dims
    .group_segment_fixed_size: 0
    .kernarg_segment_align: 8
    .kernarg_segment_size: 368
    .language:       OpenCL C
    .language_version:
      - 2
      - 0
    .max_flat_workgroup_size: 1024
    .name:           _ZL9rope_neoxILb1ELb1EffEvPKT1_PT2_iiiiiiiiiiPKifff14rope_corr_dimsfPKfPKli
    .private_segment_fixed_size: 0
    .sgpr_count:     24
    .sgpr_spill_count: 0
    .symbol:         _ZL9rope_neoxILb1ELb1EffEvPKT1_PT2_iiiiiiiiiiPKifff14rope_corr_dimsfPKfPKli.kd
    .uniform_work_group_size: 1
    .uses_dynamic_stack: false
    .vgpr_count:     24
    .vgpr_spill_count: 0
    .wavefront_size: 32
  - .args:
      - .address_space:  global
        .offset:         0
        .size:           8
        .value_kind:     global_buffer
      - .address_space:  global
        .offset:         8
        .size:           8
        .value_kind:     global_buffer
      - .offset:         16
        .size:           4
        .value_kind:     by_value
      - .offset:         20
        .size:           4
        .value_kind:     by_value
      - .offset:         24
        .size:           4
        .value_kind:     by_value
      - .offset:         28
        .size:           4
        .value_kind:     by_value
      - .offset:         32
        .size:           4
        .value_kind:     by_value
      - .offset:         36
        .size:           4
        .value_kind:     by_value
      - .offset:         40
        .size:           4
        .value_kind:     by_value
      - .offset:         44
        .size:           4
        .value_kind:     by_value
      - .offset:         48
        .size:           4
        .value_kind:     by_value
      - .offset:         52
        .size:           4
        .value_kind:     by_value
      - .address_space:  global
        .offset:         56
        .size:           8
        .value_kind:     global_buffer
      - .offset:         64
        .size:           4
        .value_kind:     by_value
      - .offset:         68
        .size:           4
        .value_kind:     by_value
      - .offset:         72
        .size:           4
        .value_kind:     by_value
      - .offset:         76
        .size:           8
        .value_kind:     by_value
      - .offset:         84
        .size:           4
        .value_kind:     by_value
      - .address_space:  global
        .offset:         88
        .size:           8
        .value_kind:     global_buffer
      - .address_space:  global
        .offset:         96
        .size:           8
        .value_kind:     global_buffer
      - .offset:         104
        .size:           4
        .value_kind:     by_value
      - .offset:         112
        .size:           4
        .value_kind:     hidden_block_count_x
      - .offset:         116
        .size:           4
        .value_kind:     hidden_block_count_y
      - .offset:         120
        .size:           4
        .value_kind:     hidden_block_count_z
      - .offset:         124
        .size:           2
        .value_kind:     hidden_group_size_x
      - .offset:         126
        .size:           2
        .value_kind:     hidden_group_size_y
      - .offset:         128
        .size:           2
        .value_kind:     hidden_group_size_z
      - .offset:         130
        .size:           2
        .value_kind:     hidden_remainder_x
      - .offset:         132
        .size:           2
        .value_kind:     hidden_remainder_y
      - .offset:         134
        .size:           2
        .value_kind:     hidden_remainder_z
      - .offset:         152
        .size:           8
        .value_kind:     hidden_global_offset_x
      - .offset:         160
        .size:           8
        .value_kind:     hidden_global_offset_y
      - .offset:         168
        .size:           8
        .value_kind:     hidden_global_offset_z
      - .offset:         176
        .size:           2
        .value_kind:     hidden_grid_dims
    .group_segment_fixed_size: 0
    .kernarg_segment_align: 8
    .kernarg_segment_size: 368
    .language:       OpenCL C
    .language_version:
      - 2
      - 0
    .max_flat_workgroup_size: 1024
    .name:           _ZL9rope_neoxILb1ELb0Ef6__halfEvPKT1_PT2_iiiiiiiiiiPKifff14rope_corr_dimsfPKfPKli
    .private_segment_fixed_size: 0
    .sgpr_count:     20
    .sgpr_spill_count: 0
    .symbol:         _ZL9rope_neoxILb1ELb0Ef6__halfEvPKT1_PT2_iiiiiiiiiiPKifff14rope_corr_dimsfPKfPKli.kd
    .uniform_work_group_size: 1
    .uses_dynamic_stack: false
    .vgpr_count:     24
    .vgpr_spill_count: 0
    .wavefront_size: 32
  - .args:
      - .address_space:  global
        .offset:         0
        .size:           8
        .value_kind:     global_buffer
      - .address_space:  global
        .offset:         8
        .size:           8
        .value_kind:     global_buffer
      - .offset:         16
        .size:           4
        .value_kind:     by_value
      - .offset:         20
        .size:           4
        .value_kind:     by_value
      - .offset:         24
        .size:           4
        .value_kind:     by_value
      - .offset:         28
        .size:           4
        .value_kind:     by_value
      - .offset:         32
        .size:           4
        .value_kind:     by_value
      - .offset:         36
        .size:           4
        .value_kind:     by_value
      - .offset:         40
        .size:           4
        .value_kind:     by_value
      - .offset:         44
        .size:           4
        .value_kind:     by_value
      - .offset:         48
        .size:           4
        .value_kind:     by_value
      - .offset:         52
        .size:           4
        .value_kind:     by_value
      - .address_space:  global
        .offset:         56
        .size:           8
        .value_kind:     global_buffer
      - .offset:         64
        .size:           4
        .value_kind:     by_value
      - .offset:         68
        .size:           4
        .value_kind:     by_value
      - .offset:         72
        .size:           4
        .value_kind:     by_value
      - .offset:         76
        .size:           8
        .value_kind:     by_value
      - .offset:         84
        .size:           4
        .value_kind:     by_value
      - .address_space:  global
        .offset:         88
        .size:           8
        .value_kind:     global_buffer
      - .address_space:  global
        .offset:         96
        .size:           8
        .value_kind:     global_buffer
      - .offset:         104
        .size:           4
        .value_kind:     by_value
      - .offset:         112
        .size:           4
        .value_kind:     hidden_block_count_x
      - .offset:         116
        .size:           4
        .value_kind:     hidden_block_count_y
      - .offset:         120
        .size:           4
        .value_kind:     hidden_block_count_z
      - .offset:         124
        .size:           2
        .value_kind:     hidden_group_size_x
      - .offset:         126
        .size:           2
        .value_kind:     hidden_group_size_y
      - .offset:         128
        .size:           2
        .value_kind:     hidden_group_size_z
      - .offset:         130
        .size:           2
        .value_kind:     hidden_remainder_x
      - .offset:         132
        .size:           2
        .value_kind:     hidden_remainder_y
      - .offset:         134
        .size:           2
        .value_kind:     hidden_remainder_z
      - .offset:         152
        .size:           8
        .value_kind:     hidden_global_offset_x
      - .offset:         160
        .size:           8
        .value_kind:     hidden_global_offset_y
      - .offset:         168
        .size:           8
        .value_kind:     hidden_global_offset_z
      - .offset:         176
        .size:           2
        .value_kind:     hidden_grid_dims
    .group_segment_fixed_size: 0
    .kernarg_segment_align: 8
    .kernarg_segment_size: 368
    .language:       OpenCL C
    .language_version:
      - 2
      - 0
    .max_flat_workgroup_size: 1024
    .name:           _ZL9rope_neoxILb1ELb1Ef6__halfEvPKT1_PT2_iiiiiiiiiiPKifff14rope_corr_dimsfPKfPKli
    .private_segment_fixed_size: 0
    .sgpr_count:     24
    .sgpr_spill_count: 0
    .symbol:         _ZL9rope_neoxILb1ELb1Ef6__halfEvPKT1_PT2_iiiiiiiiiiPKifff14rope_corr_dimsfPKfPKli.kd
    .uniform_work_group_size: 1
    .uses_dynamic_stack: false
    .vgpr_count:     24
    .vgpr_spill_count: 0
    .wavefront_size: 32
  - .args:
      - .address_space:  global
        .offset:         0
        .size:           8
        .value_kind:     global_buffer
      - .address_space:  global
        .offset:         8
        .size:           8
        .value_kind:     global_buffer
      - .offset:         16
        .size:           4
        .value_kind:     by_value
      - .offset:         20
        .size:           4
        .value_kind:     by_value
      - .offset:         24
        .size:           4
        .value_kind:     by_value
      - .offset:         28
        .size:           4
        .value_kind:     by_value
      - .offset:         32
        .size:           4
        .value_kind:     by_value
      - .offset:         36
        .size:           4
        .value_kind:     by_value
      - .offset:         40
        .size:           4
        .value_kind:     by_value
      - .offset:         44
        .size:           4
        .value_kind:     by_value
      - .offset:         48
        .size:           4
        .value_kind:     by_value
      - .offset:         52
        .size:           4
        .value_kind:     by_value
      - .address_space:  global
        .offset:         56
        .size:           8
        .value_kind:     global_buffer
      - .offset:         64
        .size:           4
        .value_kind:     by_value
      - .offset:         68
        .size:           4
        .value_kind:     by_value
      - .offset:         72
        .size:           4
        .value_kind:     by_value
      - .offset:         76
        .size:           8
        .value_kind:     by_value
      - .offset:         84
        .size:           4
        .value_kind:     by_value
      - .address_space:  global
        .offset:         88
        .size:           8
        .value_kind:     global_buffer
      - .address_space:  global
        .offset:         96
        .size:           8
        .value_kind:     global_buffer
      - .offset:         104
        .size:           4
        .value_kind:     by_value
      - .offset:         112
        .size:           4
        .value_kind:     hidden_block_count_x
      - .offset:         116
        .size:           4
        .value_kind:     hidden_block_count_y
      - .offset:         120
        .size:           4
        .value_kind:     hidden_block_count_z
      - .offset:         124
        .size:           2
        .value_kind:     hidden_group_size_x
      - .offset:         126
        .size:           2
        .value_kind:     hidden_group_size_y
      - .offset:         128
        .size:           2
        .value_kind:     hidden_group_size_z
      - .offset:         130
        .size:           2
        .value_kind:     hidden_remainder_x
      - .offset:         132
        .size:           2
        .value_kind:     hidden_remainder_y
      - .offset:         134
        .size:           2
        .value_kind:     hidden_remainder_z
      - .offset:         152
        .size:           8
        .value_kind:     hidden_global_offset_x
      - .offset:         160
        .size:           8
        .value_kind:     hidden_global_offset_y
      - .offset:         168
        .size:           8
        .value_kind:     hidden_global_offset_z
      - .offset:         176
        .size:           2
        .value_kind:     hidden_grid_dims
    .group_segment_fixed_size: 0
    .kernarg_segment_align: 8
    .kernarg_segment_size: 368
    .language:       OpenCL C
    .language_version:
      - 2
      - 0
    .max_flat_workgroup_size: 1024
    .name:           _ZL9rope_neoxILb1ELb0E6__halfS0_EvPKT1_PT2_iiiiiiiiiiPKifff14rope_corr_dimsfPKfPKli
    .private_segment_fixed_size: 0
    .sgpr_count:     20
    .sgpr_spill_count: 0
    .symbol:         _ZL9rope_neoxILb1ELb0E6__halfS0_EvPKT1_PT2_iiiiiiiiiiPKifff14rope_corr_dimsfPKfPKli.kd
    .uniform_work_group_size: 1
    .uses_dynamic_stack: false
    .vgpr_count:     24
    .vgpr_spill_count: 0
    .wavefront_size: 32
  - .args:
      - .address_space:  global
        .offset:         0
        .size:           8
        .value_kind:     global_buffer
      - .address_space:  global
        .offset:         8
        .size:           8
        .value_kind:     global_buffer
      - .offset:         16
        .size:           4
        .value_kind:     by_value
      - .offset:         20
        .size:           4
        .value_kind:     by_value
      - .offset:         24
        .size:           4
        .value_kind:     by_value
      - .offset:         28
        .size:           4
        .value_kind:     by_value
      - .offset:         32
        .size:           4
        .value_kind:     by_value
      - .offset:         36
        .size:           4
        .value_kind:     by_value
      - .offset:         40
        .size:           4
        .value_kind:     by_value
      - .offset:         44
        .size:           4
        .value_kind:     by_value
      - .offset:         48
        .size:           4
        .value_kind:     by_value
      - .offset:         52
        .size:           4
        .value_kind:     by_value
      - .address_space:  global
        .offset:         56
        .size:           8
        .value_kind:     global_buffer
      - .offset:         64
        .size:           4
        .value_kind:     by_value
      - .offset:         68
        .size:           4
        .value_kind:     by_value
      - .offset:         72
        .size:           4
        .value_kind:     by_value
      - .offset:         76
        .size:           8
        .value_kind:     by_value
      - .offset:         84
        .size:           4
        .value_kind:     by_value
      - .address_space:  global
        .offset:         88
        .size:           8
        .value_kind:     global_buffer
      - .address_space:  global
        .offset:         96
        .size:           8
        .value_kind:     global_buffer
      - .offset:         104
        .size:           4
        .value_kind:     by_value
      - .offset:         112
        .size:           4
        .value_kind:     hidden_block_count_x
      - .offset:         116
        .size:           4
        .value_kind:     hidden_block_count_y
      - .offset:         120
        .size:           4
        .value_kind:     hidden_block_count_z
      - .offset:         124
        .size:           2
        .value_kind:     hidden_group_size_x
      - .offset:         126
        .size:           2
        .value_kind:     hidden_group_size_y
      - .offset:         128
        .size:           2
        .value_kind:     hidden_group_size_z
      - .offset:         130
        .size:           2
        .value_kind:     hidden_remainder_x
      - .offset:         132
        .size:           2
        .value_kind:     hidden_remainder_y
      - .offset:         134
        .size:           2
        .value_kind:     hidden_remainder_z
      - .offset:         152
        .size:           8
        .value_kind:     hidden_global_offset_x
      - .offset:         160
        .size:           8
        .value_kind:     hidden_global_offset_y
      - .offset:         168
        .size:           8
        .value_kind:     hidden_global_offset_z
      - .offset:         176
        .size:           2
        .value_kind:     hidden_grid_dims
    .group_segment_fixed_size: 0
    .kernarg_segment_align: 8
    .kernarg_segment_size: 368
    .language:       OpenCL C
    .language_version:
      - 2
      - 0
    .max_flat_workgroup_size: 1024
    .name:           _ZL9rope_neoxILb1ELb1E6__halfS0_EvPKT1_PT2_iiiiiiiiiiPKifff14rope_corr_dimsfPKfPKli
    .private_segment_fixed_size: 0
    .sgpr_count:     24
    .sgpr_spill_count: 0
    .symbol:         _ZL9rope_neoxILb1ELb1E6__halfS0_EvPKT1_PT2_iiiiiiiiiiPKifff14rope_corr_dimsfPKfPKli.kd
    .uniform_work_group_size: 1
    .uses_dynamic_stack: false
    .vgpr_count:     24
    .vgpr_spill_count: 0
    .wavefront_size: 32
  - .args:
      - .address_space:  global
        .offset:         0
        .size:           8
        .value_kind:     global_buffer
      - .address_space:  global
        .offset:         8
        .size:           8
        .value_kind:     global_buffer
      - .offset:         16
        .size:           4
        .value_kind:     by_value
      - .offset:         20
        .size:           4
        .value_kind:     by_value
      - .offset:         24
        .size:           4
        .value_kind:     by_value
      - .offset:         28
        .size:           4
        .value_kind:     by_value
      - .offset:         32
        .size:           4
        .value_kind:     by_value
      - .offset:         36
        .size:           4
        .value_kind:     by_value
      - .offset:         40
        .size:           4
        .value_kind:     by_value
      - .offset:         44
        .size:           4
        .value_kind:     by_value
      - .offset:         48
        .size:           4
        .value_kind:     by_value
      - .offset:         52
        .size:           4
        .value_kind:     by_value
      - .address_space:  global
        .offset:         56
        .size:           8
        .value_kind:     global_buffer
      - .offset:         64
        .size:           4
        .value_kind:     by_value
      - .offset:         68
        .size:           4
        .value_kind:     by_value
      - .offset:         72
        .size:           4
        .value_kind:     by_value
      - .offset:         76
        .size:           8
        .value_kind:     by_value
      - .offset:         84
        .size:           4
        .value_kind:     by_value
      - .address_space:  global
        .offset:         88
        .size:           8
        .value_kind:     global_buffer
      - .offset:         96
        .size:           16
        .value_kind:     by_value
      - .offset:         112
        .size:           1
        .value_kind:     by_value
      - .offset:         120
        .size:           4
        .value_kind:     hidden_block_count_x
      - .offset:         124
        .size:           4
        .value_kind:     hidden_block_count_y
      - .offset:         128
        .size:           4
        .value_kind:     hidden_block_count_z
      - .offset:         132
        .size:           2
        .value_kind:     hidden_group_size_x
      - .offset:         134
        .size:           2
        .value_kind:     hidden_group_size_y
      - .offset:         136
        .size:           2
        .value_kind:     hidden_group_size_z
      - .offset:         138
        .size:           2
        .value_kind:     hidden_remainder_x
      - .offset:         140
        .size:           2
        .value_kind:     hidden_remainder_y
      - .offset:         142
        .size:           2
        .value_kind:     hidden_remainder_z
      - .offset:         160
        .size:           8
        .value_kind:     hidden_global_offset_x
      - .offset:         168
        .size:           8
        .value_kind:     hidden_global_offset_y
      - .offset:         176
        .size:           8
        .value_kind:     hidden_global_offset_z
      - .offset:         184
        .size:           2
        .value_kind:     hidden_grid_dims
    .group_segment_fixed_size: 0
    .kernarg_segment_align: 8
    .kernarg_segment_size: 376
    .language:       OpenCL C
    .language_version:
      - 2
      - 0
    .max_flat_workgroup_size: 1024
    .name:           _ZL10rope_multiILb1ELb0EfEvPKT1_PS0_iiiiiiiiiiPKifff14rope_corr_dimsfPKf14mrope_sectionsb
    .private_segment_fixed_size: 0
    .sgpr_count:     27
    .sgpr_spill_count: 0
    .symbol:         _ZL10rope_multiILb1ELb0EfEvPKT1_PS0_iiiiiiiiiiPKifff14rope_corr_dimsfPKf14mrope_sectionsb.kd
    .uniform_work_group_size: 1
    .uses_dynamic_stack: false
    .vgpr_count:     25
    .vgpr_spill_count: 0
    .wavefront_size: 32
  - .args:
      - .address_space:  global
        .offset:         0
        .size:           8
        .value_kind:     global_buffer
      - .address_space:  global
        .offset:         8
        .size:           8
        .value_kind:     global_buffer
      - .offset:         16
        .size:           4
        .value_kind:     by_value
      - .offset:         20
        .size:           4
        .value_kind:     by_value
      - .offset:         24
        .size:           4
        .value_kind:     by_value
      - .offset:         28
        .size:           4
        .value_kind:     by_value
      - .offset:         32
        .size:           4
        .value_kind:     by_value
      - .offset:         36
        .size:           4
        .value_kind:     by_value
      - .offset:         40
        .size:           4
        .value_kind:     by_value
      - .offset:         44
        .size:           4
        .value_kind:     by_value
      - .offset:         48
        .size:           4
        .value_kind:     by_value
      - .offset:         52
        .size:           4
        .value_kind:     by_value
      - .address_space:  global
        .offset:         56
        .size:           8
        .value_kind:     global_buffer
      - .offset:         64
        .size:           4
        .value_kind:     by_value
      - .offset:         68
        .size:           4
        .value_kind:     by_value
      - .offset:         72
        .size:           4
        .value_kind:     by_value
      - .offset:         76
        .size:           8
        .value_kind:     by_value
      - .offset:         84
        .size:           4
        .value_kind:     by_value
      - .address_space:  global
        .offset:         88
        .size:           8
        .value_kind:     global_buffer
      - .offset:         96
        .size:           16
        .value_kind:     by_value
      - .offset:         112
        .size:           1
        .value_kind:     by_value
      - .offset:         120
        .size:           4
        .value_kind:     hidden_block_count_x
      - .offset:         124
        .size:           4
        .value_kind:     hidden_block_count_y
      - .offset:         128
        .size:           4
        .value_kind:     hidden_block_count_z
      - .offset:         132
        .size:           2
        .value_kind:     hidden_group_size_x
      - .offset:         134
        .size:           2
        .value_kind:     hidden_group_size_y
      - .offset:         136
        .size:           2
        .value_kind:     hidden_group_size_z
      - .offset:         138
        .size:           2
        .value_kind:     hidden_remainder_x
      - .offset:         140
        .size:           2
        .value_kind:     hidden_remainder_y
      - .offset:         142
        .size:           2
        .value_kind:     hidden_remainder_z
      - .offset:         160
        .size:           8
        .value_kind:     hidden_global_offset_x
      - .offset:         168
        .size:           8
        .value_kind:     hidden_global_offset_y
      - .offset:         176
        .size:           8
        .value_kind:     hidden_global_offset_z
      - .offset:         184
        .size:           2
        .value_kind:     hidden_grid_dims
    .group_segment_fixed_size: 0
    .kernarg_segment_align: 8
    .kernarg_segment_size: 376
    .language:       OpenCL C
    .language_version:
      - 2
      - 0
    .max_flat_workgroup_size: 1024
    .name:           _ZL10rope_multiILb1ELb1EfEvPKT1_PS0_iiiiiiiiiiPKifff14rope_corr_dimsfPKf14mrope_sectionsb
    .private_segment_fixed_size: 0
    .sgpr_count:     29
    .sgpr_spill_count: 0
    .symbol:         _ZL10rope_multiILb1ELb1EfEvPKT1_PS0_iiiiiiiiiiPKifff14rope_corr_dimsfPKf14mrope_sectionsb.kd
    .uniform_work_group_size: 1
    .uses_dynamic_stack: false
    .vgpr_count:     25
    .vgpr_spill_count: 0
    .wavefront_size: 32
  - .args:
      - .address_space:  global
        .offset:         0
        .size:           8
        .value_kind:     global_buffer
      - .address_space:  global
        .offset:         8
        .size:           8
        .value_kind:     global_buffer
      - .offset:         16
        .size:           4
        .value_kind:     by_value
      - .offset:         20
        .size:           4
        .value_kind:     by_value
      - .offset:         24
        .size:           4
        .value_kind:     by_value
      - .offset:         28
        .size:           4
        .value_kind:     by_value
      - .offset:         32
        .size:           4
        .value_kind:     by_value
      - .offset:         36
        .size:           4
        .value_kind:     by_value
      - .offset:         40
        .size:           4
        .value_kind:     by_value
      - .offset:         44
        .size:           4
        .value_kind:     by_value
      - .offset:         48
        .size:           4
        .value_kind:     by_value
      - .offset:         52
        .size:           4
        .value_kind:     by_value
      - .address_space:  global
        .offset:         56
        .size:           8
        .value_kind:     global_buffer
      - .offset:         64
        .size:           4
        .value_kind:     by_value
      - .offset:         68
        .size:           4
        .value_kind:     by_value
      - .offset:         72
        .size:           4
        .value_kind:     by_value
      - .offset:         76
        .size:           8
        .value_kind:     by_value
      - .offset:         84
        .size:           4
        .value_kind:     by_value
      - .address_space:  global
        .offset:         88
        .size:           8
        .value_kind:     global_buffer
      - .offset:         96
        .size:           16
        .value_kind:     by_value
      - .offset:         112
        .size:           1
        .value_kind:     by_value
      - .offset:         120
        .size:           4
        .value_kind:     hidden_block_count_x
      - .offset:         124
        .size:           4
        .value_kind:     hidden_block_count_y
      - .offset:         128
        .size:           4
        .value_kind:     hidden_block_count_z
      - .offset:         132
        .size:           2
        .value_kind:     hidden_group_size_x
      - .offset:         134
        .size:           2
        .value_kind:     hidden_group_size_y
      - .offset:         136
        .size:           2
        .value_kind:     hidden_group_size_z
      - .offset:         138
        .size:           2
        .value_kind:     hidden_remainder_x
      - .offset:         140
        .size:           2
        .value_kind:     hidden_remainder_y
      - .offset:         142
        .size:           2
        .value_kind:     hidden_remainder_z
      - .offset:         160
        .size:           8
        .value_kind:     hidden_global_offset_x
      - .offset:         168
        .size:           8
        .value_kind:     hidden_global_offset_y
      - .offset:         176
        .size:           8
        .value_kind:     hidden_global_offset_z
      - .offset:         184
        .size:           2
        .value_kind:     hidden_grid_dims
    .group_segment_fixed_size: 0
    .kernarg_segment_align: 8
    .kernarg_segment_size: 376
    .language:       OpenCL C
    .language_version:
      - 2
      - 0
    .max_flat_workgroup_size: 1024
    .name:           _ZL10rope_multiILb1ELb0E6__halfEvPKT1_PS1_iiiiiiiiiiPKifff14rope_corr_dimsfPKf14mrope_sectionsb
    .private_segment_fixed_size: 0
    .sgpr_count:     27
    .sgpr_spill_count: 0
    .symbol:         _ZL10rope_multiILb1ELb0E6__halfEvPKT1_PS1_iiiiiiiiiiPKifff14rope_corr_dimsfPKf14mrope_sectionsb.kd
    .uniform_work_group_size: 1
    .uses_dynamic_stack: false
    .vgpr_count:     25
    .vgpr_spill_count: 0
    .wavefront_size: 32
  - .args:
      - .address_space:  global
        .offset:         0
        .size:           8
        .value_kind:     global_buffer
      - .address_space:  global
        .offset:         8
        .size:           8
        .value_kind:     global_buffer
      - .offset:         16
        .size:           4
        .value_kind:     by_value
      - .offset:         20
        .size:           4
        .value_kind:     by_value
      - .offset:         24
        .size:           4
        .value_kind:     by_value
      - .offset:         28
        .size:           4
        .value_kind:     by_value
      - .offset:         32
        .size:           4
        .value_kind:     by_value
      - .offset:         36
        .size:           4
        .value_kind:     by_value
      - .offset:         40
        .size:           4
        .value_kind:     by_value
      - .offset:         44
        .size:           4
        .value_kind:     by_value
      - .offset:         48
        .size:           4
        .value_kind:     by_value
      - .offset:         52
        .size:           4
        .value_kind:     by_value
      - .address_space:  global
        .offset:         56
        .size:           8
        .value_kind:     global_buffer
      - .offset:         64
        .size:           4
        .value_kind:     by_value
      - .offset:         68
        .size:           4
        .value_kind:     by_value
      - .offset:         72
        .size:           4
        .value_kind:     by_value
      - .offset:         76
        .size:           8
        .value_kind:     by_value
      - .offset:         84
        .size:           4
        .value_kind:     by_value
      - .address_space:  global
        .offset:         88
        .size:           8
        .value_kind:     global_buffer
      - .offset:         96
        .size:           16
        .value_kind:     by_value
      - .offset:         112
        .size:           1
        .value_kind:     by_value
      - .offset:         120
        .size:           4
        .value_kind:     hidden_block_count_x
      - .offset:         124
        .size:           4
        .value_kind:     hidden_block_count_y
      - .offset:         128
        .size:           4
        .value_kind:     hidden_block_count_z
      - .offset:         132
        .size:           2
        .value_kind:     hidden_group_size_x
      - .offset:         134
        .size:           2
        .value_kind:     hidden_group_size_y
      - .offset:         136
        .size:           2
        .value_kind:     hidden_group_size_z
      - .offset:         138
        .size:           2
        .value_kind:     hidden_remainder_x
      - .offset:         140
        .size:           2
        .value_kind:     hidden_remainder_y
      - .offset:         142
        .size:           2
        .value_kind:     hidden_remainder_z
      - .offset:         160
        .size:           8
        .value_kind:     hidden_global_offset_x
      - .offset:         168
        .size:           8
        .value_kind:     hidden_global_offset_y
      - .offset:         176
        .size:           8
        .value_kind:     hidden_global_offset_z
      - .offset:         184
        .size:           2
        .value_kind:     hidden_grid_dims
    .group_segment_fixed_size: 0
    .kernarg_segment_align: 8
    .kernarg_segment_size: 376
    .language:       OpenCL C
    .language_version:
      - 2
      - 0
    .max_flat_workgroup_size: 1024
    .name:           _ZL10rope_multiILb1ELb1E6__halfEvPKT1_PS1_iiiiiiiiiiPKifff14rope_corr_dimsfPKf14mrope_sectionsb
    .private_segment_fixed_size: 0
    .sgpr_count:     29
    .sgpr_spill_count: 0
    .symbol:         _ZL10rope_multiILb1ELb1E6__halfEvPKT1_PS1_iiiiiiiiiiPKifff14rope_corr_dimsfPKf14mrope_sectionsb.kd
    .uniform_work_group_size: 1
    .uses_dynamic_stack: false
    .vgpr_count:     25
    .vgpr_spill_count: 0
    .wavefront_size: 32
  - .args:
      - .address_space:  global
        .offset:         0
        .size:           8
        .value_kind:     global_buffer
      - .address_space:  global
        .offset:         8
        .size:           8
        .value_kind:     global_buffer
      - .offset:         16
        .size:           4
        .value_kind:     by_value
      - .offset:         20
        .size:           4
        .value_kind:     by_value
      - .offset:         24
        .size:           4
        .value_kind:     by_value
      - .offset:         28
        .size:           4
        .value_kind:     by_value
      - .offset:         32
        .size:           4
        .value_kind:     by_value
      - .offset:         36
        .size:           4
        .value_kind:     by_value
      - .offset:         40
        .size:           4
        .value_kind:     by_value
      - .offset:         44
        .size:           4
        .value_kind:     by_value
      - .offset:         48
        .size:           4
        .value_kind:     by_value
      - .offset:         52
        .size:           4
        .value_kind:     by_value
      - .address_space:  global
        .offset:         56
        .size:           8
        .value_kind:     global_buffer
      - .offset:         64
        .size:           4
        .value_kind:     by_value
      - .offset:         68
        .size:           4
        .value_kind:     by_value
      - .offset:         72
        .size:           4
        .value_kind:     by_value
      - .offset:         76
        .size:           8
        .value_kind:     by_value
      - .offset:         84
        .size:           4
        .value_kind:     by_value
      - .address_space:  global
        .offset:         88
        .size:           8
        .value_kind:     global_buffer
      - .offset:         96
        .size:           16
        .value_kind:     by_value
      - .offset:         112
        .size:           4
        .value_kind:     hidden_block_count_x
      - .offset:         116
        .size:           4
        .value_kind:     hidden_block_count_y
      - .offset:         120
        .size:           4
        .value_kind:     hidden_block_count_z
      - .offset:         124
        .size:           2
        .value_kind:     hidden_group_size_x
      - .offset:         126
        .size:           2
        .value_kind:     hidden_group_size_y
      - .offset:         128
        .size:           2
        .value_kind:     hidden_group_size_z
      - .offset:         130
        .size:           2
        .value_kind:     hidden_remainder_x
      - .offset:         132
        .size:           2
        .value_kind:     hidden_remainder_y
      - .offset:         134
        .size:           2
        .value_kind:     hidden_remainder_z
      - .offset:         152
        .size:           8
        .value_kind:     hidden_global_offset_x
      - .offset:         160
        .size:           8
        .value_kind:     hidden_global_offset_y
      - .offset:         168
        .size:           8
        .value_kind:     hidden_global_offset_z
      - .offset:         176
        .size:           2
        .value_kind:     hidden_grid_dims
    .group_segment_fixed_size: 0
    .kernarg_segment_align: 8
    .kernarg_segment_size: 368
    .language:       OpenCL C
    .language_version:
      - 2
      - 0
    .max_flat_workgroup_size: 1024
    .name:           _ZL11rope_visionILb1ELb0EfEvPKT1_PS0_iiiiiiiiiiPKifff14rope_corr_dimsfPKf14mrope_sections
    .private_segment_fixed_size: 0
    .sgpr_count:     23
    .sgpr_spill_count: 0
    .symbol:         _ZL11rope_visionILb1ELb0EfEvPKT1_PS0_iiiiiiiiiiPKifff14rope_corr_dimsfPKf14mrope_sections.kd
    .uniform_work_group_size: 1
    .uses_dynamic_stack: false
    .vgpr_count:     26
    .vgpr_spill_count: 0
    .wavefront_size: 32
  - .args:
      - .address_space:  global
        .offset:         0
        .size:           8
        .value_kind:     global_buffer
      - .address_space:  global
        .offset:         8
        .size:           8
        .value_kind:     global_buffer
      - .offset:         16
        .size:           4
        .value_kind:     by_value
      - .offset:         20
        .size:           4
        .value_kind:     by_value
      - .offset:         24
        .size:           4
        .value_kind:     by_value
      - .offset:         28
        .size:           4
        .value_kind:     by_value
      - .offset:         32
        .size:           4
        .value_kind:     by_value
      - .offset:         36
        .size:           4
        .value_kind:     by_value
      - .offset:         40
        .size:           4
        .value_kind:     by_value
      - .offset:         44
        .size:           4
        .value_kind:     by_value
      - .offset:         48
        .size:           4
        .value_kind:     by_value
      - .offset:         52
        .size:           4
        .value_kind:     by_value
      - .address_space:  global
        .offset:         56
        .size:           8
        .value_kind:     global_buffer
      - .offset:         64
        .size:           4
        .value_kind:     by_value
      - .offset:         68
        .size:           4
        .value_kind:     by_value
      - .offset:         72
        .size:           4
        .value_kind:     by_value
      - .offset:         76
        .size:           8
        .value_kind:     by_value
      - .offset:         84
        .size:           4
        .value_kind:     by_value
      - .address_space:  global
        .offset:         88
        .size:           8
        .value_kind:     global_buffer
      - .offset:         96
        .size:           16
        .value_kind:     by_value
      - .offset:         112
        .size:           4
        .value_kind:     hidden_block_count_x
      - .offset:         116
        .size:           4
        .value_kind:     hidden_block_count_y
      - .offset:         120
        .size:           4
        .value_kind:     hidden_block_count_z
      - .offset:         124
        .size:           2
        .value_kind:     hidden_group_size_x
      - .offset:         126
        .size:           2
        .value_kind:     hidden_group_size_y
      - .offset:         128
        .size:           2
        .value_kind:     hidden_group_size_z
      - .offset:         130
        .size:           2
        .value_kind:     hidden_remainder_x
      - .offset:         132
        .size:           2
        .value_kind:     hidden_remainder_y
      - .offset:         134
        .size:           2
        .value_kind:     hidden_remainder_z
      - .offset:         152
        .size:           8
        .value_kind:     hidden_global_offset_x
      - .offset:         160
        .size:           8
        .value_kind:     hidden_global_offset_y
      - .offset:         168
        .size:           8
        .value_kind:     hidden_global_offset_z
      - .offset:         176
        .size:           2
        .value_kind:     hidden_grid_dims
    .group_segment_fixed_size: 0
    .kernarg_segment_align: 8
    .kernarg_segment_size: 368
    .language:       OpenCL C
    .language_version:
      - 2
      - 0
    .max_flat_workgroup_size: 1024
    .name:           _ZL11rope_visionILb1ELb1EfEvPKT1_PS0_iiiiiiiiiiPKifff14rope_corr_dimsfPKf14mrope_sections
    .private_segment_fixed_size: 0
    .sgpr_count:     23
    .sgpr_spill_count: 0
    .symbol:         _ZL11rope_visionILb1ELb1EfEvPKT1_PS0_iiiiiiiiiiPKifff14rope_corr_dimsfPKf14mrope_sections.kd
    .uniform_work_group_size: 1
    .uses_dynamic_stack: false
    .vgpr_count:     26
    .vgpr_spill_count: 0
    .wavefront_size: 32
  - .args:
      - .address_space:  global
        .offset:         0
        .size:           8
        .value_kind:     global_buffer
      - .address_space:  global
        .offset:         8
        .size:           8
        .value_kind:     global_buffer
      - .offset:         16
        .size:           4
        .value_kind:     by_value
      - .offset:         20
        .size:           4
        .value_kind:     by_value
      - .offset:         24
        .size:           4
        .value_kind:     by_value
      - .offset:         28
        .size:           4
        .value_kind:     by_value
      - .offset:         32
        .size:           4
        .value_kind:     by_value
      - .offset:         36
        .size:           4
        .value_kind:     by_value
      - .offset:         40
        .size:           4
        .value_kind:     by_value
      - .offset:         44
        .size:           4
        .value_kind:     by_value
      - .offset:         48
        .size:           4
        .value_kind:     by_value
      - .offset:         52
        .size:           4
        .value_kind:     by_value
      - .address_space:  global
        .offset:         56
        .size:           8
        .value_kind:     global_buffer
      - .offset:         64
        .size:           4
        .value_kind:     by_value
      - .offset:         68
        .size:           4
        .value_kind:     by_value
      - .offset:         72
        .size:           4
        .value_kind:     by_value
      - .offset:         76
        .size:           8
        .value_kind:     by_value
      - .offset:         84
        .size:           4
        .value_kind:     by_value
      - .address_space:  global
        .offset:         88
        .size:           8
        .value_kind:     global_buffer
      - .offset:         96
        .size:           16
        .value_kind:     by_value
      - .offset:         112
        .size:           4
        .value_kind:     hidden_block_count_x
      - .offset:         116
        .size:           4
        .value_kind:     hidden_block_count_y
      - .offset:         120
        .size:           4
        .value_kind:     hidden_block_count_z
      - .offset:         124
        .size:           2
        .value_kind:     hidden_group_size_x
      - .offset:         126
        .size:           2
        .value_kind:     hidden_group_size_y
      - .offset:         128
        .size:           2
        .value_kind:     hidden_group_size_z
      - .offset:         130
        .size:           2
        .value_kind:     hidden_remainder_x
      - .offset:         132
        .size:           2
        .value_kind:     hidden_remainder_y
      - .offset:         134
        .size:           2
        .value_kind:     hidden_remainder_z
      - .offset:         152
        .size:           8
        .value_kind:     hidden_global_offset_x
      - .offset:         160
        .size:           8
        .value_kind:     hidden_global_offset_y
      - .offset:         168
        .size:           8
        .value_kind:     hidden_global_offset_z
      - .offset:         176
        .size:           2
        .value_kind:     hidden_grid_dims
    .group_segment_fixed_size: 0
    .kernarg_segment_align: 8
    .kernarg_segment_size: 368
    .language:       OpenCL C
    .language_version:
      - 2
      - 0
    .max_flat_workgroup_size: 1024
    .name:           _ZL11rope_visionILb1ELb0E6__halfEvPKT1_PS1_iiiiiiiiiiPKifff14rope_corr_dimsfPKf14mrope_sections
    .private_segment_fixed_size: 0
    .sgpr_count:     23
    .sgpr_spill_count: 0
    .symbol:         _ZL11rope_visionILb1ELb0E6__halfEvPKT1_PS1_iiiiiiiiiiPKifff14rope_corr_dimsfPKf14mrope_sections.kd
    .uniform_work_group_size: 1
    .uses_dynamic_stack: false
    .vgpr_count:     26
    .vgpr_spill_count: 0
    .wavefront_size: 32
  - .args:
      - .address_space:  global
        .offset:         0
        .size:           8
        .value_kind:     global_buffer
      - .address_space:  global
        .offset:         8
        .size:           8
        .value_kind:     global_buffer
      - .offset:         16
        .size:           4
        .value_kind:     by_value
      - .offset:         20
        .size:           4
        .value_kind:     by_value
      - .offset:         24
        .size:           4
        .value_kind:     by_value
      - .offset:         28
        .size:           4
        .value_kind:     by_value
      - .offset:         32
        .size:           4
        .value_kind:     by_value
      - .offset:         36
        .size:           4
        .value_kind:     by_value
      - .offset:         40
        .size:           4
        .value_kind:     by_value
      - .offset:         44
        .size:           4
        .value_kind:     by_value
      - .offset:         48
        .size:           4
        .value_kind:     by_value
      - .offset:         52
        .size:           4
        .value_kind:     by_value
      - .address_space:  global
        .offset:         56
        .size:           8
        .value_kind:     global_buffer
      - .offset:         64
        .size:           4
        .value_kind:     by_value
      - .offset:         68
        .size:           4
        .value_kind:     by_value
      - .offset:         72
        .size:           4
        .value_kind:     by_value
      - .offset:         76
        .size:           8
        .value_kind:     by_value
      - .offset:         84
        .size:           4
        .value_kind:     by_value
      - .address_space:  global
        .offset:         88
        .size:           8
        .value_kind:     global_buffer
      - .offset:         96
        .size:           16
        .value_kind:     by_value
      - .offset:         112
        .size:           4
        .value_kind:     hidden_block_count_x
      - .offset:         116
        .size:           4
        .value_kind:     hidden_block_count_y
      - .offset:         120
        .size:           4
        .value_kind:     hidden_block_count_z
      - .offset:         124
        .size:           2
        .value_kind:     hidden_group_size_x
      - .offset:         126
        .size:           2
        .value_kind:     hidden_group_size_y
      - .offset:         128
        .size:           2
        .value_kind:     hidden_group_size_z
      - .offset:         130
        .size:           2
        .value_kind:     hidden_remainder_x
      - .offset:         132
        .size:           2
        .value_kind:     hidden_remainder_y
      - .offset:         134
        .size:           2
        .value_kind:     hidden_remainder_z
      - .offset:         152
        .size:           8
        .value_kind:     hidden_global_offset_x
      - .offset:         160
        .size:           8
        .value_kind:     hidden_global_offset_y
      - .offset:         168
        .size:           8
        .value_kind:     hidden_global_offset_z
      - .offset:         176
        .size:           2
        .value_kind:     hidden_grid_dims
    .group_segment_fixed_size: 0
    .kernarg_segment_align: 8
    .kernarg_segment_size: 368
    .language:       OpenCL C
    .language_version:
      - 2
      - 0
    .max_flat_workgroup_size: 1024
    .name:           _ZL11rope_visionILb1ELb1E6__halfEvPKT1_PS1_iiiiiiiiiiPKifff14rope_corr_dimsfPKf14mrope_sections
    .private_segment_fixed_size: 0
    .sgpr_count:     23
    .sgpr_spill_count: 0
    .symbol:         _ZL11rope_visionILb1ELb1E6__halfEvPKT1_PS1_iiiiiiiiiiPKifff14rope_corr_dimsfPKf14mrope_sections.kd
    .uniform_work_group_size: 1
    .uses_dynamic_stack: false
    .vgpr_count:     26
    .vgpr_spill_count: 0
    .wavefront_size: 32
  - .args:
      - .address_space:  global
        .offset:         0
        .size:           8
        .value_kind:     global_buffer
      - .address_space:  global
        .offset:         8
        .size:           8
        .value_kind:     global_buffer
      - .offset:         16
        .size:           4
        .value_kind:     by_value
      - .offset:         20
        .size:           4
        .value_kind:     by_value
      - .offset:         24
        .size:           4
        .value_kind:     by_value
      - .offset:         28
        .size:           4
        .value_kind:     by_value
      - .offset:         32
        .size:           4
        .value_kind:     by_value
      - .offset:         36
        .size:           4
        .value_kind:     by_value
      - .offset:         40
        .size:           4
        .value_kind:     by_value
      - .offset:         44
        .size:           4
        .value_kind:     by_value
      - .offset:         48
        .size:           4
        .value_kind:     by_value
      - .offset:         52
        .size:           4
        .value_kind:     by_value
      - .address_space:  global
        .offset:         56
        .size:           8
        .value_kind:     global_buffer
      - .offset:         64
        .size:           4
        .value_kind:     by_value
      - .offset:         68
        .size:           4
        .value_kind:     by_value
      - .offset:         72
        .size:           4
        .value_kind:     by_value
      - .offset:         76
        .size:           8
        .value_kind:     by_value
      - .offset:         84
        .size:           4
        .value_kind:     by_value
      - .address_space:  global
        .offset:         88
        .size:           8
        .value_kind:     global_buffer
      - .address_space:  global
        .offset:         96
        .size:           8
        .value_kind:     global_buffer
      - .offset:         104
        .size:           4
        .value_kind:     by_value
      - .offset:         112
        .size:           4
        .value_kind:     hidden_block_count_x
      - .offset:         116
        .size:           4
        .value_kind:     hidden_block_count_y
      - .offset:         120
        .size:           4
        .value_kind:     hidden_block_count_z
      - .offset:         124
        .size:           2
        .value_kind:     hidden_group_size_x
      - .offset:         126
        .size:           2
        .value_kind:     hidden_group_size_y
      - .offset:         128
        .size:           2
        .value_kind:     hidden_group_size_z
      - .offset:         130
        .size:           2
        .value_kind:     hidden_remainder_x
      - .offset:         132
        .size:           2
        .value_kind:     hidden_remainder_y
      - .offset:         134
        .size:           2
        .value_kind:     hidden_remainder_z
      - .offset:         152
        .size:           8
        .value_kind:     hidden_global_offset_x
      - .offset:         160
        .size:           8
        .value_kind:     hidden_global_offset_y
      - .offset:         168
        .size:           8
        .value_kind:     hidden_global_offset_z
      - .offset:         176
        .size:           2
        .value_kind:     hidden_grid_dims
    .group_segment_fixed_size: 0
    .kernarg_segment_align: 8
    .kernarg_segment_size: 368
    .language:       OpenCL C
    .language_version:
      - 2
      - 0
    .max_flat_workgroup_size: 1024
    .name:           _ZL9rope_normILb1ELb0EffEvPKT1_PT2_iiiiiiiiiiPKifff14rope_corr_dimsfPKfPKli
    .private_segment_fixed_size: 0
    .sgpr_count:     18
    .sgpr_spill_count: 0
    .symbol:         _ZL9rope_normILb1ELb0EffEvPKT1_PT2_iiiiiiiiiiPKifff14rope_corr_dimsfPKfPKli.kd
    .uniform_work_group_size: 1
    .uses_dynamic_stack: false
    .vgpr_count:     26
    .vgpr_spill_count: 0
    .wavefront_size: 32
  - .args:
      - .address_space:  global
        .offset:         0
        .size:           8
        .value_kind:     global_buffer
      - .address_space:  global
        .offset:         8
        .size:           8
        .value_kind:     global_buffer
      - .offset:         16
        .size:           4
        .value_kind:     by_value
      - .offset:         20
        .size:           4
        .value_kind:     by_value
      - .offset:         24
        .size:           4
        .value_kind:     by_value
      - .offset:         28
        .size:           4
        .value_kind:     by_value
      - .offset:         32
        .size:           4
        .value_kind:     by_value
      - .offset:         36
        .size:           4
        .value_kind:     by_value
      - .offset:         40
        .size:           4
        .value_kind:     by_value
      - .offset:         44
        .size:           4
        .value_kind:     by_value
      - .offset:         48
        .size:           4
        .value_kind:     by_value
      - .offset:         52
        .size:           4
        .value_kind:     by_value
      - .address_space:  global
        .offset:         56
        .size:           8
        .value_kind:     global_buffer
      - .offset:         64
        .size:           4
        .value_kind:     by_value
      - .offset:         68
        .size:           4
        .value_kind:     by_value
      - .offset:         72
        .size:           4
        .value_kind:     by_value
      - .offset:         76
        .size:           8
        .value_kind:     by_value
      - .offset:         84
        .size:           4
        .value_kind:     by_value
      - .address_space:  global
        .offset:         88
        .size:           8
        .value_kind:     global_buffer
      - .address_space:  global
        .offset:         96
        .size:           8
        .value_kind:     global_buffer
      - .offset:         104
        .size:           4
        .value_kind:     by_value
      - .offset:         112
        .size:           4
        .value_kind:     hidden_block_count_x
      - .offset:         116
        .size:           4
        .value_kind:     hidden_block_count_y
      - .offset:         120
        .size:           4
        .value_kind:     hidden_block_count_z
      - .offset:         124
        .size:           2
        .value_kind:     hidden_group_size_x
      - .offset:         126
        .size:           2
        .value_kind:     hidden_group_size_y
      - .offset:         128
        .size:           2
        .value_kind:     hidden_group_size_z
      - .offset:         130
        .size:           2
        .value_kind:     hidden_remainder_x
      - .offset:         132
        .size:           2
        .value_kind:     hidden_remainder_y
      - .offset:         134
        .size:           2
        .value_kind:     hidden_remainder_z
      - .offset:         152
        .size:           8
        .value_kind:     hidden_global_offset_x
      - .offset:         160
        .size:           8
        .value_kind:     hidden_global_offset_y
      - .offset:         168
        .size:           8
        .value_kind:     hidden_global_offset_z
      - .offset:         176
        .size:           2
        .value_kind:     hidden_grid_dims
    .group_segment_fixed_size: 0
    .kernarg_segment_align: 8
    .kernarg_segment_size: 368
    .language:       OpenCL C
    .language_version:
      - 2
      - 0
    .max_flat_workgroup_size: 1024
    .name:           _ZL9rope_normILb1ELb1EffEvPKT1_PT2_iiiiiiiiiiPKifff14rope_corr_dimsfPKfPKli
    .private_segment_fixed_size: 0
    .sgpr_count:     18
    .sgpr_spill_count: 0
    .symbol:         _ZL9rope_normILb1ELb1EffEvPKT1_PT2_iiiiiiiiiiPKifff14rope_corr_dimsfPKfPKli.kd
    .uniform_work_group_size: 1
    .uses_dynamic_stack: false
    .vgpr_count:     26
    .vgpr_spill_count: 0
    .wavefront_size: 32
  - .args:
      - .address_space:  global
        .offset:         0
        .size:           8
        .value_kind:     global_buffer
      - .address_space:  global
        .offset:         8
        .size:           8
        .value_kind:     global_buffer
      - .offset:         16
        .size:           4
        .value_kind:     by_value
      - .offset:         20
        .size:           4
        .value_kind:     by_value
      - .offset:         24
        .size:           4
        .value_kind:     by_value
      - .offset:         28
        .size:           4
        .value_kind:     by_value
      - .offset:         32
        .size:           4
        .value_kind:     by_value
      - .offset:         36
        .size:           4
        .value_kind:     by_value
      - .offset:         40
        .size:           4
        .value_kind:     by_value
      - .offset:         44
        .size:           4
        .value_kind:     by_value
      - .offset:         48
        .size:           4
        .value_kind:     by_value
      - .offset:         52
        .size:           4
        .value_kind:     by_value
      - .address_space:  global
        .offset:         56
        .size:           8
        .value_kind:     global_buffer
      - .offset:         64
        .size:           4
        .value_kind:     by_value
      - .offset:         68
        .size:           4
        .value_kind:     by_value
      - .offset:         72
        .size:           4
        .value_kind:     by_value
      - .offset:         76
        .size:           8
        .value_kind:     by_value
      - .offset:         84
        .size:           4
        .value_kind:     by_value
      - .address_space:  global
        .offset:         88
        .size:           8
        .value_kind:     global_buffer
      - .address_space:  global
        .offset:         96
        .size:           8
        .value_kind:     global_buffer
      - .offset:         104
        .size:           4
        .value_kind:     by_value
      - .offset:         112
        .size:           4
        .value_kind:     hidden_block_count_x
      - .offset:         116
        .size:           4
        .value_kind:     hidden_block_count_y
      - .offset:         120
        .size:           4
        .value_kind:     hidden_block_count_z
      - .offset:         124
        .size:           2
        .value_kind:     hidden_group_size_x
      - .offset:         126
        .size:           2
        .value_kind:     hidden_group_size_y
      - .offset:         128
        .size:           2
        .value_kind:     hidden_group_size_z
      - .offset:         130
        .size:           2
        .value_kind:     hidden_remainder_x
      - .offset:         132
        .size:           2
        .value_kind:     hidden_remainder_y
      - .offset:         134
        .size:           2
        .value_kind:     hidden_remainder_z
      - .offset:         152
        .size:           8
        .value_kind:     hidden_global_offset_x
      - .offset:         160
        .size:           8
        .value_kind:     hidden_global_offset_y
      - .offset:         168
        .size:           8
        .value_kind:     hidden_global_offset_z
      - .offset:         176
        .size:           2
        .value_kind:     hidden_grid_dims
    .group_segment_fixed_size: 0
    .kernarg_segment_align: 8
    .kernarg_segment_size: 368
    .language:       OpenCL C
    .language_version:
      - 2
      - 0
    .max_flat_workgroup_size: 1024
    .name:           _ZL9rope_normILb1ELb0Ef6__halfEvPKT1_PT2_iiiiiiiiiiPKifff14rope_corr_dimsfPKfPKli
    .private_segment_fixed_size: 0
    .sgpr_count:     22
    .sgpr_spill_count: 0
    .symbol:         _ZL9rope_normILb1ELb0Ef6__halfEvPKT1_PT2_iiiiiiiiiiPKifff14rope_corr_dimsfPKfPKli.kd
    .uniform_work_group_size: 1
    .uses_dynamic_stack: false
    .vgpr_count:     28
    .vgpr_spill_count: 0
    .wavefront_size: 32
  - .args:
      - .address_space:  global
        .offset:         0
        .size:           8
        .value_kind:     global_buffer
      - .address_space:  global
        .offset:         8
        .size:           8
        .value_kind:     global_buffer
      - .offset:         16
        .size:           4
        .value_kind:     by_value
      - .offset:         20
        .size:           4
        .value_kind:     by_value
      - .offset:         24
        .size:           4
        .value_kind:     by_value
      - .offset:         28
        .size:           4
        .value_kind:     by_value
      - .offset:         32
        .size:           4
        .value_kind:     by_value
      - .offset:         36
        .size:           4
        .value_kind:     by_value
      - .offset:         40
        .size:           4
        .value_kind:     by_value
      - .offset:         44
        .size:           4
        .value_kind:     by_value
      - .offset:         48
        .size:           4
        .value_kind:     by_value
      - .offset:         52
        .size:           4
        .value_kind:     by_value
      - .address_space:  global
        .offset:         56
        .size:           8
        .value_kind:     global_buffer
      - .offset:         64
        .size:           4
        .value_kind:     by_value
      - .offset:         68
        .size:           4
        .value_kind:     by_value
      - .offset:         72
        .size:           4
        .value_kind:     by_value
      - .offset:         76
        .size:           8
        .value_kind:     by_value
      - .offset:         84
        .size:           4
        .value_kind:     by_value
      - .address_space:  global
        .offset:         88
        .size:           8
        .value_kind:     global_buffer
      - .address_space:  global
        .offset:         96
        .size:           8
        .value_kind:     global_buffer
      - .offset:         104
        .size:           4
        .value_kind:     by_value
      - .offset:         112
        .size:           4
        .value_kind:     hidden_block_count_x
      - .offset:         116
        .size:           4
        .value_kind:     hidden_block_count_y
      - .offset:         120
        .size:           4
        .value_kind:     hidden_block_count_z
      - .offset:         124
        .size:           2
        .value_kind:     hidden_group_size_x
      - .offset:         126
        .size:           2
        .value_kind:     hidden_group_size_y
      - .offset:         128
        .size:           2
        .value_kind:     hidden_group_size_z
      - .offset:         130
        .size:           2
        .value_kind:     hidden_remainder_x
      - .offset:         132
        .size:           2
        .value_kind:     hidden_remainder_y
      - .offset:         134
        .size:           2
        .value_kind:     hidden_remainder_z
      - .offset:         152
        .size:           8
        .value_kind:     hidden_global_offset_x
      - .offset:         160
        .size:           8
        .value_kind:     hidden_global_offset_y
      - .offset:         168
        .size:           8
        .value_kind:     hidden_global_offset_z
      - .offset:         176
        .size:           2
        .value_kind:     hidden_grid_dims
    .group_segment_fixed_size: 0
    .kernarg_segment_align: 8
    .kernarg_segment_size: 368
    .language:       OpenCL C
    .language_version:
      - 2
      - 0
    .max_flat_workgroup_size: 1024
    .name:           _ZL9rope_normILb1ELb1Ef6__halfEvPKT1_PT2_iiiiiiiiiiPKifff14rope_corr_dimsfPKfPKli
    .private_segment_fixed_size: 0
    .sgpr_count:     22
    .sgpr_spill_count: 0
    .symbol:         _ZL9rope_normILb1ELb1Ef6__halfEvPKT1_PT2_iiiiiiiiiiPKifff14rope_corr_dimsfPKfPKli.kd
    .uniform_work_group_size: 1
    .uses_dynamic_stack: false
    .vgpr_count:     28
    .vgpr_spill_count: 0
    .wavefront_size: 32
  - .args:
      - .address_space:  global
        .offset:         0
        .size:           8
        .value_kind:     global_buffer
      - .address_space:  global
        .offset:         8
        .size:           8
        .value_kind:     global_buffer
      - .offset:         16
        .size:           4
        .value_kind:     by_value
      - .offset:         20
        .size:           4
        .value_kind:     by_value
      - .offset:         24
        .size:           4
        .value_kind:     by_value
      - .offset:         28
        .size:           4
        .value_kind:     by_value
      - .offset:         32
        .size:           4
        .value_kind:     by_value
      - .offset:         36
        .size:           4
        .value_kind:     by_value
      - .offset:         40
        .size:           4
        .value_kind:     by_value
      - .offset:         44
        .size:           4
        .value_kind:     by_value
      - .offset:         48
        .size:           4
        .value_kind:     by_value
      - .offset:         52
        .size:           4
        .value_kind:     by_value
      - .address_space:  global
        .offset:         56
        .size:           8
        .value_kind:     global_buffer
      - .offset:         64
        .size:           4
        .value_kind:     by_value
      - .offset:         68
        .size:           4
        .value_kind:     by_value
      - .offset:         72
        .size:           4
        .value_kind:     by_value
      - .offset:         76
        .size:           8
        .value_kind:     by_value
      - .offset:         84
        .size:           4
        .value_kind:     by_value
      - .address_space:  global
        .offset:         88
        .size:           8
        .value_kind:     global_buffer
      - .address_space:  global
        .offset:         96
        .size:           8
        .value_kind:     global_buffer
      - .offset:         104
        .size:           4
        .value_kind:     by_value
      - .offset:         112
        .size:           4
        .value_kind:     hidden_block_count_x
      - .offset:         116
        .size:           4
        .value_kind:     hidden_block_count_y
      - .offset:         120
        .size:           4
        .value_kind:     hidden_block_count_z
      - .offset:         124
        .size:           2
        .value_kind:     hidden_group_size_x
      - .offset:         126
        .size:           2
        .value_kind:     hidden_group_size_y
      - .offset:         128
        .size:           2
        .value_kind:     hidden_group_size_z
      - .offset:         130
        .size:           2
        .value_kind:     hidden_remainder_x
      - .offset:         132
        .size:           2
        .value_kind:     hidden_remainder_y
      - .offset:         134
        .size:           2
        .value_kind:     hidden_remainder_z
      - .offset:         152
        .size:           8
        .value_kind:     hidden_global_offset_x
      - .offset:         160
        .size:           8
        .value_kind:     hidden_global_offset_y
      - .offset:         168
        .size:           8
        .value_kind:     hidden_global_offset_z
      - .offset:         176
        .size:           2
        .value_kind:     hidden_grid_dims
    .group_segment_fixed_size: 0
    .kernarg_segment_align: 8
    .kernarg_segment_size: 368
    .language:       OpenCL C
    .language_version:
      - 2
      - 0
    .max_flat_workgroup_size: 1024
    .name:           _ZL9rope_normILb1ELb0E6__halfS0_EvPKT1_PT2_iiiiiiiiiiPKifff14rope_corr_dimsfPKfPKli
    .private_segment_fixed_size: 0
    .sgpr_count:     22
    .sgpr_spill_count: 0
    .symbol:         _ZL9rope_normILb1ELb0E6__halfS0_EvPKT1_PT2_iiiiiiiiiiPKifff14rope_corr_dimsfPKfPKli.kd
    .uniform_work_group_size: 1
    .uses_dynamic_stack: false
    .vgpr_count:     26
    .vgpr_spill_count: 0
    .wavefront_size: 32
  - .args:
      - .address_space:  global
        .offset:         0
        .size:           8
        .value_kind:     global_buffer
      - .address_space:  global
        .offset:         8
        .size:           8
        .value_kind:     global_buffer
      - .offset:         16
        .size:           4
        .value_kind:     by_value
      - .offset:         20
        .size:           4
        .value_kind:     by_value
      - .offset:         24
        .size:           4
        .value_kind:     by_value
      - .offset:         28
        .size:           4
        .value_kind:     by_value
      - .offset:         32
        .size:           4
        .value_kind:     by_value
      - .offset:         36
        .size:           4
        .value_kind:     by_value
      - .offset:         40
        .size:           4
        .value_kind:     by_value
      - .offset:         44
        .size:           4
        .value_kind:     by_value
      - .offset:         48
        .size:           4
        .value_kind:     by_value
      - .offset:         52
        .size:           4
        .value_kind:     by_value
      - .address_space:  global
        .offset:         56
        .size:           8
        .value_kind:     global_buffer
      - .offset:         64
        .size:           4
        .value_kind:     by_value
      - .offset:         68
        .size:           4
        .value_kind:     by_value
      - .offset:         72
        .size:           4
        .value_kind:     by_value
      - .offset:         76
        .size:           8
        .value_kind:     by_value
      - .offset:         84
        .size:           4
        .value_kind:     by_value
      - .address_space:  global
        .offset:         88
        .size:           8
        .value_kind:     global_buffer
      - .address_space:  global
        .offset:         96
        .size:           8
        .value_kind:     global_buffer
      - .offset:         104
        .size:           4
        .value_kind:     by_value
      - .offset:         112
        .size:           4
        .value_kind:     hidden_block_count_x
      - .offset:         116
        .size:           4
        .value_kind:     hidden_block_count_y
      - .offset:         120
        .size:           4
        .value_kind:     hidden_block_count_z
      - .offset:         124
        .size:           2
        .value_kind:     hidden_group_size_x
      - .offset:         126
        .size:           2
        .value_kind:     hidden_group_size_y
      - .offset:         128
        .size:           2
        .value_kind:     hidden_group_size_z
      - .offset:         130
        .size:           2
        .value_kind:     hidden_remainder_x
      - .offset:         132
        .size:           2
        .value_kind:     hidden_remainder_y
      - .offset:         134
        .size:           2
        .value_kind:     hidden_remainder_z
      - .offset:         152
        .size:           8
        .value_kind:     hidden_global_offset_x
      - .offset:         160
        .size:           8
        .value_kind:     hidden_global_offset_y
      - .offset:         168
        .size:           8
        .value_kind:     hidden_global_offset_z
      - .offset:         176
        .size:           2
        .value_kind:     hidden_grid_dims
    .group_segment_fixed_size: 0
    .kernarg_segment_align: 8
    .kernarg_segment_size: 368
    .language:       OpenCL C
    .language_version:
      - 2
      - 0
    .max_flat_workgroup_size: 1024
    .name:           _ZL9rope_normILb1ELb1E6__halfS0_EvPKT1_PT2_iiiiiiiiiiPKifff14rope_corr_dimsfPKfPKli
    .private_segment_fixed_size: 0
    .sgpr_count:     22
    .sgpr_spill_count: 0
    .symbol:         _ZL9rope_normILb1ELb1E6__halfS0_EvPKT1_PT2_iiiiiiiiiiPKifff14rope_corr_dimsfPKfPKli.kd
    .uniform_work_group_size: 1
    .uses_dynamic_stack: false
    .vgpr_count:     28
    .vgpr_spill_count: 0
    .wavefront_size: 32
  - .args:
      - .address_space:  global
        .offset:         0
        .size:           8
        .value_kind:     global_buffer
      - .address_space:  global
        .offset:         8
        .size:           8
        .value_kind:     global_buffer
      - .offset:         16
        .size:           4
        .value_kind:     by_value
      - .offset:         20
        .size:           4
        .value_kind:     by_value
      - .offset:         24
        .size:           4
        .value_kind:     by_value
      - .offset:         28
        .size:           4
        .value_kind:     by_value
      - .offset:         32
        .size:           4
        .value_kind:     by_value
      - .offset:         36
        .size:           4
        .value_kind:     by_value
      - .offset:         40
        .size:           4
        .value_kind:     by_value
      - .offset:         44
        .size:           4
        .value_kind:     by_value
      - .offset:         48
        .size:           4
        .value_kind:     by_value
      - .offset:         52
        .size:           4
        .value_kind:     by_value
      - .address_space:  global
        .offset:         56
        .size:           8
        .value_kind:     global_buffer
      - .offset:         64
        .size:           4
        .value_kind:     by_value
      - .offset:         68
        .size:           4
        .value_kind:     by_value
      - .offset:         72
        .size:           4
        .value_kind:     by_value
      - .offset:         76
        .size:           8
        .value_kind:     by_value
      - .offset:         84
        .size:           4
        .value_kind:     by_value
      - .address_space:  global
        .offset:         88
        .size:           8
        .value_kind:     global_buffer
      - .address_space:  global
        .offset:         96
        .size:           8
        .value_kind:     global_buffer
      - .offset:         104
        .size:           4
        .value_kind:     by_value
      - .offset:         112
        .size:           4
        .value_kind:     hidden_block_count_x
      - .offset:         116
        .size:           4
        .value_kind:     hidden_block_count_y
      - .offset:         120
        .size:           4
        .value_kind:     hidden_block_count_z
      - .offset:         124
        .size:           2
        .value_kind:     hidden_group_size_x
      - .offset:         126
        .size:           2
        .value_kind:     hidden_group_size_y
      - .offset:         128
        .size:           2
        .value_kind:     hidden_group_size_z
      - .offset:         130
        .size:           2
        .value_kind:     hidden_remainder_x
      - .offset:         132
        .size:           2
        .value_kind:     hidden_remainder_y
      - .offset:         134
        .size:           2
        .value_kind:     hidden_remainder_z
      - .offset:         152
        .size:           8
        .value_kind:     hidden_global_offset_x
      - .offset:         160
        .size:           8
        .value_kind:     hidden_global_offset_y
      - .offset:         168
        .size:           8
        .value_kind:     hidden_global_offset_z
      - .offset:         176
        .size:           2
        .value_kind:     hidden_grid_dims
    .group_segment_fixed_size: 0
    .kernarg_segment_align: 8
    .kernarg_segment_size: 368
    .language:       OpenCL C
    .language_version:
      - 2
      - 0
    .max_flat_workgroup_size: 1024
    .name:           _ZL9rope_neoxILb0ELb0EffEvPKT1_PT2_iiiiiiiiiiPKifff14rope_corr_dimsfPKfPKli
    .private_segment_fixed_size: 0
    .sgpr_count:     20
    .sgpr_spill_count: 0
    .symbol:         _ZL9rope_neoxILb0ELb0EffEvPKT1_PT2_iiiiiiiiiiPKifff14rope_corr_dimsfPKfPKli.kd
    .uniform_work_group_size: 1
    .uses_dynamic_stack: false
    .vgpr_count:     24
    .vgpr_spill_count: 0
    .wavefront_size: 32
  - .args:
      - .address_space:  global
        .offset:         0
        .size:           8
        .value_kind:     global_buffer
      - .address_space:  global
        .offset:         8
        .size:           8
        .value_kind:     global_buffer
      - .offset:         16
        .size:           4
        .value_kind:     by_value
      - .offset:         20
        .size:           4
        .value_kind:     by_value
      - .offset:         24
        .size:           4
        .value_kind:     by_value
      - .offset:         28
        .size:           4
        .value_kind:     by_value
      - .offset:         32
        .size:           4
        .value_kind:     by_value
      - .offset:         36
        .size:           4
        .value_kind:     by_value
      - .offset:         40
        .size:           4
        .value_kind:     by_value
      - .offset:         44
        .size:           4
        .value_kind:     by_value
      - .offset:         48
        .size:           4
        .value_kind:     by_value
      - .offset:         52
        .size:           4
        .value_kind:     by_value
      - .address_space:  global
        .offset:         56
        .size:           8
        .value_kind:     global_buffer
      - .offset:         64
        .size:           4
        .value_kind:     by_value
      - .offset:         68
        .size:           4
        .value_kind:     by_value
      - .offset:         72
        .size:           4
        .value_kind:     by_value
      - .offset:         76
        .size:           8
        .value_kind:     by_value
      - .offset:         84
        .size:           4
        .value_kind:     by_value
      - .address_space:  global
        .offset:         88
        .size:           8
        .value_kind:     global_buffer
      - .address_space:  global
        .offset:         96
        .size:           8
        .value_kind:     global_buffer
      - .offset:         104
        .size:           4
        .value_kind:     by_value
      - .offset:         112
        .size:           4
        .value_kind:     hidden_block_count_x
      - .offset:         116
        .size:           4
        .value_kind:     hidden_block_count_y
      - .offset:         120
        .size:           4
        .value_kind:     hidden_block_count_z
      - .offset:         124
        .size:           2
        .value_kind:     hidden_group_size_x
      - .offset:         126
        .size:           2
        .value_kind:     hidden_group_size_y
      - .offset:         128
        .size:           2
        .value_kind:     hidden_group_size_z
      - .offset:         130
        .size:           2
        .value_kind:     hidden_remainder_x
      - .offset:         132
        .size:           2
        .value_kind:     hidden_remainder_y
      - .offset:         134
        .size:           2
        .value_kind:     hidden_remainder_z
      - .offset:         152
        .size:           8
        .value_kind:     hidden_global_offset_x
      - .offset:         160
        .size:           8
        .value_kind:     hidden_global_offset_y
      - .offset:         168
        .size:           8
        .value_kind:     hidden_global_offset_z
      - .offset:         176
        .size:           2
        .value_kind:     hidden_grid_dims
    .group_segment_fixed_size: 0
    .kernarg_segment_align: 8
    .kernarg_segment_size: 368
    .language:       OpenCL C
    .language_version:
      - 2
      - 0
    .max_flat_workgroup_size: 1024
    .name:           _ZL9rope_neoxILb0ELb1EffEvPKT1_PT2_iiiiiiiiiiPKifff14rope_corr_dimsfPKfPKli
    .private_segment_fixed_size: 0
    .sgpr_count:     24
    .sgpr_spill_count: 0
    .symbol:         _ZL9rope_neoxILb0ELb1EffEvPKT1_PT2_iiiiiiiiiiPKifff14rope_corr_dimsfPKfPKli.kd
    .uniform_work_group_size: 1
    .uses_dynamic_stack: false
    .vgpr_count:     24
    .vgpr_spill_count: 0
    .wavefront_size: 32
  - .args:
      - .address_space:  global
        .offset:         0
        .size:           8
        .value_kind:     global_buffer
      - .address_space:  global
        .offset:         8
        .size:           8
        .value_kind:     global_buffer
      - .offset:         16
        .size:           4
        .value_kind:     by_value
      - .offset:         20
        .size:           4
        .value_kind:     by_value
      - .offset:         24
        .size:           4
        .value_kind:     by_value
      - .offset:         28
        .size:           4
        .value_kind:     by_value
      - .offset:         32
        .size:           4
        .value_kind:     by_value
      - .offset:         36
        .size:           4
        .value_kind:     by_value
      - .offset:         40
        .size:           4
        .value_kind:     by_value
      - .offset:         44
        .size:           4
        .value_kind:     by_value
      - .offset:         48
        .size:           4
        .value_kind:     by_value
      - .offset:         52
        .size:           4
        .value_kind:     by_value
      - .address_space:  global
        .offset:         56
        .size:           8
        .value_kind:     global_buffer
      - .offset:         64
        .size:           4
        .value_kind:     by_value
      - .offset:         68
        .size:           4
        .value_kind:     by_value
      - .offset:         72
        .size:           4
        .value_kind:     by_value
      - .offset:         76
        .size:           8
        .value_kind:     by_value
      - .offset:         84
        .size:           4
        .value_kind:     by_value
      - .address_space:  global
        .offset:         88
        .size:           8
        .value_kind:     global_buffer
      - .address_space:  global
        .offset:         96
        .size:           8
        .value_kind:     global_buffer
      - .offset:         104
        .size:           4
        .value_kind:     by_value
      - .offset:         112
        .size:           4
        .value_kind:     hidden_block_count_x
      - .offset:         116
        .size:           4
        .value_kind:     hidden_block_count_y
      - .offset:         120
        .size:           4
        .value_kind:     hidden_block_count_z
      - .offset:         124
        .size:           2
        .value_kind:     hidden_group_size_x
      - .offset:         126
        .size:           2
        .value_kind:     hidden_group_size_y
      - .offset:         128
        .size:           2
        .value_kind:     hidden_group_size_z
      - .offset:         130
        .size:           2
        .value_kind:     hidden_remainder_x
      - .offset:         132
        .size:           2
        .value_kind:     hidden_remainder_y
      - .offset:         134
        .size:           2
        .value_kind:     hidden_remainder_z
      - .offset:         152
        .size:           8
        .value_kind:     hidden_global_offset_x
      - .offset:         160
        .size:           8
        .value_kind:     hidden_global_offset_y
      - .offset:         168
        .size:           8
        .value_kind:     hidden_global_offset_z
      - .offset:         176
        .size:           2
        .value_kind:     hidden_grid_dims
    .group_segment_fixed_size: 0
    .kernarg_segment_align: 8
    .kernarg_segment_size: 368
    .language:       OpenCL C
    .language_version:
      - 2
      - 0
    .max_flat_workgroup_size: 1024
    .name:           _ZL9rope_neoxILb0ELb0Ef6__halfEvPKT1_PT2_iiiiiiiiiiPKifff14rope_corr_dimsfPKfPKli
    .private_segment_fixed_size: 0
    .sgpr_count:     20
    .sgpr_spill_count: 0
    .symbol:         _ZL9rope_neoxILb0ELb0Ef6__halfEvPKT1_PT2_iiiiiiiiiiPKifff14rope_corr_dimsfPKfPKli.kd
    .uniform_work_group_size: 1
    .uses_dynamic_stack: false
    .vgpr_count:     24
    .vgpr_spill_count: 0
    .wavefront_size: 32
  - .args:
      - .address_space:  global
        .offset:         0
        .size:           8
        .value_kind:     global_buffer
      - .address_space:  global
        .offset:         8
        .size:           8
        .value_kind:     global_buffer
      - .offset:         16
        .size:           4
        .value_kind:     by_value
      - .offset:         20
        .size:           4
        .value_kind:     by_value
      - .offset:         24
        .size:           4
        .value_kind:     by_value
      - .offset:         28
        .size:           4
        .value_kind:     by_value
      - .offset:         32
        .size:           4
        .value_kind:     by_value
      - .offset:         36
        .size:           4
        .value_kind:     by_value
      - .offset:         40
        .size:           4
        .value_kind:     by_value
      - .offset:         44
        .size:           4
        .value_kind:     by_value
      - .offset:         48
        .size:           4
        .value_kind:     by_value
      - .offset:         52
        .size:           4
        .value_kind:     by_value
      - .address_space:  global
        .offset:         56
        .size:           8
        .value_kind:     global_buffer
      - .offset:         64
        .size:           4
        .value_kind:     by_value
      - .offset:         68
        .size:           4
        .value_kind:     by_value
      - .offset:         72
        .size:           4
        .value_kind:     by_value
      - .offset:         76
        .size:           8
        .value_kind:     by_value
      - .offset:         84
        .size:           4
        .value_kind:     by_value
      - .address_space:  global
        .offset:         88
        .size:           8
        .value_kind:     global_buffer
      - .address_space:  global
        .offset:         96
        .size:           8
        .value_kind:     global_buffer
      - .offset:         104
        .size:           4
        .value_kind:     by_value
      - .offset:         112
        .size:           4
        .value_kind:     hidden_block_count_x
      - .offset:         116
        .size:           4
        .value_kind:     hidden_block_count_y
      - .offset:         120
        .size:           4
        .value_kind:     hidden_block_count_z
      - .offset:         124
        .size:           2
        .value_kind:     hidden_group_size_x
      - .offset:         126
        .size:           2
        .value_kind:     hidden_group_size_y
      - .offset:         128
        .size:           2
        .value_kind:     hidden_group_size_z
      - .offset:         130
        .size:           2
        .value_kind:     hidden_remainder_x
      - .offset:         132
        .size:           2
        .value_kind:     hidden_remainder_y
      - .offset:         134
        .size:           2
        .value_kind:     hidden_remainder_z
      - .offset:         152
        .size:           8
        .value_kind:     hidden_global_offset_x
      - .offset:         160
        .size:           8
        .value_kind:     hidden_global_offset_y
      - .offset:         168
        .size:           8
        .value_kind:     hidden_global_offset_z
      - .offset:         176
        .size:           2
        .value_kind:     hidden_grid_dims
    .group_segment_fixed_size: 0
    .kernarg_segment_align: 8
    .kernarg_segment_size: 368
    .language:       OpenCL C
    .language_version:
      - 2
      - 0
    .max_flat_workgroup_size: 1024
    .name:           _ZL9rope_neoxILb0ELb1Ef6__halfEvPKT1_PT2_iiiiiiiiiiPKifff14rope_corr_dimsfPKfPKli
    .private_segment_fixed_size: 0
    .sgpr_count:     24
    .sgpr_spill_count: 0
    .symbol:         _ZL9rope_neoxILb0ELb1Ef6__halfEvPKT1_PT2_iiiiiiiiiiPKifff14rope_corr_dimsfPKfPKli.kd
    .uniform_work_group_size: 1
    .uses_dynamic_stack: false
    .vgpr_count:     24
    .vgpr_spill_count: 0
    .wavefront_size: 32
  - .args:
      - .address_space:  global
        .offset:         0
        .size:           8
        .value_kind:     global_buffer
      - .address_space:  global
        .offset:         8
        .size:           8
        .value_kind:     global_buffer
      - .offset:         16
        .size:           4
        .value_kind:     by_value
      - .offset:         20
        .size:           4
        .value_kind:     by_value
      - .offset:         24
        .size:           4
        .value_kind:     by_value
      - .offset:         28
        .size:           4
        .value_kind:     by_value
      - .offset:         32
        .size:           4
        .value_kind:     by_value
      - .offset:         36
        .size:           4
        .value_kind:     by_value
      - .offset:         40
        .size:           4
        .value_kind:     by_value
      - .offset:         44
        .size:           4
        .value_kind:     by_value
      - .offset:         48
        .size:           4
        .value_kind:     by_value
      - .offset:         52
        .size:           4
        .value_kind:     by_value
      - .address_space:  global
        .offset:         56
        .size:           8
        .value_kind:     global_buffer
      - .offset:         64
        .size:           4
        .value_kind:     by_value
      - .offset:         68
        .size:           4
        .value_kind:     by_value
      - .offset:         72
        .size:           4
        .value_kind:     by_value
      - .offset:         76
        .size:           8
        .value_kind:     by_value
      - .offset:         84
        .size:           4
        .value_kind:     by_value
      - .address_space:  global
        .offset:         88
        .size:           8
        .value_kind:     global_buffer
      - .address_space:  global
        .offset:         96
        .size:           8
        .value_kind:     global_buffer
      - .offset:         104
        .size:           4
        .value_kind:     by_value
      - .offset:         112
        .size:           4
        .value_kind:     hidden_block_count_x
      - .offset:         116
        .size:           4
        .value_kind:     hidden_block_count_y
      - .offset:         120
        .size:           4
        .value_kind:     hidden_block_count_z
      - .offset:         124
        .size:           2
        .value_kind:     hidden_group_size_x
      - .offset:         126
        .size:           2
        .value_kind:     hidden_group_size_y
      - .offset:         128
        .size:           2
        .value_kind:     hidden_group_size_z
      - .offset:         130
        .size:           2
        .value_kind:     hidden_remainder_x
      - .offset:         132
        .size:           2
        .value_kind:     hidden_remainder_y
      - .offset:         134
        .size:           2
        .value_kind:     hidden_remainder_z
      - .offset:         152
        .size:           8
        .value_kind:     hidden_global_offset_x
      - .offset:         160
        .size:           8
        .value_kind:     hidden_global_offset_y
      - .offset:         168
        .size:           8
        .value_kind:     hidden_global_offset_z
      - .offset:         176
        .size:           2
        .value_kind:     hidden_grid_dims
    .group_segment_fixed_size: 0
    .kernarg_segment_align: 8
    .kernarg_segment_size: 368
    .language:       OpenCL C
    .language_version:
      - 2
      - 0
    .max_flat_workgroup_size: 1024
    .name:           _ZL9rope_neoxILb0ELb0E6__halfS0_EvPKT1_PT2_iiiiiiiiiiPKifff14rope_corr_dimsfPKfPKli
    .private_segment_fixed_size: 0
    .sgpr_count:     20
    .sgpr_spill_count: 0
    .symbol:         _ZL9rope_neoxILb0ELb0E6__halfS0_EvPKT1_PT2_iiiiiiiiiiPKifff14rope_corr_dimsfPKfPKli.kd
    .uniform_work_group_size: 1
    .uses_dynamic_stack: false
    .vgpr_count:     24
    .vgpr_spill_count: 0
    .wavefront_size: 32
  - .args:
      - .address_space:  global
        .offset:         0
        .size:           8
        .value_kind:     global_buffer
      - .address_space:  global
        .offset:         8
        .size:           8
        .value_kind:     global_buffer
      - .offset:         16
        .size:           4
        .value_kind:     by_value
      - .offset:         20
        .size:           4
        .value_kind:     by_value
      - .offset:         24
        .size:           4
        .value_kind:     by_value
      - .offset:         28
        .size:           4
        .value_kind:     by_value
      - .offset:         32
        .size:           4
        .value_kind:     by_value
      - .offset:         36
        .size:           4
        .value_kind:     by_value
      - .offset:         40
        .size:           4
        .value_kind:     by_value
      - .offset:         44
        .size:           4
        .value_kind:     by_value
      - .offset:         48
        .size:           4
        .value_kind:     by_value
      - .offset:         52
        .size:           4
        .value_kind:     by_value
      - .address_space:  global
        .offset:         56
        .size:           8
        .value_kind:     global_buffer
      - .offset:         64
        .size:           4
        .value_kind:     by_value
      - .offset:         68
        .size:           4
        .value_kind:     by_value
      - .offset:         72
        .size:           4
        .value_kind:     by_value
      - .offset:         76
        .size:           8
        .value_kind:     by_value
      - .offset:         84
        .size:           4
        .value_kind:     by_value
      - .address_space:  global
        .offset:         88
        .size:           8
        .value_kind:     global_buffer
      - .address_space:  global
        .offset:         96
        .size:           8
        .value_kind:     global_buffer
      - .offset:         104
        .size:           4
        .value_kind:     by_value
      - .offset:         112
        .size:           4
        .value_kind:     hidden_block_count_x
      - .offset:         116
        .size:           4
        .value_kind:     hidden_block_count_y
      - .offset:         120
        .size:           4
        .value_kind:     hidden_block_count_z
      - .offset:         124
        .size:           2
        .value_kind:     hidden_group_size_x
      - .offset:         126
        .size:           2
        .value_kind:     hidden_group_size_y
      - .offset:         128
        .size:           2
        .value_kind:     hidden_group_size_z
      - .offset:         130
        .size:           2
        .value_kind:     hidden_remainder_x
      - .offset:         132
        .size:           2
        .value_kind:     hidden_remainder_y
      - .offset:         134
        .size:           2
        .value_kind:     hidden_remainder_z
      - .offset:         152
        .size:           8
        .value_kind:     hidden_global_offset_x
      - .offset:         160
        .size:           8
        .value_kind:     hidden_global_offset_y
      - .offset:         168
        .size:           8
        .value_kind:     hidden_global_offset_z
      - .offset:         176
        .size:           2
        .value_kind:     hidden_grid_dims
    .group_segment_fixed_size: 0
    .kernarg_segment_align: 8
    .kernarg_segment_size: 368
    .language:       OpenCL C
    .language_version:
      - 2
      - 0
    .max_flat_workgroup_size: 1024
    .name:           _ZL9rope_neoxILb0ELb1E6__halfS0_EvPKT1_PT2_iiiiiiiiiiPKifff14rope_corr_dimsfPKfPKli
    .private_segment_fixed_size: 0
    .sgpr_count:     24
    .sgpr_spill_count: 0
    .symbol:         _ZL9rope_neoxILb0ELb1E6__halfS0_EvPKT1_PT2_iiiiiiiiiiPKifff14rope_corr_dimsfPKfPKli.kd
    .uniform_work_group_size: 1
    .uses_dynamic_stack: false
    .vgpr_count:     24
    .vgpr_spill_count: 0
    .wavefront_size: 32
  - .args:
      - .address_space:  global
        .offset:         0
        .size:           8
        .value_kind:     global_buffer
      - .address_space:  global
        .offset:         8
        .size:           8
        .value_kind:     global_buffer
      - .offset:         16
        .size:           4
        .value_kind:     by_value
      - .offset:         20
        .size:           4
        .value_kind:     by_value
      - .offset:         24
        .size:           4
        .value_kind:     by_value
      - .offset:         28
        .size:           4
        .value_kind:     by_value
      - .offset:         32
        .size:           4
        .value_kind:     by_value
      - .offset:         36
        .size:           4
        .value_kind:     by_value
      - .offset:         40
        .size:           4
        .value_kind:     by_value
      - .offset:         44
        .size:           4
        .value_kind:     by_value
      - .offset:         48
        .size:           4
        .value_kind:     by_value
      - .offset:         52
        .size:           4
        .value_kind:     by_value
      - .address_space:  global
        .offset:         56
        .size:           8
        .value_kind:     global_buffer
      - .offset:         64
        .size:           4
        .value_kind:     by_value
      - .offset:         68
        .size:           4
        .value_kind:     by_value
      - .offset:         72
        .size:           4
        .value_kind:     by_value
      - .offset:         76
        .size:           8
        .value_kind:     by_value
      - .offset:         84
        .size:           4
        .value_kind:     by_value
      - .address_space:  global
        .offset:         88
        .size:           8
        .value_kind:     global_buffer
      - .offset:         96
        .size:           16
        .value_kind:     by_value
      - .offset:         112
        .size:           1
        .value_kind:     by_value
      - .offset:         120
        .size:           4
        .value_kind:     hidden_block_count_x
      - .offset:         124
        .size:           4
        .value_kind:     hidden_block_count_y
      - .offset:         128
        .size:           4
        .value_kind:     hidden_block_count_z
      - .offset:         132
        .size:           2
        .value_kind:     hidden_group_size_x
      - .offset:         134
        .size:           2
        .value_kind:     hidden_group_size_y
      - .offset:         136
        .size:           2
        .value_kind:     hidden_group_size_z
      - .offset:         138
        .size:           2
        .value_kind:     hidden_remainder_x
      - .offset:         140
        .size:           2
        .value_kind:     hidden_remainder_y
      - .offset:         142
        .size:           2
        .value_kind:     hidden_remainder_z
      - .offset:         160
        .size:           8
        .value_kind:     hidden_global_offset_x
      - .offset:         168
        .size:           8
        .value_kind:     hidden_global_offset_y
      - .offset:         176
        .size:           8
        .value_kind:     hidden_global_offset_z
      - .offset:         184
        .size:           2
        .value_kind:     hidden_grid_dims
    .group_segment_fixed_size: 0
    .kernarg_segment_align: 8
    .kernarg_segment_size: 376
    .language:       OpenCL C
    .language_version:
      - 2
      - 0
    .max_flat_workgroup_size: 1024
    .name:           _ZL10rope_multiILb0ELb0EfEvPKT1_PS0_iiiiiiiiiiPKifff14rope_corr_dimsfPKf14mrope_sectionsb
    .private_segment_fixed_size: 0
    .sgpr_count:     27
    .sgpr_spill_count: 0
    .symbol:         _ZL10rope_multiILb0ELb0EfEvPKT1_PS0_iiiiiiiiiiPKifff14rope_corr_dimsfPKf14mrope_sectionsb.kd
    .uniform_work_group_size: 1
    .uses_dynamic_stack: false
    .vgpr_count:     25
    .vgpr_spill_count: 0
    .wavefront_size: 32
  - .args:
      - .address_space:  global
        .offset:         0
        .size:           8
        .value_kind:     global_buffer
      - .address_space:  global
        .offset:         8
        .size:           8
        .value_kind:     global_buffer
      - .offset:         16
        .size:           4
        .value_kind:     by_value
      - .offset:         20
        .size:           4
        .value_kind:     by_value
      - .offset:         24
        .size:           4
        .value_kind:     by_value
      - .offset:         28
        .size:           4
        .value_kind:     by_value
      - .offset:         32
        .size:           4
        .value_kind:     by_value
      - .offset:         36
        .size:           4
        .value_kind:     by_value
      - .offset:         40
        .size:           4
        .value_kind:     by_value
      - .offset:         44
        .size:           4
        .value_kind:     by_value
      - .offset:         48
        .size:           4
        .value_kind:     by_value
      - .offset:         52
        .size:           4
        .value_kind:     by_value
      - .address_space:  global
        .offset:         56
        .size:           8
        .value_kind:     global_buffer
      - .offset:         64
        .size:           4
        .value_kind:     by_value
      - .offset:         68
        .size:           4
        .value_kind:     by_value
      - .offset:         72
        .size:           4
        .value_kind:     by_value
      - .offset:         76
        .size:           8
        .value_kind:     by_value
      - .offset:         84
        .size:           4
        .value_kind:     by_value
      - .address_space:  global
        .offset:         88
        .size:           8
        .value_kind:     global_buffer
      - .offset:         96
        .size:           16
        .value_kind:     by_value
      - .offset:         112
        .size:           1
        .value_kind:     by_value
      - .offset:         120
        .size:           4
        .value_kind:     hidden_block_count_x
      - .offset:         124
        .size:           4
        .value_kind:     hidden_block_count_y
      - .offset:         128
        .size:           4
        .value_kind:     hidden_block_count_z
      - .offset:         132
        .size:           2
        .value_kind:     hidden_group_size_x
      - .offset:         134
        .size:           2
        .value_kind:     hidden_group_size_y
      - .offset:         136
        .size:           2
        .value_kind:     hidden_group_size_z
      - .offset:         138
        .size:           2
        .value_kind:     hidden_remainder_x
      - .offset:         140
        .size:           2
        .value_kind:     hidden_remainder_y
      - .offset:         142
        .size:           2
        .value_kind:     hidden_remainder_z
      - .offset:         160
        .size:           8
        .value_kind:     hidden_global_offset_x
      - .offset:         168
        .size:           8
        .value_kind:     hidden_global_offset_y
      - .offset:         176
        .size:           8
        .value_kind:     hidden_global_offset_z
      - .offset:         184
        .size:           2
        .value_kind:     hidden_grid_dims
    .group_segment_fixed_size: 0
    .kernarg_segment_align: 8
    .kernarg_segment_size: 376
    .language:       OpenCL C
    .language_version:
      - 2
      - 0
    .max_flat_workgroup_size: 1024
    .name:           _ZL10rope_multiILb0ELb1EfEvPKT1_PS0_iiiiiiiiiiPKifff14rope_corr_dimsfPKf14mrope_sectionsb
    .private_segment_fixed_size: 0
    .sgpr_count:     29
    .sgpr_spill_count: 0
    .symbol:         _ZL10rope_multiILb0ELb1EfEvPKT1_PS0_iiiiiiiiiiPKifff14rope_corr_dimsfPKf14mrope_sectionsb.kd
    .uniform_work_group_size: 1
    .uses_dynamic_stack: false
    .vgpr_count:     25
    .vgpr_spill_count: 0
    .wavefront_size: 32
  - .args:
      - .address_space:  global
        .offset:         0
        .size:           8
        .value_kind:     global_buffer
      - .address_space:  global
        .offset:         8
        .size:           8
        .value_kind:     global_buffer
      - .offset:         16
        .size:           4
        .value_kind:     by_value
      - .offset:         20
        .size:           4
        .value_kind:     by_value
      - .offset:         24
        .size:           4
        .value_kind:     by_value
      - .offset:         28
        .size:           4
        .value_kind:     by_value
      - .offset:         32
        .size:           4
        .value_kind:     by_value
      - .offset:         36
        .size:           4
        .value_kind:     by_value
      - .offset:         40
        .size:           4
        .value_kind:     by_value
      - .offset:         44
        .size:           4
        .value_kind:     by_value
      - .offset:         48
        .size:           4
        .value_kind:     by_value
      - .offset:         52
        .size:           4
        .value_kind:     by_value
      - .address_space:  global
        .offset:         56
        .size:           8
        .value_kind:     global_buffer
      - .offset:         64
        .size:           4
        .value_kind:     by_value
      - .offset:         68
        .size:           4
        .value_kind:     by_value
      - .offset:         72
        .size:           4
        .value_kind:     by_value
      - .offset:         76
        .size:           8
        .value_kind:     by_value
      - .offset:         84
        .size:           4
        .value_kind:     by_value
      - .address_space:  global
        .offset:         88
        .size:           8
        .value_kind:     global_buffer
      - .offset:         96
        .size:           16
        .value_kind:     by_value
      - .offset:         112
        .size:           1
        .value_kind:     by_value
      - .offset:         120
        .size:           4
        .value_kind:     hidden_block_count_x
      - .offset:         124
        .size:           4
        .value_kind:     hidden_block_count_y
      - .offset:         128
        .size:           4
        .value_kind:     hidden_block_count_z
      - .offset:         132
        .size:           2
        .value_kind:     hidden_group_size_x
      - .offset:         134
        .size:           2
        .value_kind:     hidden_group_size_y
      - .offset:         136
        .size:           2
        .value_kind:     hidden_group_size_z
      - .offset:         138
        .size:           2
        .value_kind:     hidden_remainder_x
      - .offset:         140
        .size:           2
        .value_kind:     hidden_remainder_y
      - .offset:         142
        .size:           2
        .value_kind:     hidden_remainder_z
      - .offset:         160
        .size:           8
        .value_kind:     hidden_global_offset_x
      - .offset:         168
        .size:           8
        .value_kind:     hidden_global_offset_y
      - .offset:         176
        .size:           8
        .value_kind:     hidden_global_offset_z
      - .offset:         184
        .size:           2
        .value_kind:     hidden_grid_dims
    .group_segment_fixed_size: 0
    .kernarg_segment_align: 8
    .kernarg_segment_size: 376
    .language:       OpenCL C
    .language_version:
      - 2
      - 0
    .max_flat_workgroup_size: 1024
    .name:           _ZL10rope_multiILb0ELb0E6__halfEvPKT1_PS1_iiiiiiiiiiPKifff14rope_corr_dimsfPKf14mrope_sectionsb
    .private_segment_fixed_size: 0
    .sgpr_count:     27
    .sgpr_spill_count: 0
    .symbol:         _ZL10rope_multiILb0ELb0E6__halfEvPKT1_PS1_iiiiiiiiiiPKifff14rope_corr_dimsfPKf14mrope_sectionsb.kd
    .uniform_work_group_size: 1
    .uses_dynamic_stack: false
    .vgpr_count:     25
    .vgpr_spill_count: 0
    .wavefront_size: 32
  - .args:
      - .address_space:  global
        .offset:         0
        .size:           8
        .value_kind:     global_buffer
      - .address_space:  global
        .offset:         8
        .size:           8
        .value_kind:     global_buffer
      - .offset:         16
        .size:           4
        .value_kind:     by_value
      - .offset:         20
        .size:           4
        .value_kind:     by_value
      - .offset:         24
        .size:           4
        .value_kind:     by_value
      - .offset:         28
        .size:           4
        .value_kind:     by_value
      - .offset:         32
        .size:           4
        .value_kind:     by_value
      - .offset:         36
        .size:           4
        .value_kind:     by_value
      - .offset:         40
        .size:           4
        .value_kind:     by_value
      - .offset:         44
        .size:           4
        .value_kind:     by_value
      - .offset:         48
        .size:           4
        .value_kind:     by_value
      - .offset:         52
        .size:           4
        .value_kind:     by_value
      - .address_space:  global
        .offset:         56
        .size:           8
        .value_kind:     global_buffer
      - .offset:         64
        .size:           4
        .value_kind:     by_value
      - .offset:         68
        .size:           4
        .value_kind:     by_value
      - .offset:         72
        .size:           4
        .value_kind:     by_value
      - .offset:         76
        .size:           8
        .value_kind:     by_value
      - .offset:         84
        .size:           4
        .value_kind:     by_value
      - .address_space:  global
        .offset:         88
        .size:           8
        .value_kind:     global_buffer
      - .offset:         96
        .size:           16
        .value_kind:     by_value
      - .offset:         112
        .size:           1
        .value_kind:     by_value
      - .offset:         120
        .size:           4
        .value_kind:     hidden_block_count_x
      - .offset:         124
        .size:           4
        .value_kind:     hidden_block_count_y
      - .offset:         128
        .size:           4
        .value_kind:     hidden_block_count_z
      - .offset:         132
        .size:           2
        .value_kind:     hidden_group_size_x
      - .offset:         134
        .size:           2
        .value_kind:     hidden_group_size_y
      - .offset:         136
        .size:           2
        .value_kind:     hidden_group_size_z
      - .offset:         138
        .size:           2
        .value_kind:     hidden_remainder_x
      - .offset:         140
        .size:           2
        .value_kind:     hidden_remainder_y
      - .offset:         142
        .size:           2
        .value_kind:     hidden_remainder_z
      - .offset:         160
        .size:           8
        .value_kind:     hidden_global_offset_x
      - .offset:         168
        .size:           8
        .value_kind:     hidden_global_offset_y
      - .offset:         176
        .size:           8
        .value_kind:     hidden_global_offset_z
      - .offset:         184
        .size:           2
        .value_kind:     hidden_grid_dims
    .group_segment_fixed_size: 0
    .kernarg_segment_align: 8
    .kernarg_segment_size: 376
    .language:       OpenCL C
    .language_version:
      - 2
      - 0
    .max_flat_workgroup_size: 1024
    .name:           _ZL10rope_multiILb0ELb1E6__halfEvPKT1_PS1_iiiiiiiiiiPKifff14rope_corr_dimsfPKf14mrope_sectionsb
    .private_segment_fixed_size: 0
    .sgpr_count:     29
    .sgpr_spill_count: 0
    .symbol:         _ZL10rope_multiILb0ELb1E6__halfEvPKT1_PS1_iiiiiiiiiiPKifff14rope_corr_dimsfPKf14mrope_sectionsb.kd
    .uniform_work_group_size: 1
    .uses_dynamic_stack: false
    .vgpr_count:     25
    .vgpr_spill_count: 0
    .wavefront_size: 32
  - .args:
      - .address_space:  global
        .offset:         0
        .size:           8
        .value_kind:     global_buffer
      - .address_space:  global
        .offset:         8
        .size:           8
        .value_kind:     global_buffer
      - .offset:         16
        .size:           4
        .value_kind:     by_value
      - .offset:         20
        .size:           4
        .value_kind:     by_value
      - .offset:         24
        .size:           4
        .value_kind:     by_value
      - .offset:         28
        .size:           4
        .value_kind:     by_value
      - .offset:         32
        .size:           4
        .value_kind:     by_value
      - .offset:         36
        .size:           4
        .value_kind:     by_value
      - .offset:         40
        .size:           4
        .value_kind:     by_value
      - .offset:         44
        .size:           4
        .value_kind:     by_value
      - .offset:         48
        .size:           4
        .value_kind:     by_value
      - .offset:         52
        .size:           4
        .value_kind:     by_value
      - .address_space:  global
        .offset:         56
        .size:           8
        .value_kind:     global_buffer
      - .offset:         64
        .size:           4
        .value_kind:     by_value
      - .offset:         68
        .size:           4
        .value_kind:     by_value
      - .offset:         72
        .size:           4
        .value_kind:     by_value
      - .offset:         76
        .size:           8
        .value_kind:     by_value
      - .offset:         84
        .size:           4
        .value_kind:     by_value
      - .address_space:  global
        .offset:         88
        .size:           8
        .value_kind:     global_buffer
      - .offset:         96
        .size:           16
        .value_kind:     by_value
      - .offset:         112
        .size:           4
        .value_kind:     hidden_block_count_x
      - .offset:         116
        .size:           4
        .value_kind:     hidden_block_count_y
      - .offset:         120
        .size:           4
        .value_kind:     hidden_block_count_z
      - .offset:         124
        .size:           2
        .value_kind:     hidden_group_size_x
      - .offset:         126
        .size:           2
        .value_kind:     hidden_group_size_y
      - .offset:         128
        .size:           2
        .value_kind:     hidden_group_size_z
      - .offset:         130
        .size:           2
        .value_kind:     hidden_remainder_x
      - .offset:         132
        .size:           2
        .value_kind:     hidden_remainder_y
      - .offset:         134
        .size:           2
        .value_kind:     hidden_remainder_z
      - .offset:         152
        .size:           8
        .value_kind:     hidden_global_offset_x
      - .offset:         160
        .size:           8
        .value_kind:     hidden_global_offset_y
      - .offset:         168
        .size:           8
        .value_kind:     hidden_global_offset_z
      - .offset:         176
        .size:           2
        .value_kind:     hidden_grid_dims
    .group_segment_fixed_size: 0
    .kernarg_segment_align: 8
    .kernarg_segment_size: 368
    .language:       OpenCL C
    .language_version:
      - 2
      - 0
    .max_flat_workgroup_size: 1024
    .name:           _ZL11rope_visionILb0ELb0EfEvPKT1_PS0_iiiiiiiiiiPKifff14rope_corr_dimsfPKf14mrope_sections
    .private_segment_fixed_size: 0
    .sgpr_count:     23
    .sgpr_spill_count: 0
    .symbol:         _ZL11rope_visionILb0ELb0EfEvPKT1_PS0_iiiiiiiiiiPKifff14rope_corr_dimsfPKf14mrope_sections.kd
    .uniform_work_group_size: 1
    .uses_dynamic_stack: false
    .vgpr_count:     26
    .vgpr_spill_count: 0
    .wavefront_size: 32
  - .args:
      - .address_space:  global
        .offset:         0
        .size:           8
        .value_kind:     global_buffer
      - .address_space:  global
        .offset:         8
        .size:           8
        .value_kind:     global_buffer
      - .offset:         16
        .size:           4
        .value_kind:     by_value
      - .offset:         20
        .size:           4
        .value_kind:     by_value
      - .offset:         24
        .size:           4
        .value_kind:     by_value
      - .offset:         28
        .size:           4
        .value_kind:     by_value
      - .offset:         32
        .size:           4
        .value_kind:     by_value
      - .offset:         36
        .size:           4
        .value_kind:     by_value
      - .offset:         40
        .size:           4
        .value_kind:     by_value
      - .offset:         44
        .size:           4
        .value_kind:     by_value
      - .offset:         48
        .size:           4
        .value_kind:     by_value
      - .offset:         52
        .size:           4
        .value_kind:     by_value
      - .address_space:  global
        .offset:         56
        .size:           8
        .value_kind:     global_buffer
      - .offset:         64
        .size:           4
        .value_kind:     by_value
      - .offset:         68
        .size:           4
        .value_kind:     by_value
      - .offset:         72
        .size:           4
        .value_kind:     by_value
      - .offset:         76
        .size:           8
        .value_kind:     by_value
      - .offset:         84
        .size:           4
        .value_kind:     by_value
      - .address_space:  global
        .offset:         88
        .size:           8
        .value_kind:     global_buffer
      - .offset:         96
        .size:           16
        .value_kind:     by_value
      - .offset:         112
        .size:           4
        .value_kind:     hidden_block_count_x
      - .offset:         116
        .size:           4
        .value_kind:     hidden_block_count_y
      - .offset:         120
        .size:           4
        .value_kind:     hidden_block_count_z
      - .offset:         124
        .size:           2
        .value_kind:     hidden_group_size_x
      - .offset:         126
        .size:           2
        .value_kind:     hidden_group_size_y
      - .offset:         128
        .size:           2
        .value_kind:     hidden_group_size_z
      - .offset:         130
        .size:           2
        .value_kind:     hidden_remainder_x
      - .offset:         132
        .size:           2
        .value_kind:     hidden_remainder_y
      - .offset:         134
        .size:           2
        .value_kind:     hidden_remainder_z
      - .offset:         152
        .size:           8
        .value_kind:     hidden_global_offset_x
      - .offset:         160
        .size:           8
        .value_kind:     hidden_global_offset_y
      - .offset:         168
        .size:           8
        .value_kind:     hidden_global_offset_z
      - .offset:         176
        .size:           2
        .value_kind:     hidden_grid_dims
    .group_segment_fixed_size: 0
    .kernarg_segment_align: 8
    .kernarg_segment_size: 368
    .language:       OpenCL C
    .language_version:
      - 2
      - 0
    .max_flat_workgroup_size: 1024
    .name:           _ZL11rope_visionILb0ELb1EfEvPKT1_PS0_iiiiiiiiiiPKifff14rope_corr_dimsfPKf14mrope_sections
    .private_segment_fixed_size: 0
    .sgpr_count:     23
    .sgpr_spill_count: 0
    .symbol:         _ZL11rope_visionILb0ELb1EfEvPKT1_PS0_iiiiiiiiiiPKifff14rope_corr_dimsfPKf14mrope_sections.kd
    .uniform_work_group_size: 1
    .uses_dynamic_stack: false
    .vgpr_count:     26
    .vgpr_spill_count: 0
    .wavefront_size: 32
  - .args:
      - .address_space:  global
        .offset:         0
        .size:           8
        .value_kind:     global_buffer
      - .address_space:  global
        .offset:         8
        .size:           8
        .value_kind:     global_buffer
      - .offset:         16
        .size:           4
        .value_kind:     by_value
      - .offset:         20
        .size:           4
        .value_kind:     by_value
      - .offset:         24
        .size:           4
        .value_kind:     by_value
      - .offset:         28
        .size:           4
        .value_kind:     by_value
      - .offset:         32
        .size:           4
        .value_kind:     by_value
      - .offset:         36
        .size:           4
        .value_kind:     by_value
      - .offset:         40
        .size:           4
        .value_kind:     by_value
      - .offset:         44
        .size:           4
        .value_kind:     by_value
      - .offset:         48
        .size:           4
        .value_kind:     by_value
      - .offset:         52
        .size:           4
        .value_kind:     by_value
      - .address_space:  global
        .offset:         56
        .size:           8
        .value_kind:     global_buffer
      - .offset:         64
        .size:           4
        .value_kind:     by_value
      - .offset:         68
        .size:           4
        .value_kind:     by_value
      - .offset:         72
        .size:           4
        .value_kind:     by_value
      - .offset:         76
        .size:           8
        .value_kind:     by_value
      - .offset:         84
        .size:           4
        .value_kind:     by_value
      - .address_space:  global
        .offset:         88
        .size:           8
        .value_kind:     global_buffer
      - .offset:         96
        .size:           16
        .value_kind:     by_value
      - .offset:         112
        .size:           4
        .value_kind:     hidden_block_count_x
      - .offset:         116
        .size:           4
        .value_kind:     hidden_block_count_y
      - .offset:         120
        .size:           4
        .value_kind:     hidden_block_count_z
      - .offset:         124
        .size:           2
        .value_kind:     hidden_group_size_x
      - .offset:         126
        .size:           2
        .value_kind:     hidden_group_size_y
      - .offset:         128
        .size:           2
        .value_kind:     hidden_group_size_z
      - .offset:         130
        .size:           2
        .value_kind:     hidden_remainder_x
      - .offset:         132
        .size:           2
        .value_kind:     hidden_remainder_y
      - .offset:         134
        .size:           2
        .value_kind:     hidden_remainder_z
      - .offset:         152
        .size:           8
        .value_kind:     hidden_global_offset_x
      - .offset:         160
        .size:           8
        .value_kind:     hidden_global_offset_y
      - .offset:         168
        .size:           8
        .value_kind:     hidden_global_offset_z
      - .offset:         176
        .size:           2
        .value_kind:     hidden_grid_dims
    .group_segment_fixed_size: 0
    .kernarg_segment_align: 8
    .kernarg_segment_size: 368
    .language:       OpenCL C
    .language_version:
      - 2
      - 0
    .max_flat_workgroup_size: 1024
    .name:           _ZL11rope_visionILb0ELb0E6__halfEvPKT1_PS1_iiiiiiiiiiPKifff14rope_corr_dimsfPKf14mrope_sections
    .private_segment_fixed_size: 0
    .sgpr_count:     23
    .sgpr_spill_count: 0
    .symbol:         _ZL11rope_visionILb0ELb0E6__halfEvPKT1_PS1_iiiiiiiiiiPKifff14rope_corr_dimsfPKf14mrope_sections.kd
    .uniform_work_group_size: 1
    .uses_dynamic_stack: false
    .vgpr_count:     26
    .vgpr_spill_count: 0
    .wavefront_size: 32
  - .args:
      - .address_space:  global
        .offset:         0
        .size:           8
        .value_kind:     global_buffer
      - .address_space:  global
        .offset:         8
        .size:           8
        .value_kind:     global_buffer
      - .offset:         16
        .size:           4
        .value_kind:     by_value
      - .offset:         20
        .size:           4
        .value_kind:     by_value
      - .offset:         24
        .size:           4
        .value_kind:     by_value
      - .offset:         28
        .size:           4
        .value_kind:     by_value
      - .offset:         32
        .size:           4
        .value_kind:     by_value
      - .offset:         36
        .size:           4
        .value_kind:     by_value
      - .offset:         40
        .size:           4
        .value_kind:     by_value
      - .offset:         44
        .size:           4
        .value_kind:     by_value
      - .offset:         48
        .size:           4
        .value_kind:     by_value
      - .offset:         52
        .size:           4
        .value_kind:     by_value
      - .address_space:  global
        .offset:         56
        .size:           8
        .value_kind:     global_buffer
      - .offset:         64
        .size:           4
        .value_kind:     by_value
      - .offset:         68
        .size:           4
        .value_kind:     by_value
      - .offset:         72
        .size:           4
        .value_kind:     by_value
      - .offset:         76
        .size:           8
        .value_kind:     by_value
      - .offset:         84
        .size:           4
        .value_kind:     by_value
      - .address_space:  global
        .offset:         88
        .size:           8
        .value_kind:     global_buffer
      - .offset:         96
        .size:           16
        .value_kind:     by_value
      - .offset:         112
        .size:           4
        .value_kind:     hidden_block_count_x
      - .offset:         116
        .size:           4
        .value_kind:     hidden_block_count_y
      - .offset:         120
        .size:           4
        .value_kind:     hidden_block_count_z
      - .offset:         124
        .size:           2
        .value_kind:     hidden_group_size_x
      - .offset:         126
        .size:           2
        .value_kind:     hidden_group_size_y
      - .offset:         128
        .size:           2
        .value_kind:     hidden_group_size_z
      - .offset:         130
        .size:           2
        .value_kind:     hidden_remainder_x
      - .offset:         132
        .size:           2
        .value_kind:     hidden_remainder_y
      - .offset:         134
        .size:           2
        .value_kind:     hidden_remainder_z
      - .offset:         152
        .size:           8
        .value_kind:     hidden_global_offset_x
      - .offset:         160
        .size:           8
        .value_kind:     hidden_global_offset_y
      - .offset:         168
        .size:           8
        .value_kind:     hidden_global_offset_z
      - .offset:         176
        .size:           2
        .value_kind:     hidden_grid_dims
    .group_segment_fixed_size: 0
    .kernarg_segment_align: 8
    .kernarg_segment_size: 368
    .language:       OpenCL C
    .language_version:
      - 2
      - 0
    .max_flat_workgroup_size: 1024
    .name:           _ZL11rope_visionILb0ELb1E6__halfEvPKT1_PS1_iiiiiiiiiiPKifff14rope_corr_dimsfPKf14mrope_sections
    .private_segment_fixed_size: 0
    .sgpr_count:     23
    .sgpr_spill_count: 0
    .symbol:         _ZL11rope_visionILb0ELb1E6__halfEvPKT1_PS1_iiiiiiiiiiPKifff14rope_corr_dimsfPKf14mrope_sections.kd
    .uniform_work_group_size: 1
    .uses_dynamic_stack: false
    .vgpr_count:     26
    .vgpr_spill_count: 0
    .wavefront_size: 32
  - .args:
      - .address_space:  global
        .offset:         0
        .size:           8
        .value_kind:     global_buffer
      - .address_space:  global
        .offset:         8
        .size:           8
        .value_kind:     global_buffer
      - .offset:         16
        .size:           4
        .value_kind:     by_value
      - .offset:         20
        .size:           4
        .value_kind:     by_value
      - .offset:         24
        .size:           4
        .value_kind:     by_value
      - .offset:         28
        .size:           4
        .value_kind:     by_value
      - .offset:         32
        .size:           4
        .value_kind:     by_value
      - .offset:         36
        .size:           4
        .value_kind:     by_value
      - .offset:         40
        .size:           4
        .value_kind:     by_value
      - .offset:         44
        .size:           4
        .value_kind:     by_value
      - .offset:         48
        .size:           4
        .value_kind:     by_value
      - .offset:         52
        .size:           4
        .value_kind:     by_value
      - .address_space:  global
        .offset:         56
        .size:           8
        .value_kind:     global_buffer
      - .offset:         64
        .size:           4
        .value_kind:     by_value
      - .offset:         68
        .size:           4
        .value_kind:     by_value
      - .offset:         72
        .size:           4
        .value_kind:     by_value
      - .offset:         76
        .size:           8
        .value_kind:     by_value
      - .offset:         84
        .size:           4
        .value_kind:     by_value
      - .address_space:  global
        .offset:         88
        .size:           8
        .value_kind:     global_buffer
      - .address_space:  global
        .offset:         96
        .size:           8
        .value_kind:     global_buffer
      - .offset:         104
        .size:           4
        .value_kind:     by_value
      - .offset:         112
        .size:           4
        .value_kind:     hidden_block_count_x
      - .offset:         116
        .size:           4
        .value_kind:     hidden_block_count_y
      - .offset:         120
        .size:           4
        .value_kind:     hidden_block_count_z
      - .offset:         124
        .size:           2
        .value_kind:     hidden_group_size_x
      - .offset:         126
        .size:           2
        .value_kind:     hidden_group_size_y
      - .offset:         128
        .size:           2
        .value_kind:     hidden_group_size_z
      - .offset:         130
        .size:           2
        .value_kind:     hidden_remainder_x
      - .offset:         132
        .size:           2
        .value_kind:     hidden_remainder_y
      - .offset:         134
        .size:           2
        .value_kind:     hidden_remainder_z
      - .offset:         152
        .size:           8
        .value_kind:     hidden_global_offset_x
      - .offset:         160
        .size:           8
        .value_kind:     hidden_global_offset_y
      - .offset:         168
        .size:           8
        .value_kind:     hidden_global_offset_z
      - .offset:         176
        .size:           2
        .value_kind:     hidden_grid_dims
    .group_segment_fixed_size: 0
    .kernarg_segment_align: 8
    .kernarg_segment_size: 368
    .language:       OpenCL C
    .language_version:
      - 2
      - 0
    .max_flat_workgroup_size: 1024
    .name:           _ZL9rope_normILb0ELb0EffEvPKT1_PT2_iiiiiiiiiiPKifff14rope_corr_dimsfPKfPKli
    .private_segment_fixed_size: 0
    .sgpr_count:     18
    .sgpr_spill_count: 0
    .symbol:         _ZL9rope_normILb0ELb0EffEvPKT1_PT2_iiiiiiiiiiPKifff14rope_corr_dimsfPKfPKli.kd
    .uniform_work_group_size: 1
    .uses_dynamic_stack: false
    .vgpr_count:     26
    .vgpr_spill_count: 0
    .wavefront_size: 32
  - .args:
      - .address_space:  global
        .offset:         0
        .size:           8
        .value_kind:     global_buffer
      - .address_space:  global
        .offset:         8
        .size:           8
        .value_kind:     global_buffer
      - .offset:         16
        .size:           4
        .value_kind:     by_value
      - .offset:         20
        .size:           4
        .value_kind:     by_value
      - .offset:         24
        .size:           4
        .value_kind:     by_value
      - .offset:         28
        .size:           4
        .value_kind:     by_value
      - .offset:         32
        .size:           4
        .value_kind:     by_value
      - .offset:         36
        .size:           4
        .value_kind:     by_value
      - .offset:         40
        .size:           4
        .value_kind:     by_value
      - .offset:         44
        .size:           4
        .value_kind:     by_value
      - .offset:         48
        .size:           4
        .value_kind:     by_value
      - .offset:         52
        .size:           4
        .value_kind:     by_value
      - .address_space:  global
        .offset:         56
        .size:           8
        .value_kind:     global_buffer
      - .offset:         64
        .size:           4
        .value_kind:     by_value
      - .offset:         68
        .size:           4
        .value_kind:     by_value
      - .offset:         72
        .size:           4
        .value_kind:     by_value
      - .offset:         76
        .size:           8
        .value_kind:     by_value
      - .offset:         84
        .size:           4
        .value_kind:     by_value
      - .address_space:  global
        .offset:         88
        .size:           8
        .value_kind:     global_buffer
      - .address_space:  global
        .offset:         96
        .size:           8
        .value_kind:     global_buffer
      - .offset:         104
        .size:           4
        .value_kind:     by_value
      - .offset:         112
        .size:           4
        .value_kind:     hidden_block_count_x
      - .offset:         116
        .size:           4
        .value_kind:     hidden_block_count_y
      - .offset:         120
        .size:           4
        .value_kind:     hidden_block_count_z
      - .offset:         124
        .size:           2
        .value_kind:     hidden_group_size_x
      - .offset:         126
        .size:           2
        .value_kind:     hidden_group_size_y
      - .offset:         128
        .size:           2
        .value_kind:     hidden_group_size_z
      - .offset:         130
        .size:           2
        .value_kind:     hidden_remainder_x
      - .offset:         132
        .size:           2
        .value_kind:     hidden_remainder_y
      - .offset:         134
        .size:           2
        .value_kind:     hidden_remainder_z
      - .offset:         152
        .size:           8
        .value_kind:     hidden_global_offset_x
      - .offset:         160
        .size:           8
        .value_kind:     hidden_global_offset_y
      - .offset:         168
        .size:           8
        .value_kind:     hidden_global_offset_z
      - .offset:         176
        .size:           2
        .value_kind:     hidden_grid_dims
    .group_segment_fixed_size: 0
    .kernarg_segment_align: 8
    .kernarg_segment_size: 368
    .language:       OpenCL C
    .language_version:
      - 2
      - 0
    .max_flat_workgroup_size: 1024
    .name:           _ZL9rope_normILb0ELb1EffEvPKT1_PT2_iiiiiiiiiiPKifff14rope_corr_dimsfPKfPKli
    .private_segment_fixed_size: 0
    .sgpr_count:     18
    .sgpr_spill_count: 0
    .symbol:         _ZL9rope_normILb0ELb1EffEvPKT1_PT2_iiiiiiiiiiPKifff14rope_corr_dimsfPKfPKli.kd
    .uniform_work_group_size: 1
    .uses_dynamic_stack: false
    .vgpr_count:     26
    .vgpr_spill_count: 0
    .wavefront_size: 32
  - .args:
      - .address_space:  global
        .offset:         0
        .size:           8
        .value_kind:     global_buffer
      - .address_space:  global
        .offset:         8
        .size:           8
        .value_kind:     global_buffer
      - .offset:         16
        .size:           4
        .value_kind:     by_value
      - .offset:         20
        .size:           4
        .value_kind:     by_value
      - .offset:         24
        .size:           4
        .value_kind:     by_value
      - .offset:         28
        .size:           4
        .value_kind:     by_value
      - .offset:         32
        .size:           4
        .value_kind:     by_value
      - .offset:         36
        .size:           4
        .value_kind:     by_value
      - .offset:         40
        .size:           4
        .value_kind:     by_value
      - .offset:         44
        .size:           4
        .value_kind:     by_value
      - .offset:         48
        .size:           4
        .value_kind:     by_value
      - .offset:         52
        .size:           4
        .value_kind:     by_value
      - .address_space:  global
        .offset:         56
        .size:           8
        .value_kind:     global_buffer
      - .offset:         64
        .size:           4
        .value_kind:     by_value
      - .offset:         68
        .size:           4
        .value_kind:     by_value
      - .offset:         72
        .size:           4
        .value_kind:     by_value
      - .offset:         76
        .size:           8
        .value_kind:     by_value
      - .offset:         84
        .size:           4
        .value_kind:     by_value
      - .address_space:  global
        .offset:         88
        .size:           8
        .value_kind:     global_buffer
      - .address_space:  global
        .offset:         96
        .size:           8
        .value_kind:     global_buffer
      - .offset:         104
        .size:           4
        .value_kind:     by_value
      - .offset:         112
        .size:           4
        .value_kind:     hidden_block_count_x
      - .offset:         116
        .size:           4
        .value_kind:     hidden_block_count_y
      - .offset:         120
        .size:           4
        .value_kind:     hidden_block_count_z
      - .offset:         124
        .size:           2
        .value_kind:     hidden_group_size_x
      - .offset:         126
        .size:           2
        .value_kind:     hidden_group_size_y
      - .offset:         128
        .size:           2
        .value_kind:     hidden_group_size_z
      - .offset:         130
        .size:           2
        .value_kind:     hidden_remainder_x
      - .offset:         132
        .size:           2
        .value_kind:     hidden_remainder_y
      - .offset:         134
        .size:           2
        .value_kind:     hidden_remainder_z
      - .offset:         152
        .size:           8
        .value_kind:     hidden_global_offset_x
      - .offset:         160
        .size:           8
        .value_kind:     hidden_global_offset_y
      - .offset:         168
        .size:           8
        .value_kind:     hidden_global_offset_z
      - .offset:         176
        .size:           2
        .value_kind:     hidden_grid_dims
    .group_segment_fixed_size: 0
    .kernarg_segment_align: 8
    .kernarg_segment_size: 368
    .language:       OpenCL C
    .language_version:
      - 2
      - 0
    .max_flat_workgroup_size: 1024
    .name:           _ZL9rope_normILb0ELb0Ef6__halfEvPKT1_PT2_iiiiiiiiiiPKifff14rope_corr_dimsfPKfPKli
    .private_segment_fixed_size: 0
    .sgpr_count:     22
    .sgpr_spill_count: 0
    .symbol:         _ZL9rope_normILb0ELb0Ef6__halfEvPKT1_PT2_iiiiiiiiiiPKifff14rope_corr_dimsfPKfPKli.kd
    .uniform_work_group_size: 1
    .uses_dynamic_stack: false
    .vgpr_count:     28
    .vgpr_spill_count: 0
    .wavefront_size: 32
  - .args:
      - .address_space:  global
        .offset:         0
        .size:           8
        .value_kind:     global_buffer
      - .address_space:  global
        .offset:         8
        .size:           8
        .value_kind:     global_buffer
      - .offset:         16
        .size:           4
        .value_kind:     by_value
      - .offset:         20
        .size:           4
        .value_kind:     by_value
      - .offset:         24
        .size:           4
        .value_kind:     by_value
      - .offset:         28
        .size:           4
        .value_kind:     by_value
      - .offset:         32
        .size:           4
        .value_kind:     by_value
      - .offset:         36
        .size:           4
        .value_kind:     by_value
      - .offset:         40
        .size:           4
        .value_kind:     by_value
      - .offset:         44
        .size:           4
        .value_kind:     by_value
      - .offset:         48
        .size:           4
        .value_kind:     by_value
      - .offset:         52
        .size:           4
        .value_kind:     by_value
      - .address_space:  global
        .offset:         56
        .size:           8
        .value_kind:     global_buffer
      - .offset:         64
        .size:           4
        .value_kind:     by_value
      - .offset:         68
        .size:           4
        .value_kind:     by_value
      - .offset:         72
        .size:           4
        .value_kind:     by_value
      - .offset:         76
        .size:           8
        .value_kind:     by_value
      - .offset:         84
        .size:           4
        .value_kind:     by_value
      - .address_space:  global
        .offset:         88
        .size:           8
        .value_kind:     global_buffer
      - .address_space:  global
        .offset:         96
        .size:           8
        .value_kind:     global_buffer
      - .offset:         104
        .size:           4
        .value_kind:     by_value
      - .offset:         112
        .size:           4
        .value_kind:     hidden_block_count_x
      - .offset:         116
        .size:           4
        .value_kind:     hidden_block_count_y
      - .offset:         120
        .size:           4
        .value_kind:     hidden_block_count_z
      - .offset:         124
        .size:           2
        .value_kind:     hidden_group_size_x
      - .offset:         126
        .size:           2
        .value_kind:     hidden_group_size_y
      - .offset:         128
        .size:           2
        .value_kind:     hidden_group_size_z
      - .offset:         130
        .size:           2
        .value_kind:     hidden_remainder_x
      - .offset:         132
        .size:           2
        .value_kind:     hidden_remainder_y
      - .offset:         134
        .size:           2
        .value_kind:     hidden_remainder_z
      - .offset:         152
        .size:           8
        .value_kind:     hidden_global_offset_x
      - .offset:         160
        .size:           8
        .value_kind:     hidden_global_offset_y
      - .offset:         168
        .size:           8
        .value_kind:     hidden_global_offset_z
      - .offset:         176
        .size:           2
        .value_kind:     hidden_grid_dims
    .group_segment_fixed_size: 0
    .kernarg_segment_align: 8
    .kernarg_segment_size: 368
    .language:       OpenCL C
    .language_version:
      - 2
      - 0
    .max_flat_workgroup_size: 1024
    .name:           _ZL9rope_normILb0ELb1Ef6__halfEvPKT1_PT2_iiiiiiiiiiPKifff14rope_corr_dimsfPKfPKli
    .private_segment_fixed_size: 0
    .sgpr_count:     22
    .sgpr_spill_count: 0
    .symbol:         _ZL9rope_normILb0ELb1Ef6__halfEvPKT1_PT2_iiiiiiiiiiPKifff14rope_corr_dimsfPKfPKli.kd
    .uniform_work_group_size: 1
    .uses_dynamic_stack: false
    .vgpr_count:     28
    .vgpr_spill_count: 0
    .wavefront_size: 32
  - .args:
      - .address_space:  global
        .offset:         0
        .size:           8
        .value_kind:     global_buffer
      - .address_space:  global
        .offset:         8
        .size:           8
        .value_kind:     global_buffer
      - .offset:         16
        .size:           4
        .value_kind:     by_value
      - .offset:         20
        .size:           4
        .value_kind:     by_value
      - .offset:         24
        .size:           4
        .value_kind:     by_value
      - .offset:         28
        .size:           4
        .value_kind:     by_value
      - .offset:         32
        .size:           4
        .value_kind:     by_value
      - .offset:         36
        .size:           4
        .value_kind:     by_value
      - .offset:         40
        .size:           4
        .value_kind:     by_value
      - .offset:         44
        .size:           4
        .value_kind:     by_value
      - .offset:         48
        .size:           4
        .value_kind:     by_value
      - .offset:         52
        .size:           4
        .value_kind:     by_value
      - .address_space:  global
        .offset:         56
        .size:           8
        .value_kind:     global_buffer
      - .offset:         64
        .size:           4
        .value_kind:     by_value
      - .offset:         68
        .size:           4
        .value_kind:     by_value
      - .offset:         72
        .size:           4
        .value_kind:     by_value
      - .offset:         76
        .size:           8
        .value_kind:     by_value
      - .offset:         84
        .size:           4
        .value_kind:     by_value
      - .address_space:  global
        .offset:         88
        .size:           8
        .value_kind:     global_buffer
      - .address_space:  global
        .offset:         96
        .size:           8
        .value_kind:     global_buffer
      - .offset:         104
        .size:           4
        .value_kind:     by_value
      - .offset:         112
        .size:           4
        .value_kind:     hidden_block_count_x
      - .offset:         116
        .size:           4
        .value_kind:     hidden_block_count_y
      - .offset:         120
        .size:           4
        .value_kind:     hidden_block_count_z
      - .offset:         124
        .size:           2
        .value_kind:     hidden_group_size_x
      - .offset:         126
        .size:           2
        .value_kind:     hidden_group_size_y
      - .offset:         128
        .size:           2
        .value_kind:     hidden_group_size_z
      - .offset:         130
        .size:           2
        .value_kind:     hidden_remainder_x
      - .offset:         132
        .size:           2
        .value_kind:     hidden_remainder_y
      - .offset:         134
        .size:           2
        .value_kind:     hidden_remainder_z
      - .offset:         152
        .size:           8
        .value_kind:     hidden_global_offset_x
      - .offset:         160
        .size:           8
        .value_kind:     hidden_global_offset_y
      - .offset:         168
        .size:           8
        .value_kind:     hidden_global_offset_z
      - .offset:         176
        .size:           2
        .value_kind:     hidden_grid_dims
    .group_segment_fixed_size: 0
    .kernarg_segment_align: 8
    .kernarg_segment_size: 368
    .language:       OpenCL C
    .language_version:
      - 2
      - 0
    .max_flat_workgroup_size: 1024
    .name:           _ZL9rope_normILb0ELb0E6__halfS0_EvPKT1_PT2_iiiiiiiiiiPKifff14rope_corr_dimsfPKfPKli
    .private_segment_fixed_size: 0
    .sgpr_count:     22
    .sgpr_spill_count: 0
    .symbol:         _ZL9rope_normILb0ELb0E6__halfS0_EvPKT1_PT2_iiiiiiiiiiPKifff14rope_corr_dimsfPKfPKli.kd
    .uniform_work_group_size: 1
    .uses_dynamic_stack: false
    .vgpr_count:     26
    .vgpr_spill_count: 0
    .wavefront_size: 32
  - .args:
      - .address_space:  global
        .offset:         0
        .size:           8
        .value_kind:     global_buffer
      - .address_space:  global
        .offset:         8
        .size:           8
        .value_kind:     global_buffer
      - .offset:         16
        .size:           4
        .value_kind:     by_value
      - .offset:         20
        .size:           4
        .value_kind:     by_value
      - .offset:         24
        .size:           4
        .value_kind:     by_value
      - .offset:         28
        .size:           4
        .value_kind:     by_value
      - .offset:         32
        .size:           4
        .value_kind:     by_value
      - .offset:         36
        .size:           4
        .value_kind:     by_value
      - .offset:         40
        .size:           4
        .value_kind:     by_value
      - .offset:         44
        .size:           4
        .value_kind:     by_value
      - .offset:         48
        .size:           4
        .value_kind:     by_value
      - .offset:         52
        .size:           4
        .value_kind:     by_value
      - .address_space:  global
        .offset:         56
        .size:           8
        .value_kind:     global_buffer
      - .offset:         64
        .size:           4
        .value_kind:     by_value
      - .offset:         68
        .size:           4
        .value_kind:     by_value
      - .offset:         72
        .size:           4
        .value_kind:     by_value
      - .offset:         76
        .size:           8
        .value_kind:     by_value
      - .offset:         84
        .size:           4
        .value_kind:     by_value
      - .address_space:  global
        .offset:         88
        .size:           8
        .value_kind:     global_buffer
      - .address_space:  global
        .offset:         96
        .size:           8
        .value_kind:     global_buffer
      - .offset:         104
        .size:           4
        .value_kind:     by_value
      - .offset:         112
        .size:           4
        .value_kind:     hidden_block_count_x
      - .offset:         116
        .size:           4
        .value_kind:     hidden_block_count_y
      - .offset:         120
        .size:           4
        .value_kind:     hidden_block_count_z
      - .offset:         124
        .size:           2
        .value_kind:     hidden_group_size_x
      - .offset:         126
        .size:           2
        .value_kind:     hidden_group_size_y
      - .offset:         128
        .size:           2
        .value_kind:     hidden_group_size_z
      - .offset:         130
        .size:           2
        .value_kind:     hidden_remainder_x
      - .offset:         132
        .size:           2
        .value_kind:     hidden_remainder_y
      - .offset:         134
        .size:           2
        .value_kind:     hidden_remainder_z
      - .offset:         152
        .size:           8
        .value_kind:     hidden_global_offset_x
      - .offset:         160
        .size:           8
        .value_kind:     hidden_global_offset_y
      - .offset:         168
        .size:           8
        .value_kind:     hidden_global_offset_z
      - .offset:         176
        .size:           2
        .value_kind:     hidden_grid_dims
    .group_segment_fixed_size: 0
    .kernarg_segment_align: 8
    .kernarg_segment_size: 368
    .language:       OpenCL C
    .language_version:
      - 2
      - 0
    .max_flat_workgroup_size: 1024
    .name:           _ZL9rope_normILb0ELb1E6__halfS0_EvPKT1_PT2_iiiiiiiiiiPKifff14rope_corr_dimsfPKfPKli
    .private_segment_fixed_size: 0
    .sgpr_count:     22
    .sgpr_spill_count: 0
    .symbol:         _ZL9rope_normILb0ELb1E6__halfS0_EvPKT1_PT2_iiiiiiiiiiPKifff14rope_corr_dimsfPKfPKli.kd
    .uniform_work_group_size: 1
    .uses_dynamic_stack: false
    .vgpr_count:     28
    .vgpr_spill_count: 0
    .wavefront_size: 32
amdhsa.target:   amdgcn-amd-amdhsa--gfx1250
amdhsa.version:
  - 1
  - 2
...

	.end_amdgpu_metadata
